;; amdgpu-corpus repo=pytorch/pytorch kind=compiled arch=gfx950 opt=O3
	.amdgcn_target "amdgcn-amd-amdhsa--gfx950"
	.amdhsa_code_object_version 6
	.section	.text._ZN2at6native12_GLOBAL__N_125multi_tensor_apply_kernelINS1_18TensorListMetadataILi1EEENS1_21BinaryOpScalarFunctorIhLi1ELi1ELi0EEEJSt4plusIhEhEEEvT_T0_DpT1_,"axG",@progbits,_ZN2at6native12_GLOBAL__N_125multi_tensor_apply_kernelINS1_18TensorListMetadataILi1EEENS1_21BinaryOpScalarFunctorIhLi1ELi1ELi0EEEJSt4plusIhEhEEEvT_T0_DpT1_,comdat
	.globl	_ZN2at6native12_GLOBAL__N_125multi_tensor_apply_kernelINS1_18TensorListMetadataILi1EEENS1_21BinaryOpScalarFunctorIhLi1ELi1ELi0EEEJSt4plusIhEhEEEvT_T0_DpT1_ ; -- Begin function _ZN2at6native12_GLOBAL__N_125multi_tensor_apply_kernelINS1_18TensorListMetadataILi1EEENS1_21BinaryOpScalarFunctorIhLi1ELi1ELi0EEEJSt4plusIhEhEEEvT_T0_DpT1_
	.p2align	8
	.type	_ZN2at6native12_GLOBAL__N_125multi_tensor_apply_kernelINS1_18TensorListMetadataILi1EEENS1_21BinaryOpScalarFunctorIhLi1ELi1ELi0EEEJSt4plusIhEhEEEvT_T0_DpT1_,@function
_ZN2at6native12_GLOBAL__N_125multi_tensor_apply_kernelINS1_18TensorListMetadataILi1EEENS1_21BinaryOpScalarFunctorIhLi1ELi1ELi0EEEJSt4plusIhEhEEEvT_T0_DpT1_: ; @_ZN2at6native12_GLOBAL__N_125multi_tensor_apply_kernelINS1_18TensorListMetadataILi1EEENS1_21BinaryOpScalarFunctorIhLi1ELi1ELi0EEEJSt4plusIhEhEEEvT_T0_DpT1_
; %bb.0:
	v_mov_b32_e32 v1, s2
	global_load_ubyte v1, v1, s[0:1] offset:1760
	s_add_u32 s3, s0, s2
	s_mul_hi_u32 s4, s2, 3
	s_mul_i32 s2, s2, 3
	s_addc_u32 s5, s1, 0
	s_add_u32 s2, s3, s2
	s_addc_u32 s3, s5, s4
	s_load_dword s2, s[2:3], 0x820
	s_waitcnt vmcnt(0)
	v_readfirstlane_b32 s3, v1
	s_lshl_b32 s3, s3, 3
	s_load_dwordx2 s[4:5], s[0:1], s3 offset:0x370
	s_load_dword s20, s[0:1], 0xd28
	s_load_dwordx2 s[8:9], s[0:1], s3 offset:0x0
	s_waitcnt lgkmcnt(0)
	s_ashr_i32 s3, s2, 31
	s_lshl_b64 s[10:11], s[2:3], 16
	s_sub_u32 s12, s4, s10
	s_subb_u32 s13, s5, s11
	s_or_b32 s2, s4, s8
	s_and_b32 s2, s2, 3
	s_cmp_eq_u32 s2, 0
	s_cbranch_scc1 .LBB0_21
; %bb.1:
	v_cmp_lt_i64_e64 s[2:3], s[12:13], 1
	s_and_b64 vcc, exec, s[2:3]
	s_cbranch_vccnz .LBB0_20
; %bb.2:
	s_load_dword s2, s[0:1], 0xd3c
	v_mov_b64_e32 v[2:3], 0x10000
	v_cmp_lt_i64_e32 vcc, s[12:13], v[2:3]
	s_and_b64 s[4:5], vcc, exec
	s_cselect_b32 s5, s13, 0
	s_cselect_b32 s4, s12, 0x10000
	s_waitcnt lgkmcnt(0)
	s_and_b32 s2, s2, 0xffff
	v_cmp_lt_u64_e32 vcc, s[12:13], v[2:3]
	s_and_b64 s[6:7], vcc, exec
	s_cselect_b32 s15, s13, 0
	s_cselect_b32 s14, s12, 0x10000
	s_lshl_b32 s6, s2, 1
	s_mul_i32 s16, s2, 3
	s_lshl_b32 s21, s2, 2
	s_add_u32 s18, s10, s16
	s_addc_u32 s19, s11, 0
	s_mov_b32 s3, 0
	s_add_u32 s18, s8, s18
	v_mov_b32_e32 v1, 0
	s_mov_b32 s17, s3
	s_addc_u32 s19, s9, s19
	v_lshl_add_u64 v[6:7], s[16:17], 0, v[0:1]
	s_add_u32 s16, s10, s6
	s_addc_u32 s17, s11, 0
	s_add_u32 s16, s8, s16
	s_mov_b32 s7, s3
	s_addc_u32 s17, s9, s17
	v_lshl_add_u64 v[10:11], s[6:7], 0, v[0:1]
	s_add_u32 s6, s8, s2
	v_lshl_add_u64 v[12:13], s[10:11], 0, v[0:1]
	s_addc_u32 s7, s9, 0
	v_lshl_add_u64 v[2:3], s[8:9], 0, v[12:13]
	v_lshl_add_u64 v[4:5], s[18:19], 0, v[0:1]
	;; [unrolled: 1-line block ×5, first 2 shown]
	s_mov_b64 s[16:17], 0
	s_lshr_b32 s22, s20, 16
	v_mov_b64_e32 v[16:17], s[4:5]
	s_branch .LBB0_4
.LBB0_3:                                ;   in Loop: Header=BB0_4 Depth=1
	s_or_b64 exec, exec, s[2:3]
	s_add_u32 s16, s16, s21
	s_addc_u32 s17, s17, 0
	v_cmp_lt_i64_e32 vcc, s[16:17], v[16:17]
	s_cbranch_vccz .LBB0_20
.LBB0_4:                                ; =>This Inner Loop Header: Depth=1
	v_lshl_add_u64 v[18:19], v[0:1], 0, s[16:17]
	v_cmp_gt_u64_e32 vcc, s[14:15], v[18:19]
	v_lshl_add_u64 v[18:19], v[2:3], 0, s[16:17]
	s_waitcnt vmcnt(0)
	v_mov_b32_e32 v27, 0
	s_and_saveexec_b64 s[2:3], vcc
	s_cbranch_execz .LBB0_6
; %bb.5:                                ;   in Loop: Header=BB0_4 Depth=1
	global_load_ubyte v27, v[18:19], off
.LBB0_6:                                ;   in Loop: Header=BB0_4 Depth=1
	s_or_b64 exec, exec, s[2:3]
	v_lshl_add_u64 v[20:21], v[14:15], 0, s[16:17]
	v_cmp_gt_u64_e64 s[2:3], s[14:15], v[20:21]
	v_mov_b32_e32 v26, 0
	v_lshl_add_u64 v[20:21], v[12:13], 0, s[16:17]
	v_mov_b32_e32 v28, 0
	s_and_saveexec_b64 s[4:5], s[2:3]
	s_cbranch_execz .LBB0_8
; %bb.7:                                ;   in Loop: Header=BB0_4 Depth=1
	global_load_ubyte v28, v[20:21], off
.LBB0_8:                                ;   in Loop: Header=BB0_4 Depth=1
	s_or_b64 exec, exec, s[4:5]
	v_lshl_add_u64 v[22:23], v[10:11], 0, s[16:17]
	v_cmp_gt_u64_e64 s[4:5], s[14:15], v[22:23]
	v_lshl_add_u64 v[22:23], v[8:9], 0, s[16:17]
	s_and_saveexec_b64 s[6:7], s[4:5]
	s_cbranch_execz .LBB0_10
; %bb.9:                                ;   in Loop: Header=BB0_4 Depth=1
	global_load_ubyte v26, v[22:23], off
.LBB0_10:                               ;   in Loop: Header=BB0_4 Depth=1
	s_or_b64 exec, exec, s[6:7]
	v_lshl_add_u64 v[24:25], v[6:7], 0, s[16:17]
	v_cmp_gt_u64_e64 s[6:7], s[14:15], v[24:25]
	v_mov_b32_e32 v29, 0
	v_lshl_add_u64 v[24:25], v[4:5], 0, s[16:17]
	s_and_saveexec_b64 s[18:19], s[6:7]
	s_cbranch_execnz .LBB0_15
; %bb.11:                               ;   in Loop: Header=BB0_4 Depth=1
	s_or_b64 exec, exec, s[18:19]
	s_and_saveexec_b64 s[18:19], vcc
	s_cbranch_execnz .LBB0_16
.LBB0_12:                               ;   in Loop: Header=BB0_4 Depth=1
	s_or_b64 exec, exec, s[18:19]
	s_and_saveexec_b64 s[18:19], s[2:3]
	s_cbranch_execnz .LBB0_17
.LBB0_13:                               ;   in Loop: Header=BB0_4 Depth=1
	s_or_b64 exec, exec, s[18:19]
	s_and_saveexec_b64 s[2:3], s[4:5]
	s_cbranch_execnz .LBB0_18
.LBB0_14:                               ;   in Loop: Header=BB0_4 Depth=1
	s_or_b64 exec, exec, s[2:3]
	s_and_saveexec_b64 s[2:3], s[6:7]
	s_cbranch_execz .LBB0_3
	s_branch .LBB0_19
.LBB0_15:                               ;   in Loop: Header=BB0_4 Depth=1
	global_load_ubyte v29, v[24:25], off
	s_or_b64 exec, exec, s[18:19]
	s_and_saveexec_b64 s[18:19], vcc
	s_cbranch_execz .LBB0_12
.LBB0_16:                               ;   in Loop: Header=BB0_4 Depth=1
	s_waitcnt vmcnt(0)
	v_add_u16_e32 v27, s22, v27
	global_store_byte v[18:19], v27, off
	s_or_b64 exec, exec, s[18:19]
	s_and_saveexec_b64 s[18:19], s[2:3]
	s_cbranch_execz .LBB0_13
.LBB0_17:                               ;   in Loop: Header=BB0_4 Depth=1
	s_waitcnt vmcnt(0)
	v_add_u16_e32 v18, s22, v28
	global_store_byte v[20:21], v18, off
	s_or_b64 exec, exec, s[18:19]
	s_and_saveexec_b64 s[2:3], s[4:5]
	s_cbranch_execz .LBB0_14
.LBB0_18:                               ;   in Loop: Header=BB0_4 Depth=1
	s_waitcnt vmcnt(0)
	v_add_u16_e32 v18, s22, v26
	global_store_byte v[22:23], v18, off
	s_or_b64 exec, exec, s[2:3]
	s_and_saveexec_b64 s[2:3], s[6:7]
	s_cbranch_execz .LBB0_3
.LBB0_19:                               ;   in Loop: Header=BB0_4 Depth=1
	s_waitcnt vmcnt(0)
	v_add_u16_e32 v18, s22, v29
	global_store_byte v[24:25], v18, off
	s_branch .LBB0_3
.LBB0_20:
	s_cbranch_execz .LBB0_22
	s_branch .LBB0_25
.LBB0_21:
.LBB0_22:
	v_mov_b64_e32 v[4:5], 0x10000
	v_cmp_lt_i64_e32 vcc, s[12:13], v[4:5]
	s_and_b64 s[4:5], vcc, exec
	v_mov_b32_e32 v3, 0
	s_cselect_b32 s5, s13, 0
	s_cselect_b32 s4, s12, 0x10000
	v_lshlrev_b32_e32 v2, 2, v0
	s_mov_b32 s3, 0
	v_cmp_gt_i64_e32 vcc, s[4:5], v[2:3]
	s_and_saveexec_b64 s[6:7], vcc
	s_cbranch_execz .LBB0_25
; %bb.23:
	s_load_dword s0, s[0:1], 0xd3c
	v_mov_b32_e32 v1, v3
	s_mov_b32 s1, s3
	s_mov_b64 s[6:7], 0
	s_waitcnt lgkmcnt(0)
	s_and_b32 s2, s0, 0xffff
	s_add_u32 s8, s8, s10
	s_addc_u32 s9, s9, s11
	s_lshl_b32 s0, s2, 2
	v_lshl_add_u64 v[2:3], s[8:9], 0, v[2:3]
	s_lshr_b32 s8, s20, 16
	s_movk_i32 s9, 0xff
.LBB0_24:                               ; =>This Inner Loop Header: Depth=1
	global_load_dword v6, v[2:3], off
	v_lshl_add_u64 v[0:1], v[0:1], 0, s[2:3]
	v_lshlrev_b64 v[4:5], 2, v[0:1]
	v_cmp_le_i64_e32 vcc, s[4:5], v[4:5]
	s_or_b64 s[6:7], vcc, s[6:7]
	s_waitcnt vmcnt(0)
	v_add_u16_e32 v4, s8, v6
	v_lshrrev_b32_e32 v5, 8, v6
	v_add_u16_sdwa v7, s8, v6 dst_sel:DWORD dst_unused:UNUSED_PAD src0_sel:DWORD src1_sel:WORD_1
	v_add_u16_sdwa v6, s8, v6 dst_sel:BYTE_1 dst_unused:UNUSED_PAD src0_sel:DWORD src1_sel:BYTE_3
	v_add_u16_sdwa v5, s8, v5 dst_sel:BYTE_1 dst_unused:UNUSED_PAD src0_sel:DWORD src1_sel:DWORD
	v_bitop3_b16 v6, v7, v6, s9 bitop3:0xec
	v_lshlrev_b32_e32 v6, 16, v6
	v_bitop3_b16 v4, v4, v5, s9 bitop3:0xec
	v_or_b32_sdwa v4, v4, v6 dst_sel:DWORD dst_unused:UNUSED_PAD src0_sel:WORD_0 src1_sel:DWORD
	global_store_dword v[2:3], v4, off
	v_lshl_add_u64 v[2:3], v[2:3], 0, s[0:1]
	s_andn2_b64 exec, exec, s[6:7]
	s_cbranch_execnz .LBB0_24
.LBB0_25:
	s_endpgm
	.section	.rodata,"a",@progbits
	.p2align	6, 0x0
	.amdhsa_kernel _ZN2at6native12_GLOBAL__N_125multi_tensor_apply_kernelINS1_18TensorListMetadataILi1EEENS1_21BinaryOpScalarFunctorIhLi1ELi1ELi0EEEJSt4plusIhEhEEEvT_T0_DpT1_
		.amdhsa_group_segment_fixed_size 0
		.amdhsa_private_segment_fixed_size 0
		.amdhsa_kernarg_size 3632
		.amdhsa_user_sgpr_count 2
		.amdhsa_user_sgpr_dispatch_ptr 0
		.amdhsa_user_sgpr_queue_ptr 0
		.amdhsa_user_sgpr_kernarg_segment_ptr 1
		.amdhsa_user_sgpr_dispatch_id 0
		.amdhsa_user_sgpr_kernarg_preload_length 0
		.amdhsa_user_sgpr_kernarg_preload_offset 0
		.amdhsa_user_sgpr_private_segment_size 0
		.amdhsa_uses_dynamic_stack 0
		.amdhsa_enable_private_segment 0
		.amdhsa_system_sgpr_workgroup_id_x 1
		.amdhsa_system_sgpr_workgroup_id_y 0
		.amdhsa_system_sgpr_workgroup_id_z 0
		.amdhsa_system_sgpr_workgroup_info 0
		.amdhsa_system_vgpr_workitem_id 0
		.amdhsa_next_free_vgpr 30
		.amdhsa_next_free_sgpr 23
		.amdhsa_accum_offset 32
		.amdhsa_reserve_vcc 1
		.amdhsa_float_round_mode_32 0
		.amdhsa_float_round_mode_16_64 0
		.amdhsa_float_denorm_mode_32 3
		.amdhsa_float_denorm_mode_16_64 3
		.amdhsa_dx10_clamp 1
		.amdhsa_ieee_mode 1
		.amdhsa_fp16_overflow 0
		.amdhsa_tg_split 0
		.amdhsa_exception_fp_ieee_invalid_op 0
		.amdhsa_exception_fp_denorm_src 0
		.amdhsa_exception_fp_ieee_div_zero 0
		.amdhsa_exception_fp_ieee_overflow 0
		.amdhsa_exception_fp_ieee_underflow 0
		.amdhsa_exception_fp_ieee_inexact 0
		.amdhsa_exception_int_div_zero 0
	.end_amdhsa_kernel
	.section	.text._ZN2at6native12_GLOBAL__N_125multi_tensor_apply_kernelINS1_18TensorListMetadataILi1EEENS1_21BinaryOpScalarFunctorIhLi1ELi1ELi0EEEJSt4plusIhEhEEEvT_T0_DpT1_,"axG",@progbits,_ZN2at6native12_GLOBAL__N_125multi_tensor_apply_kernelINS1_18TensorListMetadataILi1EEENS1_21BinaryOpScalarFunctorIhLi1ELi1ELi0EEEJSt4plusIhEhEEEvT_T0_DpT1_,comdat
.Lfunc_end0:
	.size	_ZN2at6native12_GLOBAL__N_125multi_tensor_apply_kernelINS1_18TensorListMetadataILi1EEENS1_21BinaryOpScalarFunctorIhLi1ELi1ELi0EEEJSt4plusIhEhEEEvT_T0_DpT1_, .Lfunc_end0-_ZN2at6native12_GLOBAL__N_125multi_tensor_apply_kernelINS1_18TensorListMetadataILi1EEENS1_21BinaryOpScalarFunctorIhLi1ELi1ELi0EEEJSt4plusIhEhEEEvT_T0_DpT1_
                                        ; -- End function
	.set _ZN2at6native12_GLOBAL__N_125multi_tensor_apply_kernelINS1_18TensorListMetadataILi1EEENS1_21BinaryOpScalarFunctorIhLi1ELi1ELi0EEEJSt4plusIhEhEEEvT_T0_DpT1_.num_vgpr, 30
	.set _ZN2at6native12_GLOBAL__N_125multi_tensor_apply_kernelINS1_18TensorListMetadataILi1EEENS1_21BinaryOpScalarFunctorIhLi1ELi1ELi0EEEJSt4plusIhEhEEEvT_T0_DpT1_.num_agpr, 0
	.set _ZN2at6native12_GLOBAL__N_125multi_tensor_apply_kernelINS1_18TensorListMetadataILi1EEENS1_21BinaryOpScalarFunctorIhLi1ELi1ELi0EEEJSt4plusIhEhEEEvT_T0_DpT1_.numbered_sgpr, 23
	.set _ZN2at6native12_GLOBAL__N_125multi_tensor_apply_kernelINS1_18TensorListMetadataILi1EEENS1_21BinaryOpScalarFunctorIhLi1ELi1ELi0EEEJSt4plusIhEhEEEvT_T0_DpT1_.num_named_barrier, 0
	.set _ZN2at6native12_GLOBAL__N_125multi_tensor_apply_kernelINS1_18TensorListMetadataILi1EEENS1_21BinaryOpScalarFunctorIhLi1ELi1ELi0EEEJSt4plusIhEhEEEvT_T0_DpT1_.private_seg_size, 0
	.set _ZN2at6native12_GLOBAL__N_125multi_tensor_apply_kernelINS1_18TensorListMetadataILi1EEENS1_21BinaryOpScalarFunctorIhLi1ELi1ELi0EEEJSt4plusIhEhEEEvT_T0_DpT1_.uses_vcc, 1
	.set _ZN2at6native12_GLOBAL__N_125multi_tensor_apply_kernelINS1_18TensorListMetadataILi1EEENS1_21BinaryOpScalarFunctorIhLi1ELi1ELi0EEEJSt4plusIhEhEEEvT_T0_DpT1_.uses_flat_scratch, 0
	.set _ZN2at6native12_GLOBAL__N_125multi_tensor_apply_kernelINS1_18TensorListMetadataILi1EEENS1_21BinaryOpScalarFunctorIhLi1ELi1ELi0EEEJSt4plusIhEhEEEvT_T0_DpT1_.has_dyn_sized_stack, 0
	.set _ZN2at6native12_GLOBAL__N_125multi_tensor_apply_kernelINS1_18TensorListMetadataILi1EEENS1_21BinaryOpScalarFunctorIhLi1ELi1ELi0EEEJSt4plusIhEhEEEvT_T0_DpT1_.has_recursion, 0
	.set _ZN2at6native12_GLOBAL__N_125multi_tensor_apply_kernelINS1_18TensorListMetadataILi1EEENS1_21BinaryOpScalarFunctorIhLi1ELi1ELi0EEEJSt4plusIhEhEEEvT_T0_DpT1_.has_indirect_call, 0
	.section	.AMDGPU.csdata,"",@progbits
; Kernel info:
; codeLenInByte = 968
; TotalNumSgprs: 29
; NumVgprs: 30
; NumAgprs: 0
; TotalNumVgprs: 30
; ScratchSize: 0
; MemoryBound: 0
; FloatMode: 240
; IeeeMode: 1
; LDSByteSize: 0 bytes/workgroup (compile time only)
; SGPRBlocks: 3
; VGPRBlocks: 3
; NumSGPRsForWavesPerEU: 29
; NumVGPRsForWavesPerEU: 30
; AccumOffset: 32
; Occupancy: 8
; WaveLimiterHint : 0
; COMPUTE_PGM_RSRC2:SCRATCH_EN: 0
; COMPUTE_PGM_RSRC2:USER_SGPR: 2
; COMPUTE_PGM_RSRC2:TRAP_HANDLER: 0
; COMPUTE_PGM_RSRC2:TGID_X_EN: 1
; COMPUTE_PGM_RSRC2:TGID_Y_EN: 0
; COMPUTE_PGM_RSRC2:TGID_Z_EN: 0
; COMPUTE_PGM_RSRC2:TIDIG_COMP_CNT: 0
; COMPUTE_PGM_RSRC3_GFX90A:ACCUM_OFFSET: 7
; COMPUTE_PGM_RSRC3_GFX90A:TG_SPLIT: 0
	.section	.text._ZN2at6native12_GLOBAL__N_125multi_tensor_apply_kernelINS1_18TensorListMetadataILi1EEENS1_21BinaryOpScalarFunctorIaLi1ELi1ELi0EEEJSt4plusIaEaEEEvT_T0_DpT1_,"axG",@progbits,_ZN2at6native12_GLOBAL__N_125multi_tensor_apply_kernelINS1_18TensorListMetadataILi1EEENS1_21BinaryOpScalarFunctorIaLi1ELi1ELi0EEEJSt4plusIaEaEEEvT_T0_DpT1_,comdat
	.globl	_ZN2at6native12_GLOBAL__N_125multi_tensor_apply_kernelINS1_18TensorListMetadataILi1EEENS1_21BinaryOpScalarFunctorIaLi1ELi1ELi0EEEJSt4plusIaEaEEEvT_T0_DpT1_ ; -- Begin function _ZN2at6native12_GLOBAL__N_125multi_tensor_apply_kernelINS1_18TensorListMetadataILi1EEENS1_21BinaryOpScalarFunctorIaLi1ELi1ELi0EEEJSt4plusIaEaEEEvT_T0_DpT1_
	.p2align	8
	.type	_ZN2at6native12_GLOBAL__N_125multi_tensor_apply_kernelINS1_18TensorListMetadataILi1EEENS1_21BinaryOpScalarFunctorIaLi1ELi1ELi0EEEJSt4plusIaEaEEEvT_T0_DpT1_,@function
_ZN2at6native12_GLOBAL__N_125multi_tensor_apply_kernelINS1_18TensorListMetadataILi1EEENS1_21BinaryOpScalarFunctorIaLi1ELi1ELi0EEEJSt4plusIaEaEEEvT_T0_DpT1_: ; @_ZN2at6native12_GLOBAL__N_125multi_tensor_apply_kernelINS1_18TensorListMetadataILi1EEENS1_21BinaryOpScalarFunctorIaLi1ELi1ELi0EEEJSt4plusIaEaEEEvT_T0_DpT1_
; %bb.0:
	v_mov_b32_e32 v1, s2
	global_load_ubyte v1, v1, s[0:1] offset:1760
	s_add_u32 s3, s0, s2
	s_mul_hi_u32 s4, s2, 3
	s_mul_i32 s2, s2, 3
	s_addc_u32 s5, s1, 0
	s_add_u32 s2, s3, s2
	s_addc_u32 s3, s5, s4
	s_load_dword s2, s[2:3], 0x820
	s_waitcnt vmcnt(0)
	v_readfirstlane_b32 s3, v1
	s_lshl_b32 s3, s3, 3
	s_load_dwordx2 s[4:5], s[0:1], s3 offset:0x370
	s_load_dword s20, s[0:1], 0xd28
	s_load_dwordx2 s[8:9], s[0:1], s3 offset:0x0
	s_waitcnt lgkmcnt(0)
	s_ashr_i32 s3, s2, 31
	s_lshl_b64 s[10:11], s[2:3], 16
	s_sub_u32 s12, s4, s10
	s_subb_u32 s13, s5, s11
	s_or_b32 s2, s4, s8
	s_and_b32 s2, s2, 3
	s_cmp_eq_u32 s2, 0
	s_cbranch_scc1 .LBB1_21
; %bb.1:
	v_cmp_lt_i64_e64 s[2:3], s[12:13], 1
	s_and_b64 vcc, exec, s[2:3]
	s_cbranch_vccnz .LBB1_20
; %bb.2:
	s_load_dword s2, s[0:1], 0xd3c
	v_mov_b64_e32 v[2:3], 0x10000
	v_cmp_lt_i64_e32 vcc, s[12:13], v[2:3]
	s_and_b64 s[4:5], vcc, exec
	s_cselect_b32 s5, s13, 0
	s_cselect_b32 s4, s12, 0x10000
	s_waitcnt lgkmcnt(0)
	s_and_b32 s2, s2, 0xffff
	v_cmp_lt_u64_e32 vcc, s[12:13], v[2:3]
	s_and_b64 s[6:7], vcc, exec
	s_cselect_b32 s15, s13, 0
	s_cselect_b32 s14, s12, 0x10000
	s_lshl_b32 s6, s2, 1
	s_mul_i32 s16, s2, 3
	s_lshl_b32 s21, s2, 2
	s_add_u32 s18, s10, s16
	s_addc_u32 s19, s11, 0
	s_mov_b32 s3, 0
	s_add_u32 s18, s8, s18
	v_mov_b32_e32 v1, 0
	s_mov_b32 s17, s3
	s_addc_u32 s19, s9, s19
	v_lshl_add_u64 v[6:7], s[16:17], 0, v[0:1]
	s_add_u32 s16, s10, s6
	s_addc_u32 s17, s11, 0
	s_add_u32 s16, s8, s16
	s_mov_b32 s7, s3
	s_addc_u32 s17, s9, s17
	v_lshl_add_u64 v[10:11], s[6:7], 0, v[0:1]
	s_add_u32 s6, s8, s2
	v_lshl_add_u64 v[12:13], s[10:11], 0, v[0:1]
	s_addc_u32 s7, s9, 0
	v_lshl_add_u64 v[2:3], s[8:9], 0, v[12:13]
	v_lshl_add_u64 v[4:5], s[18:19], 0, v[0:1]
	;; [unrolled: 1-line block ×5, first 2 shown]
	s_mov_b64 s[16:17], 0
	s_lshr_b32 s22, s20, 16
	v_mov_b64_e32 v[16:17], s[4:5]
	s_branch .LBB1_4
.LBB1_3:                                ;   in Loop: Header=BB1_4 Depth=1
	s_or_b64 exec, exec, s[2:3]
	s_add_u32 s16, s16, s21
	s_addc_u32 s17, s17, 0
	v_cmp_lt_i64_e32 vcc, s[16:17], v[16:17]
	s_cbranch_vccz .LBB1_20
.LBB1_4:                                ; =>This Inner Loop Header: Depth=1
	v_lshl_add_u64 v[18:19], v[0:1], 0, s[16:17]
	v_cmp_gt_u64_e32 vcc, s[14:15], v[18:19]
	v_lshl_add_u64 v[18:19], v[2:3], 0, s[16:17]
	s_waitcnt vmcnt(0)
	v_mov_b32_e32 v27, 0
	s_and_saveexec_b64 s[2:3], vcc
	s_cbranch_execz .LBB1_6
; %bb.5:                                ;   in Loop: Header=BB1_4 Depth=1
	global_load_ubyte v27, v[18:19], off
.LBB1_6:                                ;   in Loop: Header=BB1_4 Depth=1
	s_or_b64 exec, exec, s[2:3]
	v_lshl_add_u64 v[20:21], v[14:15], 0, s[16:17]
	v_cmp_gt_u64_e64 s[2:3], s[14:15], v[20:21]
	v_mov_b32_e32 v26, 0
	v_lshl_add_u64 v[20:21], v[12:13], 0, s[16:17]
	v_mov_b32_e32 v28, 0
	s_and_saveexec_b64 s[4:5], s[2:3]
	s_cbranch_execz .LBB1_8
; %bb.7:                                ;   in Loop: Header=BB1_4 Depth=1
	global_load_ubyte v28, v[20:21], off
.LBB1_8:                                ;   in Loop: Header=BB1_4 Depth=1
	s_or_b64 exec, exec, s[4:5]
	v_lshl_add_u64 v[22:23], v[10:11], 0, s[16:17]
	v_cmp_gt_u64_e64 s[4:5], s[14:15], v[22:23]
	v_lshl_add_u64 v[22:23], v[8:9], 0, s[16:17]
	s_and_saveexec_b64 s[6:7], s[4:5]
	s_cbranch_execz .LBB1_10
; %bb.9:                                ;   in Loop: Header=BB1_4 Depth=1
	global_load_ubyte v26, v[22:23], off
.LBB1_10:                               ;   in Loop: Header=BB1_4 Depth=1
	s_or_b64 exec, exec, s[6:7]
	v_lshl_add_u64 v[24:25], v[6:7], 0, s[16:17]
	v_cmp_gt_u64_e64 s[6:7], s[14:15], v[24:25]
	v_mov_b32_e32 v29, 0
	v_lshl_add_u64 v[24:25], v[4:5], 0, s[16:17]
	s_and_saveexec_b64 s[18:19], s[6:7]
	s_cbranch_execnz .LBB1_15
; %bb.11:                               ;   in Loop: Header=BB1_4 Depth=1
	s_or_b64 exec, exec, s[18:19]
	s_and_saveexec_b64 s[18:19], vcc
	s_cbranch_execnz .LBB1_16
.LBB1_12:                               ;   in Loop: Header=BB1_4 Depth=1
	s_or_b64 exec, exec, s[18:19]
	s_and_saveexec_b64 s[18:19], s[2:3]
	s_cbranch_execnz .LBB1_17
.LBB1_13:                               ;   in Loop: Header=BB1_4 Depth=1
	s_or_b64 exec, exec, s[18:19]
	s_and_saveexec_b64 s[2:3], s[4:5]
	s_cbranch_execnz .LBB1_18
.LBB1_14:                               ;   in Loop: Header=BB1_4 Depth=1
	s_or_b64 exec, exec, s[2:3]
	s_and_saveexec_b64 s[2:3], s[6:7]
	s_cbranch_execz .LBB1_3
	s_branch .LBB1_19
.LBB1_15:                               ;   in Loop: Header=BB1_4 Depth=1
	global_load_ubyte v29, v[24:25], off
	s_or_b64 exec, exec, s[18:19]
	s_and_saveexec_b64 s[18:19], vcc
	s_cbranch_execz .LBB1_12
.LBB1_16:                               ;   in Loop: Header=BB1_4 Depth=1
	s_waitcnt vmcnt(0)
	v_add_u16_e32 v27, s22, v27
	global_store_byte v[18:19], v27, off
	s_or_b64 exec, exec, s[18:19]
	s_and_saveexec_b64 s[18:19], s[2:3]
	s_cbranch_execz .LBB1_13
.LBB1_17:                               ;   in Loop: Header=BB1_4 Depth=1
	s_waitcnt vmcnt(0)
	v_add_u16_e32 v18, s22, v28
	global_store_byte v[20:21], v18, off
	s_or_b64 exec, exec, s[18:19]
	s_and_saveexec_b64 s[2:3], s[4:5]
	s_cbranch_execz .LBB1_14
.LBB1_18:                               ;   in Loop: Header=BB1_4 Depth=1
	s_waitcnt vmcnt(0)
	v_add_u16_e32 v18, s22, v26
	global_store_byte v[22:23], v18, off
	s_or_b64 exec, exec, s[2:3]
	s_and_saveexec_b64 s[2:3], s[6:7]
	s_cbranch_execz .LBB1_3
.LBB1_19:                               ;   in Loop: Header=BB1_4 Depth=1
	s_waitcnt vmcnt(0)
	v_add_u16_e32 v18, s22, v29
	global_store_byte v[24:25], v18, off
	s_branch .LBB1_3
.LBB1_20:
	s_cbranch_execz .LBB1_22
	s_branch .LBB1_25
.LBB1_21:
.LBB1_22:
	v_mov_b64_e32 v[4:5], 0x10000
	v_cmp_lt_i64_e32 vcc, s[12:13], v[4:5]
	s_and_b64 s[4:5], vcc, exec
	v_mov_b32_e32 v3, 0
	s_cselect_b32 s5, s13, 0
	s_cselect_b32 s4, s12, 0x10000
	v_lshlrev_b32_e32 v2, 2, v0
	s_mov_b32 s3, 0
	v_cmp_gt_i64_e32 vcc, s[4:5], v[2:3]
	s_and_saveexec_b64 s[6:7], vcc
	s_cbranch_execz .LBB1_25
; %bb.23:
	s_load_dword s0, s[0:1], 0xd3c
	v_mov_b32_e32 v1, v3
	s_mov_b32 s1, s3
	s_mov_b64 s[6:7], 0
	s_waitcnt lgkmcnt(0)
	s_and_b32 s2, s0, 0xffff
	s_add_u32 s8, s8, s10
	s_addc_u32 s9, s9, s11
	s_lshl_b32 s0, s2, 2
	v_lshl_add_u64 v[2:3], s[8:9], 0, v[2:3]
	s_lshr_b32 s8, s20, 16
	s_movk_i32 s9, 0xff
.LBB1_24:                               ; =>This Inner Loop Header: Depth=1
	global_load_dword v6, v[2:3], off
	v_lshl_add_u64 v[0:1], v[0:1], 0, s[2:3]
	v_lshlrev_b64 v[4:5], 2, v[0:1]
	v_cmp_le_i64_e32 vcc, s[4:5], v[4:5]
	s_or_b64 s[6:7], vcc, s[6:7]
	s_waitcnt vmcnt(0)
	v_add_u16_e32 v4, s8, v6
	v_lshrrev_b32_e32 v5, 8, v6
	v_add_u16_sdwa v7, s8, v6 dst_sel:DWORD dst_unused:UNUSED_PAD src0_sel:DWORD src1_sel:WORD_1
	v_add_u16_sdwa v6, s8, v6 dst_sel:BYTE_1 dst_unused:UNUSED_PAD src0_sel:DWORD src1_sel:BYTE_3
	v_add_u16_sdwa v5, s8, v5 dst_sel:BYTE_1 dst_unused:UNUSED_PAD src0_sel:DWORD src1_sel:DWORD
	v_bitop3_b16 v6, v7, v6, s9 bitop3:0xec
	v_lshlrev_b32_e32 v6, 16, v6
	v_bitop3_b16 v4, v4, v5, s9 bitop3:0xec
	v_or_b32_sdwa v4, v4, v6 dst_sel:DWORD dst_unused:UNUSED_PAD src0_sel:WORD_0 src1_sel:DWORD
	global_store_dword v[2:3], v4, off
	v_lshl_add_u64 v[2:3], v[2:3], 0, s[0:1]
	s_andn2_b64 exec, exec, s[6:7]
	s_cbranch_execnz .LBB1_24
.LBB1_25:
	s_endpgm
	.section	.rodata,"a",@progbits
	.p2align	6, 0x0
	.amdhsa_kernel _ZN2at6native12_GLOBAL__N_125multi_tensor_apply_kernelINS1_18TensorListMetadataILi1EEENS1_21BinaryOpScalarFunctorIaLi1ELi1ELi0EEEJSt4plusIaEaEEEvT_T0_DpT1_
		.amdhsa_group_segment_fixed_size 0
		.amdhsa_private_segment_fixed_size 0
		.amdhsa_kernarg_size 3632
		.amdhsa_user_sgpr_count 2
		.amdhsa_user_sgpr_dispatch_ptr 0
		.amdhsa_user_sgpr_queue_ptr 0
		.amdhsa_user_sgpr_kernarg_segment_ptr 1
		.amdhsa_user_sgpr_dispatch_id 0
		.amdhsa_user_sgpr_kernarg_preload_length 0
		.amdhsa_user_sgpr_kernarg_preload_offset 0
		.amdhsa_user_sgpr_private_segment_size 0
		.amdhsa_uses_dynamic_stack 0
		.amdhsa_enable_private_segment 0
		.amdhsa_system_sgpr_workgroup_id_x 1
		.amdhsa_system_sgpr_workgroup_id_y 0
		.amdhsa_system_sgpr_workgroup_id_z 0
		.amdhsa_system_sgpr_workgroup_info 0
		.amdhsa_system_vgpr_workitem_id 0
		.amdhsa_next_free_vgpr 30
		.amdhsa_next_free_sgpr 23
		.amdhsa_accum_offset 32
		.amdhsa_reserve_vcc 1
		.amdhsa_float_round_mode_32 0
		.amdhsa_float_round_mode_16_64 0
		.amdhsa_float_denorm_mode_32 3
		.amdhsa_float_denorm_mode_16_64 3
		.amdhsa_dx10_clamp 1
		.amdhsa_ieee_mode 1
		.amdhsa_fp16_overflow 0
		.amdhsa_tg_split 0
		.amdhsa_exception_fp_ieee_invalid_op 0
		.amdhsa_exception_fp_denorm_src 0
		.amdhsa_exception_fp_ieee_div_zero 0
		.amdhsa_exception_fp_ieee_overflow 0
		.amdhsa_exception_fp_ieee_underflow 0
		.amdhsa_exception_fp_ieee_inexact 0
		.amdhsa_exception_int_div_zero 0
	.end_amdhsa_kernel
	.section	.text._ZN2at6native12_GLOBAL__N_125multi_tensor_apply_kernelINS1_18TensorListMetadataILi1EEENS1_21BinaryOpScalarFunctorIaLi1ELi1ELi0EEEJSt4plusIaEaEEEvT_T0_DpT1_,"axG",@progbits,_ZN2at6native12_GLOBAL__N_125multi_tensor_apply_kernelINS1_18TensorListMetadataILi1EEENS1_21BinaryOpScalarFunctorIaLi1ELi1ELi0EEEJSt4plusIaEaEEEvT_T0_DpT1_,comdat
.Lfunc_end1:
	.size	_ZN2at6native12_GLOBAL__N_125multi_tensor_apply_kernelINS1_18TensorListMetadataILi1EEENS1_21BinaryOpScalarFunctorIaLi1ELi1ELi0EEEJSt4plusIaEaEEEvT_T0_DpT1_, .Lfunc_end1-_ZN2at6native12_GLOBAL__N_125multi_tensor_apply_kernelINS1_18TensorListMetadataILi1EEENS1_21BinaryOpScalarFunctorIaLi1ELi1ELi0EEEJSt4plusIaEaEEEvT_T0_DpT1_
                                        ; -- End function
	.set _ZN2at6native12_GLOBAL__N_125multi_tensor_apply_kernelINS1_18TensorListMetadataILi1EEENS1_21BinaryOpScalarFunctorIaLi1ELi1ELi0EEEJSt4plusIaEaEEEvT_T0_DpT1_.num_vgpr, 30
	.set _ZN2at6native12_GLOBAL__N_125multi_tensor_apply_kernelINS1_18TensorListMetadataILi1EEENS1_21BinaryOpScalarFunctorIaLi1ELi1ELi0EEEJSt4plusIaEaEEEvT_T0_DpT1_.num_agpr, 0
	.set _ZN2at6native12_GLOBAL__N_125multi_tensor_apply_kernelINS1_18TensorListMetadataILi1EEENS1_21BinaryOpScalarFunctorIaLi1ELi1ELi0EEEJSt4plusIaEaEEEvT_T0_DpT1_.numbered_sgpr, 23
	.set _ZN2at6native12_GLOBAL__N_125multi_tensor_apply_kernelINS1_18TensorListMetadataILi1EEENS1_21BinaryOpScalarFunctorIaLi1ELi1ELi0EEEJSt4plusIaEaEEEvT_T0_DpT1_.num_named_barrier, 0
	.set _ZN2at6native12_GLOBAL__N_125multi_tensor_apply_kernelINS1_18TensorListMetadataILi1EEENS1_21BinaryOpScalarFunctorIaLi1ELi1ELi0EEEJSt4plusIaEaEEEvT_T0_DpT1_.private_seg_size, 0
	.set _ZN2at6native12_GLOBAL__N_125multi_tensor_apply_kernelINS1_18TensorListMetadataILi1EEENS1_21BinaryOpScalarFunctorIaLi1ELi1ELi0EEEJSt4plusIaEaEEEvT_T0_DpT1_.uses_vcc, 1
	.set _ZN2at6native12_GLOBAL__N_125multi_tensor_apply_kernelINS1_18TensorListMetadataILi1EEENS1_21BinaryOpScalarFunctorIaLi1ELi1ELi0EEEJSt4plusIaEaEEEvT_T0_DpT1_.uses_flat_scratch, 0
	.set _ZN2at6native12_GLOBAL__N_125multi_tensor_apply_kernelINS1_18TensorListMetadataILi1EEENS1_21BinaryOpScalarFunctorIaLi1ELi1ELi0EEEJSt4plusIaEaEEEvT_T0_DpT1_.has_dyn_sized_stack, 0
	.set _ZN2at6native12_GLOBAL__N_125multi_tensor_apply_kernelINS1_18TensorListMetadataILi1EEENS1_21BinaryOpScalarFunctorIaLi1ELi1ELi0EEEJSt4plusIaEaEEEvT_T0_DpT1_.has_recursion, 0
	.set _ZN2at6native12_GLOBAL__N_125multi_tensor_apply_kernelINS1_18TensorListMetadataILi1EEENS1_21BinaryOpScalarFunctorIaLi1ELi1ELi0EEEJSt4plusIaEaEEEvT_T0_DpT1_.has_indirect_call, 0
	.section	.AMDGPU.csdata,"",@progbits
; Kernel info:
; codeLenInByte = 968
; TotalNumSgprs: 29
; NumVgprs: 30
; NumAgprs: 0
; TotalNumVgprs: 30
; ScratchSize: 0
; MemoryBound: 0
; FloatMode: 240
; IeeeMode: 1
; LDSByteSize: 0 bytes/workgroup (compile time only)
; SGPRBlocks: 3
; VGPRBlocks: 3
; NumSGPRsForWavesPerEU: 29
; NumVGPRsForWavesPerEU: 30
; AccumOffset: 32
; Occupancy: 8
; WaveLimiterHint : 0
; COMPUTE_PGM_RSRC2:SCRATCH_EN: 0
; COMPUTE_PGM_RSRC2:USER_SGPR: 2
; COMPUTE_PGM_RSRC2:TRAP_HANDLER: 0
; COMPUTE_PGM_RSRC2:TGID_X_EN: 1
; COMPUTE_PGM_RSRC2:TGID_Y_EN: 0
; COMPUTE_PGM_RSRC2:TGID_Z_EN: 0
; COMPUTE_PGM_RSRC2:TIDIG_COMP_CNT: 0
; COMPUTE_PGM_RSRC3_GFX90A:ACCUM_OFFSET: 7
; COMPUTE_PGM_RSRC3_GFX90A:TG_SPLIT: 0
	.section	.text._ZN2at6native12_GLOBAL__N_125multi_tensor_apply_kernelINS1_18TensorListMetadataILi1EEENS1_21BinaryOpScalarFunctorIiLi1ELi1ELi0EEEJSt4plusIiEiEEEvT_T0_DpT1_,"axG",@progbits,_ZN2at6native12_GLOBAL__N_125multi_tensor_apply_kernelINS1_18TensorListMetadataILi1EEENS1_21BinaryOpScalarFunctorIiLi1ELi1ELi0EEEJSt4plusIiEiEEEvT_T0_DpT1_,comdat
	.globl	_ZN2at6native12_GLOBAL__N_125multi_tensor_apply_kernelINS1_18TensorListMetadataILi1EEENS1_21BinaryOpScalarFunctorIiLi1ELi1ELi0EEEJSt4plusIiEiEEEvT_T0_DpT1_ ; -- Begin function _ZN2at6native12_GLOBAL__N_125multi_tensor_apply_kernelINS1_18TensorListMetadataILi1EEENS1_21BinaryOpScalarFunctorIiLi1ELi1ELi0EEEJSt4plusIiEiEEEvT_T0_DpT1_
	.p2align	8
	.type	_ZN2at6native12_GLOBAL__N_125multi_tensor_apply_kernelINS1_18TensorListMetadataILi1EEENS1_21BinaryOpScalarFunctorIiLi1ELi1ELi0EEEJSt4plusIiEiEEEvT_T0_DpT1_,@function
_ZN2at6native12_GLOBAL__N_125multi_tensor_apply_kernelINS1_18TensorListMetadataILi1EEENS1_21BinaryOpScalarFunctorIiLi1ELi1ELi0EEEJSt4plusIiEiEEEvT_T0_DpT1_: ; @_ZN2at6native12_GLOBAL__N_125multi_tensor_apply_kernelINS1_18TensorListMetadataILi1EEENS1_21BinaryOpScalarFunctorIiLi1ELi1ELi0EEEJSt4plusIiEiEEEvT_T0_DpT1_
; %bb.0:
	v_mov_b32_e32 v1, s2
	global_load_ubyte v1, v1, s[0:1] offset:1760
	s_add_u32 s3, s0, s2
	s_mul_hi_u32 s4, s2, 3
	s_mul_i32 s2, s2, 3
	s_addc_u32 s5, s1, 0
	s_add_u32 s2, s3, s2
	s_addc_u32 s3, s5, s4
	s_load_dword s2, s[2:3], 0x820
	s_mov_b32 s7, 0
	s_waitcnt vmcnt(0)
	v_readfirstlane_b32 s3, v1
	s_lshl_b32 s3, s3, 3
	s_load_dword s10, s[0:1], 0xd2c
	s_load_dwordx2 s[4:5], s[0:1], s3 offset:0x370
	s_load_dwordx2 s[8:9], s[0:1], s3 offset:0x0
	s_waitcnt lgkmcnt(0)
	s_ashr_i32 s3, s2, 31
	s_lshl_b64 s[12:13], s[2:3], 18
	s_lshl_b64 s[2:3], s[2:3], 16
	s_and_b32 s6, s8, 15
	s_sub_u32 s14, s4, s2
	s_subb_u32 s15, s5, s3
	s_and_b32 s2, s4, 3
	s_mov_b32 s3, s7
	s_or_b64 s[2:3], s[6:7], s[2:3]
	s_cmp_eq_u64 s[2:3], 0
	s_cbranch_scc1 .LBB2_21
; %bb.1:
	v_cmp_lt_i64_e64 s[2:3], s[14:15], 1
	s_and_b64 vcc, exec, s[2:3]
	s_cbranch_vccnz .LBB2_20
; %bb.2:
	s_load_dword s2, s[0:1], 0xd3c
	v_mov_b64_e32 v[2:3], 0x10000
	v_cmp_lt_i64_e32 vcc, s[14:15], v[2:3]
	s_and_b64 s[4:5], vcc, exec
	s_cselect_b32 s5, s15, 0
	s_cselect_b32 s4, s14, 0x10000
	s_waitcnt lgkmcnt(0)
	s_and_b32 s2, s2, 0xffff
	v_cmp_lt_u64_e32 vcc, s[14:15], v[2:3]
	s_and_b64 s[6:7], vcc, exec
	s_mov_b32 s3, 0
	v_mov_b32_e32 v1, 0
	s_cselect_b32 s17, s15, 0
	s_cselect_b32 s16, s14, 0x10000
	s_lshl_b32 s6, s2, 1
	s_lshl_b32 s11, s2, 2
	s_add_u32 s24, s8, s12
	v_lshl_add_u64 v[8:9], v[0:1], 0, s[2:3]
	s_mov_b32 s7, s3
	s_mul_i32 s22, s2, 3
	s_mov_b32 s23, s3
	v_lshlrev_b32_e32 v2, 2, v0
	v_mov_b32_e32 v3, v1
	s_addc_u32 s25, s9, s13
	v_lshlrev_b32_e32 v10, 2, v8
	v_mov_b32_e32 v11, v1
	v_lshl_add_u64 v[2:3], s[24:25], 0, v[2:3]
	s_lshl_b32 s18, s2, 4
	s_mov_b32 s19, s3
	s_mul_i32 s20, s2, 12
	s_mov_b32 s21, s3
	v_lshl_add_u64 v[4:5], s[22:23], 0, v[0:1]
	s_lshl_b32 s22, s2, 3
	v_lshl_add_u64 v[6:7], s[6:7], 0, v[0:1]
	v_lshl_add_u64 v[10:11], s[24:25], 0, v[10:11]
	s_mov_b64 s[24:25], 0
	v_mov_b64_e32 v[12:13], s[4:5]
	s_branch .LBB2_4
.LBB2_3:                                ;   in Loop: Header=BB2_4 Depth=1
	s_or_b64 exec, exec, s[2:3]
	s_add_u32 s24, s24, s11
	s_addc_u32 s25, s25, 0
	v_cmp_lt_i64_e32 vcc, s[24:25], v[12:13]
	v_lshl_add_u64 v[2:3], v[2:3], 0, s[18:19]
	v_lshl_add_u64 v[10:11], v[10:11], 0, s[18:19]
	s_cbranch_vccz .LBB2_20
.LBB2_4:                                ; =>This Inner Loop Header: Depth=1
	v_lshl_add_u64 v[14:15], v[0:1], 0, s[24:25]
	v_cmp_gt_u64_e32 vcc, s[16:17], v[14:15]
	s_waitcnt vmcnt(0)
	v_mov_b32_e32 v19, 0
	s_and_saveexec_b64 s[2:3], vcc
	s_cbranch_execz .LBB2_6
; %bb.5:                                ;   in Loop: Header=BB2_4 Depth=1
	global_load_dword v19, v[2:3], off
.LBB2_6:                                ;   in Loop: Header=BB2_4 Depth=1
	s_or_b64 exec, exec, s[2:3]
	v_lshl_add_u64 v[14:15], v[8:9], 0, s[24:25]
	v_cmp_gt_u64_e64 s[2:3], s[16:17], v[14:15]
	v_mov_b32_e32 v18, 0
	v_mov_b32_e32 v20, 0
	s_and_saveexec_b64 s[4:5], s[2:3]
	s_cbranch_execz .LBB2_8
; %bb.7:                                ;   in Loop: Header=BB2_4 Depth=1
	global_load_dword v20, v[10:11], off
.LBB2_8:                                ;   in Loop: Header=BB2_4 Depth=1
	s_or_b64 exec, exec, s[4:5]
	v_lshl_add_u64 v[14:15], v[6:7], 0, s[24:25]
	v_cmp_gt_u64_e64 s[4:5], s[16:17], v[14:15]
	v_lshl_add_u64 v[14:15], v[2:3], 0, s[22:23]
	s_and_saveexec_b64 s[6:7], s[4:5]
	s_cbranch_execz .LBB2_10
; %bb.9:                                ;   in Loop: Header=BB2_4 Depth=1
	global_load_dword v18, v[14:15], off
.LBB2_10:                               ;   in Loop: Header=BB2_4 Depth=1
	s_or_b64 exec, exec, s[6:7]
	v_lshl_add_u64 v[16:17], v[4:5], 0, s[24:25]
	v_cmp_gt_u64_e64 s[6:7], s[16:17], v[16:17]
	v_mov_b32_e32 v21, 0
	v_lshl_add_u64 v[16:17], v[2:3], 0, s[20:21]
	s_and_saveexec_b64 s[26:27], s[6:7]
	s_cbranch_execnz .LBB2_15
; %bb.11:                               ;   in Loop: Header=BB2_4 Depth=1
	s_or_b64 exec, exec, s[26:27]
	s_and_saveexec_b64 s[26:27], vcc
	s_cbranch_execnz .LBB2_16
.LBB2_12:                               ;   in Loop: Header=BB2_4 Depth=1
	s_or_b64 exec, exec, s[26:27]
	s_and_saveexec_b64 s[26:27], s[2:3]
	s_cbranch_execnz .LBB2_17
.LBB2_13:                               ;   in Loop: Header=BB2_4 Depth=1
	s_or_b64 exec, exec, s[26:27]
	s_and_saveexec_b64 s[2:3], s[4:5]
	s_cbranch_execnz .LBB2_18
.LBB2_14:                               ;   in Loop: Header=BB2_4 Depth=1
	s_or_b64 exec, exec, s[2:3]
	s_and_saveexec_b64 s[2:3], s[6:7]
	s_cbranch_execz .LBB2_3
	s_branch .LBB2_19
.LBB2_15:                               ;   in Loop: Header=BB2_4 Depth=1
	global_load_dword v21, v[16:17], off
	s_or_b64 exec, exec, s[26:27]
	s_and_saveexec_b64 s[26:27], vcc
	s_cbranch_execz .LBB2_12
.LBB2_16:                               ;   in Loop: Header=BB2_4 Depth=1
	s_waitcnt vmcnt(0)
	v_add_u32_e32 v19, s10, v19
	global_store_dword v[2:3], v19, off
	s_or_b64 exec, exec, s[26:27]
	s_and_saveexec_b64 s[26:27], s[2:3]
	s_cbranch_execz .LBB2_13
.LBB2_17:                               ;   in Loop: Header=BB2_4 Depth=1
	s_waitcnt vmcnt(0)
	v_add_u32_e32 v19, s10, v20
	global_store_dword v[10:11], v19, off
	s_or_b64 exec, exec, s[26:27]
	s_and_saveexec_b64 s[2:3], s[4:5]
	s_cbranch_execz .LBB2_14
.LBB2_18:                               ;   in Loop: Header=BB2_4 Depth=1
	s_waitcnt vmcnt(0)
	v_add_u32_e32 v18, s10, v18
	global_store_dword v[14:15], v18, off
	s_or_b64 exec, exec, s[2:3]
	s_and_saveexec_b64 s[2:3], s[6:7]
	s_cbranch_execz .LBB2_3
.LBB2_19:                               ;   in Loop: Header=BB2_4 Depth=1
	s_waitcnt vmcnt(0)
	v_add_u32_e32 v14, s10, v21
	global_store_dword v[16:17], v14, off
	s_branch .LBB2_3
.LBB2_20:
	s_cbranch_execz .LBB2_22
	s_branch .LBB2_32
.LBB2_21:
.LBB2_22:
	v_mov_b64_e32 v[4:5], 0x10000
	v_cmp_lt_i64_e32 vcc, s[14:15], v[4:5]
	s_and_b64 s[2:3], vcc, exec
	v_mov_b32_e32 v3, 0
	s_cselect_b32 s3, s15, 0
	s_cselect_b32 s2, s14, 0x10000
	v_lshlrev_b32_e32 v2, 2, v0
	s_mov_b32 s4, 0
	v_cmp_gt_i64_e32 vcc, s[2:3], v[2:3]
	s_and_saveexec_b64 s[6:7], vcc
	s_cbranch_execz .LBB2_32
; %bb.23:
	v_add_u32_e32 v4, 4, v2
	v_mov_b32_e32 v5, v3
	v_mov_b32_e32 v6, s3
	v_cmp_gt_i64_e32 vcc, s[2:3], v[4:5]
	s_load_dword s0, s[0:1], 0xd3c
	v_mov_b32_e32 v1, v3
	v_cndmask_b32_e32 v5, 0, v6, vcc
	v_mov_b32_e32 v6, s2
	v_cndmask_b32_e32 v4, v4, v6, vcc
	v_lshl_add_u64 v[4:5], v[4:5], 0, -4
	v_cmp_ne_u64_e32 vcc, v[4:5], v[2:3]
	s_waitcnt lgkmcnt(0)
	s_and_b32 s0, s0, 0xffff
	v_mov_b32_e32 v7, s4
	v_cndmask_b32_e64 v6, 0, 1, vcc
	v_or_b32_e32 v2, v2, v6
	v_sub_co_u32_e32 v2, vcc, v4, v2
	s_cmp_lg_u32 s0, 1
	s_nop 0
	v_subbrev_co_u32_e32 v3, vcc, 0, v5, vcc
	v_lshrrev_b64 v[2:3], 2, v[2:3]
	v_lshl_add_u64 v[4:5], v[2:3], 0, v[6:7]
	v_cmp_eq_u64_e32 vcc, 0, v[4:5]
	s_cselect_b64 s[6:7], -1, 0
	s_mov_b64 s[4:5], 0
	s_or_b64 s[6:7], vcc, s[6:7]
	s_and_saveexec_b64 s[14:15], s[6:7]
	s_xor_b64 s[6:7], exec, s[14:15]
	s_cbranch_execnz .LBB2_26
; %bb.24:
	s_or_saveexec_b64 s[6:7], s[6:7]
	v_mov_b64_e32 v[2:3], s[10:11]
	s_xor_b64 exec, exec, s[6:7]
	s_cbranch_execnz .LBB2_27
.LBB2_25:
	s_or_b64 exec, exec, s[6:7]
	s_and_b64 exec, exec, s[4:5]
	s_cbranch_execnz .LBB2_30
	s_branch .LBB2_32
.LBB2_26:
	s_mov_b64 s[4:5], exec
                                        ; implicit-def: $vgpr4_vgpr5
	s_or_saveexec_b64 s[6:7], s[6:7]
	v_mov_b64_e32 v[2:3], s[10:11]
	s_xor_b64 exec, exec, s[6:7]
	s_cbranch_execz .LBB2_25
.LBB2_27:
	s_add_u32 s14, s8, s12
	v_lshl_add_u64 v[2:3], v[4:5], 0, 1
	v_lshlrev_b32_e32 v6, 4, v0
	v_mov_b32_e32 v7, 0
	s_addc_u32 s15, s9, s13
	v_and_b32_e32 v4, -2, v2
	v_mov_b32_e32 v5, v3
	v_lshl_add_u64 v[6:7], s[14:15], 0, v[6:7]
	s_mov_b32 s1, s10
	v_lshl_add_u64 v[6:7], v[6:7], 0, 28
	s_mov_b64 s[14:15], 0
	v_mov_b64_e32 v[8:9], v[4:5]
.LBB2_28:                               ; =>This Inner Loop Header: Depth=1
	global_load_dwordx4 v[10:13], v[6:7], off offset:-12
	global_load_dwordx4 v[14:17], v[6:7], off offset:-28
	v_lshl_add_u64 v[8:9], v[8:9], 0, -2
	v_cmp_eq_u64_e32 vcc, 0, v[8:9]
	s_or_b64 s[14:15], vcc, s[14:15]
	s_waitcnt vmcnt(1)
	v_add_u32_e32 v10, s1, v10
	s_waitcnt vmcnt(0)
	v_add_u32_e32 v14, s10, v14
	v_add_u32_e32 v15, s10, v15
	;; [unrolled: 1-line block ×7, first 2 shown]
	global_store_dwordx4 v[6:7], v[14:17], off offset:-28
	global_store_dwordx4 v[6:7], v[10:13], off offset:-12
	v_lshl_add_u64 v[6:7], v[6:7], 0, 32
	s_andn2_b64 exec, exec, s[14:15]
	s_cbranch_execnz .LBB2_28
; %bb.29:
	s_or_b64 exec, exec, s[14:15]
	v_cmp_ne_u64_e32 vcc, v[2:3], v[4:5]
	s_andn2_b64 s[4:5], s[4:5], exec
	s_and_b64 s[14:15], vcc, exec
	v_lshl_add_u64 v[0:1], v[4:5], 0, v[0:1]
	v_mov_b64_e32 v[2:3], s[10:11]
	s_or_b64 s[4:5], s[4:5], s[14:15]
	s_or_b64 exec, exec, s[6:7]
	s_and_b64 exec, exec, s[4:5]
	s_cbranch_execz .LBB2_32
.LBB2_30:
	s_add_u32 s4, s8, s12
	s_addc_u32 s5, s9, s13
	s_mov_b32 s1, 0
	v_lshl_add_u64 v[4:5], v[0:1], 4, s[4:5]
	v_mov_b32_e32 v3, s10
	v_lshl_add_u64 v[4:5], v[4:5], 0, 8
	s_lshl_b32 s4, s0, 4
	s_mov_b32 s5, s1
	s_mov_b64 s[6:7], 0
.LBB2_31:                               ; =>This Inner Loop Header: Depth=1
	global_load_dwordx4 v[6:9], v[4:5], off offset:-8
	v_lshl_add_u64 v[0:1], v[0:1], 0, s[0:1]
	v_lshlrev_b64 v[10:11], 2, v[0:1]
	v_cmp_le_i64_e32 vcc, s[2:3], v[10:11]
	s_or_b64 s[6:7], vcc, s[6:7]
	s_waitcnt vmcnt(0)
	v_add_u32_e32 v7, v7, v3
	v_add_u32_e32 v6, v6, v2
	;; [unrolled: 1-line block ×4, first 2 shown]
	global_store_dwordx4 v[4:5], v[6:9], off offset:-8
	v_lshl_add_u64 v[4:5], v[4:5], 0, s[4:5]
	s_andn2_b64 exec, exec, s[6:7]
	s_cbranch_execnz .LBB2_31
.LBB2_32:
	s_endpgm
	.section	.rodata,"a",@progbits
	.p2align	6, 0x0
	.amdhsa_kernel _ZN2at6native12_GLOBAL__N_125multi_tensor_apply_kernelINS1_18TensorListMetadataILi1EEENS1_21BinaryOpScalarFunctorIiLi1ELi1ELi0EEEJSt4plusIiEiEEEvT_T0_DpT1_
		.amdhsa_group_segment_fixed_size 0
		.amdhsa_private_segment_fixed_size 0
		.amdhsa_kernarg_size 3632
		.amdhsa_user_sgpr_count 2
		.amdhsa_user_sgpr_dispatch_ptr 0
		.amdhsa_user_sgpr_queue_ptr 0
		.amdhsa_user_sgpr_kernarg_segment_ptr 1
		.amdhsa_user_sgpr_dispatch_id 0
		.amdhsa_user_sgpr_kernarg_preload_length 0
		.amdhsa_user_sgpr_kernarg_preload_offset 0
		.amdhsa_user_sgpr_private_segment_size 0
		.amdhsa_uses_dynamic_stack 0
		.amdhsa_enable_private_segment 0
		.amdhsa_system_sgpr_workgroup_id_x 1
		.amdhsa_system_sgpr_workgroup_id_y 0
		.amdhsa_system_sgpr_workgroup_id_z 0
		.amdhsa_system_sgpr_workgroup_info 0
		.amdhsa_system_vgpr_workitem_id 0
		.amdhsa_next_free_vgpr 22
		.amdhsa_next_free_sgpr 28
		.amdhsa_accum_offset 24
		.amdhsa_reserve_vcc 1
		.amdhsa_float_round_mode_32 0
		.amdhsa_float_round_mode_16_64 0
		.amdhsa_float_denorm_mode_32 3
		.amdhsa_float_denorm_mode_16_64 3
		.amdhsa_dx10_clamp 1
		.amdhsa_ieee_mode 1
		.amdhsa_fp16_overflow 0
		.amdhsa_tg_split 0
		.amdhsa_exception_fp_ieee_invalid_op 0
		.amdhsa_exception_fp_denorm_src 0
		.amdhsa_exception_fp_ieee_div_zero 0
		.amdhsa_exception_fp_ieee_overflow 0
		.amdhsa_exception_fp_ieee_underflow 0
		.amdhsa_exception_fp_ieee_inexact 0
		.amdhsa_exception_int_div_zero 0
	.end_amdhsa_kernel
	.section	.text._ZN2at6native12_GLOBAL__N_125multi_tensor_apply_kernelINS1_18TensorListMetadataILi1EEENS1_21BinaryOpScalarFunctorIiLi1ELi1ELi0EEEJSt4plusIiEiEEEvT_T0_DpT1_,"axG",@progbits,_ZN2at6native12_GLOBAL__N_125multi_tensor_apply_kernelINS1_18TensorListMetadataILi1EEENS1_21BinaryOpScalarFunctorIiLi1ELi1ELi0EEEJSt4plusIiEiEEEvT_T0_DpT1_,comdat
.Lfunc_end2:
	.size	_ZN2at6native12_GLOBAL__N_125multi_tensor_apply_kernelINS1_18TensorListMetadataILi1EEENS1_21BinaryOpScalarFunctorIiLi1ELi1ELi0EEEJSt4plusIiEiEEEvT_T0_DpT1_, .Lfunc_end2-_ZN2at6native12_GLOBAL__N_125multi_tensor_apply_kernelINS1_18TensorListMetadataILi1EEENS1_21BinaryOpScalarFunctorIiLi1ELi1ELi0EEEJSt4plusIiEiEEEvT_T0_DpT1_
                                        ; -- End function
	.set _ZN2at6native12_GLOBAL__N_125multi_tensor_apply_kernelINS1_18TensorListMetadataILi1EEENS1_21BinaryOpScalarFunctorIiLi1ELi1ELi0EEEJSt4plusIiEiEEEvT_T0_DpT1_.num_vgpr, 22
	.set _ZN2at6native12_GLOBAL__N_125multi_tensor_apply_kernelINS1_18TensorListMetadataILi1EEENS1_21BinaryOpScalarFunctorIiLi1ELi1ELi0EEEJSt4plusIiEiEEEvT_T0_DpT1_.num_agpr, 0
	.set _ZN2at6native12_GLOBAL__N_125multi_tensor_apply_kernelINS1_18TensorListMetadataILi1EEENS1_21BinaryOpScalarFunctorIiLi1ELi1ELi0EEEJSt4plusIiEiEEEvT_T0_DpT1_.numbered_sgpr, 28
	.set _ZN2at6native12_GLOBAL__N_125multi_tensor_apply_kernelINS1_18TensorListMetadataILi1EEENS1_21BinaryOpScalarFunctorIiLi1ELi1ELi0EEEJSt4plusIiEiEEEvT_T0_DpT1_.num_named_barrier, 0
	.set _ZN2at6native12_GLOBAL__N_125multi_tensor_apply_kernelINS1_18TensorListMetadataILi1EEENS1_21BinaryOpScalarFunctorIiLi1ELi1ELi0EEEJSt4plusIiEiEEEvT_T0_DpT1_.private_seg_size, 0
	.set _ZN2at6native12_GLOBAL__N_125multi_tensor_apply_kernelINS1_18TensorListMetadataILi1EEENS1_21BinaryOpScalarFunctorIiLi1ELi1ELi0EEEJSt4plusIiEiEEEvT_T0_DpT1_.uses_vcc, 1
	.set _ZN2at6native12_GLOBAL__N_125multi_tensor_apply_kernelINS1_18TensorListMetadataILi1EEENS1_21BinaryOpScalarFunctorIiLi1ELi1ELi0EEEJSt4plusIiEiEEEvT_T0_DpT1_.uses_flat_scratch, 0
	.set _ZN2at6native12_GLOBAL__N_125multi_tensor_apply_kernelINS1_18TensorListMetadataILi1EEENS1_21BinaryOpScalarFunctorIiLi1ELi1ELi0EEEJSt4plusIiEiEEEvT_T0_DpT1_.has_dyn_sized_stack, 0
	.set _ZN2at6native12_GLOBAL__N_125multi_tensor_apply_kernelINS1_18TensorListMetadataILi1EEENS1_21BinaryOpScalarFunctorIiLi1ELi1ELi0EEEJSt4plusIiEiEEEvT_T0_DpT1_.has_recursion, 0
	.set _ZN2at6native12_GLOBAL__N_125multi_tensor_apply_kernelINS1_18TensorListMetadataILi1EEENS1_21BinaryOpScalarFunctorIiLi1ELi1ELi0EEEJSt4plusIiEiEEEvT_T0_DpT1_.has_indirect_call, 0
	.section	.AMDGPU.csdata,"",@progbits
; Kernel info:
; codeLenInByte = 1300
; TotalNumSgprs: 34
; NumVgprs: 22
; NumAgprs: 0
; TotalNumVgprs: 22
; ScratchSize: 0
; MemoryBound: 0
; FloatMode: 240
; IeeeMode: 1
; LDSByteSize: 0 bytes/workgroup (compile time only)
; SGPRBlocks: 4
; VGPRBlocks: 2
; NumSGPRsForWavesPerEU: 34
; NumVGPRsForWavesPerEU: 22
; AccumOffset: 24
; Occupancy: 8
; WaveLimiterHint : 0
; COMPUTE_PGM_RSRC2:SCRATCH_EN: 0
; COMPUTE_PGM_RSRC2:USER_SGPR: 2
; COMPUTE_PGM_RSRC2:TRAP_HANDLER: 0
; COMPUTE_PGM_RSRC2:TGID_X_EN: 1
; COMPUTE_PGM_RSRC2:TGID_Y_EN: 0
; COMPUTE_PGM_RSRC2:TGID_Z_EN: 0
; COMPUTE_PGM_RSRC2:TIDIG_COMP_CNT: 0
; COMPUTE_PGM_RSRC3_GFX90A:ACCUM_OFFSET: 5
; COMPUTE_PGM_RSRC3_GFX90A:TG_SPLIT: 0
	.section	.text._ZN2at6native12_GLOBAL__N_125multi_tensor_apply_kernelINS1_18TensorListMetadataILi1EEENS1_21BinaryOpScalarFunctorIlLi1ELi1ELi0EEEJSt4plusIlElEEEvT_T0_DpT1_,"axG",@progbits,_ZN2at6native12_GLOBAL__N_125multi_tensor_apply_kernelINS1_18TensorListMetadataILi1EEENS1_21BinaryOpScalarFunctorIlLi1ELi1ELi0EEEJSt4plusIlElEEEvT_T0_DpT1_,comdat
	.globl	_ZN2at6native12_GLOBAL__N_125multi_tensor_apply_kernelINS1_18TensorListMetadataILi1EEENS1_21BinaryOpScalarFunctorIlLi1ELi1ELi0EEEJSt4plusIlElEEEvT_T0_DpT1_ ; -- Begin function _ZN2at6native12_GLOBAL__N_125multi_tensor_apply_kernelINS1_18TensorListMetadataILi1EEENS1_21BinaryOpScalarFunctorIlLi1ELi1ELi0EEEJSt4plusIlElEEEvT_T0_DpT1_
	.p2align	8
	.type	_ZN2at6native12_GLOBAL__N_125multi_tensor_apply_kernelINS1_18TensorListMetadataILi1EEENS1_21BinaryOpScalarFunctorIlLi1ELi1ELi0EEEJSt4plusIlElEEEvT_T0_DpT1_,@function
_ZN2at6native12_GLOBAL__N_125multi_tensor_apply_kernelINS1_18TensorListMetadataILi1EEENS1_21BinaryOpScalarFunctorIlLi1ELi1ELi0EEEJSt4plusIlElEEEvT_T0_DpT1_: ; @_ZN2at6native12_GLOBAL__N_125multi_tensor_apply_kernelINS1_18TensorListMetadataILi1EEENS1_21BinaryOpScalarFunctorIlLi1ELi1ELi0EEEJSt4plusIlElEEEvT_T0_DpT1_
; %bb.0:
	v_mov_b32_e32 v1, s2
	global_load_ubyte v1, v1, s[0:1] offset:1760
	s_add_u32 s3, s0, s2
	s_mul_hi_u32 s4, s2, 3
	s_mul_i32 s2, s2, 3
	s_addc_u32 s5, s1, 0
	s_add_u32 s2, s3, s2
	s_addc_u32 s3, s5, s4
	s_load_dword s2, s[2:3], 0x820
	s_mov_b32 s7, 0
	s_waitcnt vmcnt(0)
	v_readfirstlane_b32 s3, v1
	s_lshl_b32 s3, s3, 3
	s_load_dwordx2 s[8:9], s[0:1], 0xd30
	s_load_dwordx2 s[4:5], s[0:1], s3 offset:0x370
	s_load_dwordx2 s[10:11], s[0:1], s3 offset:0x0
	s_waitcnt lgkmcnt(0)
	s_ashr_i32 s3, s2, 31
	s_lshl_b64 s[12:13], s[2:3], 19
	s_lshl_b64 s[2:3], s[2:3], 16
	s_and_b32 s6, s10, 31
	s_sub_u32 s14, s4, s2
	s_subb_u32 s15, s5, s3
	s_and_b32 s2, s4, 3
	s_mov_b32 s3, s7
	s_or_b64 s[2:3], s[6:7], s[2:3]
	s_cmp_eq_u64 s[2:3], 0
	s_cbranch_scc1 .LBB3_21
; %bb.1:
	v_cmp_lt_i64_e64 s[2:3], s[14:15], 1
	s_and_b64 vcc, exec, s[2:3]
	s_cbranch_vccnz .LBB3_20
; %bb.2:
	s_load_dword s2, s[0:1], 0xd44
	v_mov_b64_e32 v[2:3], 0x10000
	v_cmp_lt_i64_e32 vcc, s[14:15], v[2:3]
	s_and_b64 s[4:5], vcc, exec
	s_cselect_b32 s5, s15, 0
	s_cselect_b32 s4, s14, 0x10000
	s_waitcnt lgkmcnt(0)
	s_and_b32 s2, s2, 0xffff
	v_cmp_lt_u64_e32 vcc, s[14:15], v[2:3]
	s_and_b64 s[6:7], vcc, exec
	s_mov_b32 s3, 0
	v_mov_b32_e32 v1, 0
	s_cselect_b32 s17, s15, 0
	s_cselect_b32 s16, s14, 0x10000
	s_lshl_b32 s6, s2, 1
	s_lshl_b32 s28, s2, 2
	s_add_u32 s24, s10, s12
	v_lshl_add_u64 v[8:9], v[0:1], 0, s[2:3]
	s_mov_b32 s7, s3
	s_mul_i32 s22, s2, 3
	s_mov_b32 s23, s3
	v_lshlrev_b32_e32 v2, 3, v0
	v_mov_b32_e32 v3, v1
	s_addc_u32 s25, s11, s13
	v_lshlrev_b32_e32 v10, 3, v8
	v_mov_b32_e32 v11, v1
	v_lshl_add_u64 v[2:3], s[24:25], 0, v[2:3]
	s_lshl_b32 s18, s2, 5
	s_mov_b32 s19, s3
	s_mul_i32 s20, s2, 24
	s_mov_b32 s21, s3
	v_lshl_add_u64 v[4:5], s[22:23], 0, v[0:1]
	s_lshl_b32 s22, s2, 4
	v_lshl_add_u64 v[6:7], s[6:7], 0, v[0:1]
	v_lshl_add_u64 v[10:11], s[24:25], 0, v[10:11]
	s_mov_b64 s[24:25], 0
	v_mov_b64_e32 v[12:13], s[4:5]
	s_branch .LBB3_4
.LBB3_3:                                ;   in Loop: Header=BB3_4 Depth=1
	s_or_b64 exec, exec, s[2:3]
	s_add_u32 s24, s24, s28
	s_addc_u32 s25, s25, 0
	v_cmp_lt_i64_e32 vcc, s[24:25], v[12:13]
	v_lshl_add_u64 v[2:3], v[2:3], 0, s[18:19]
	v_lshl_add_u64 v[10:11], v[10:11], 0, s[18:19]
	s_cbranch_vccz .LBB3_20
.LBB3_4:                                ; =>This Inner Loop Header: Depth=1
	s_waitcnt vmcnt(0)
	v_lshl_add_u64 v[14:15], v[0:1], 0, s[24:25]
	v_cmp_gt_u64_e32 vcc, s[16:17], v[14:15]
	v_mov_b64_e32 v[14:15], 0
	v_mov_b64_e32 v[18:19], 0
	s_and_saveexec_b64 s[2:3], vcc
	s_cbranch_execz .LBB3_6
; %bb.5:                                ;   in Loop: Header=BB3_4 Depth=1
	global_load_dwordx2 v[18:19], v[2:3], off
.LBB3_6:                                ;   in Loop: Header=BB3_4 Depth=1
	s_or_b64 exec, exec, s[2:3]
	v_lshl_add_u64 v[16:17], v[8:9], 0, s[24:25]
	v_cmp_gt_u64_e64 s[2:3], s[16:17], v[16:17]
	s_and_saveexec_b64 s[4:5], s[2:3]
	s_cbranch_execz .LBB3_8
; %bb.7:                                ;   in Loop: Header=BB3_4 Depth=1
	global_load_dwordx2 v[14:15], v[10:11], off
.LBB3_8:                                ;   in Loop: Header=BB3_4 Depth=1
	s_or_b64 exec, exec, s[4:5]
	v_lshl_add_u64 v[16:17], v[6:7], 0, s[24:25]
	v_cmp_gt_u64_e64 s[4:5], s[16:17], v[16:17]
	v_mov_b64_e32 v[16:17], 0
	v_lshl_add_u64 v[20:21], v[2:3], 0, s[22:23]
	v_mov_b64_e32 v[22:23], 0
	s_and_saveexec_b64 s[6:7], s[4:5]
	s_cbranch_execz .LBB3_10
; %bb.9:                                ;   in Loop: Header=BB3_4 Depth=1
	global_load_dwordx2 v[22:23], v[20:21], off
.LBB3_10:                               ;   in Loop: Header=BB3_4 Depth=1
	s_or_b64 exec, exec, s[6:7]
	v_lshl_add_u64 v[24:25], v[4:5], 0, s[24:25]
	v_cmp_gt_u64_e64 s[6:7], s[16:17], v[24:25]
	v_lshl_add_u64 v[24:25], v[2:3], 0, s[20:21]
	s_and_saveexec_b64 s[26:27], s[6:7]
	s_cbranch_execnz .LBB3_15
; %bb.11:                               ;   in Loop: Header=BB3_4 Depth=1
	s_or_b64 exec, exec, s[26:27]
	s_and_saveexec_b64 s[26:27], vcc
	s_cbranch_execnz .LBB3_16
.LBB3_12:                               ;   in Loop: Header=BB3_4 Depth=1
	s_or_b64 exec, exec, s[26:27]
	s_and_saveexec_b64 s[26:27], s[2:3]
	s_cbranch_execnz .LBB3_17
.LBB3_13:                               ;   in Loop: Header=BB3_4 Depth=1
	s_or_b64 exec, exec, s[26:27]
	s_and_saveexec_b64 s[2:3], s[4:5]
	s_cbranch_execnz .LBB3_18
.LBB3_14:                               ;   in Loop: Header=BB3_4 Depth=1
	s_or_b64 exec, exec, s[2:3]
	s_and_saveexec_b64 s[2:3], s[6:7]
	s_cbranch_execz .LBB3_3
	s_branch .LBB3_19
.LBB3_15:                               ;   in Loop: Header=BB3_4 Depth=1
	global_load_dwordx2 v[16:17], v[24:25], off
	s_or_b64 exec, exec, s[26:27]
	s_and_saveexec_b64 s[26:27], vcc
	s_cbranch_execz .LBB3_12
.LBB3_16:                               ;   in Loop: Header=BB3_4 Depth=1
	s_waitcnt vmcnt(0)
	v_lshl_add_u64 v[18:19], v[18:19], 0, s[8:9]
	global_store_dwordx2 v[2:3], v[18:19], off
	s_or_b64 exec, exec, s[26:27]
	s_and_saveexec_b64 s[26:27], s[2:3]
	s_cbranch_execz .LBB3_13
.LBB3_17:                               ;   in Loop: Header=BB3_4 Depth=1
	s_waitcnt vmcnt(0)
	v_lshl_add_u64 v[14:15], v[14:15], 0, s[8:9]
	global_store_dwordx2 v[10:11], v[14:15], off
	s_or_b64 exec, exec, s[26:27]
	s_and_saveexec_b64 s[2:3], s[4:5]
	s_cbranch_execz .LBB3_14
.LBB3_18:                               ;   in Loop: Header=BB3_4 Depth=1
	s_waitcnt vmcnt(0)
	v_lshl_add_u64 v[14:15], v[22:23], 0, s[8:9]
	global_store_dwordx2 v[20:21], v[14:15], off
	s_or_b64 exec, exec, s[2:3]
	s_and_saveexec_b64 s[2:3], s[6:7]
	s_cbranch_execz .LBB3_3
.LBB3_19:                               ;   in Loop: Header=BB3_4 Depth=1
	s_waitcnt vmcnt(0)
	v_lshl_add_u64 v[14:15], v[16:17], 0, s[8:9]
	global_store_dwordx2 v[24:25], v[14:15], off
	s_branch .LBB3_3
.LBB3_20:
	s_cbranch_execz .LBB3_22
	s_branch .LBB3_25
.LBB3_21:
.LBB3_22:
	v_mov_b64_e32 v[4:5], 0x10000
	v_cmp_lt_i64_e32 vcc, s[14:15], v[4:5]
	s_and_b64 s[4:5], vcc, exec
	v_mov_b32_e32 v3, 0
	s_cselect_b32 s5, s15, 0
	s_cselect_b32 s4, s14, 0x10000
	v_lshlrev_b32_e32 v2, 2, v0
	s_mov_b32 s3, 0
	v_cmp_gt_i64_e32 vcc, s[4:5], v[2:3]
	s_and_saveexec_b64 s[6:7], vcc
	s_cbranch_execz .LBB3_25
; %bb.23:
	s_load_dword s0, s[0:1], 0xd44
	v_lshlrev_b32_e32 v2, 5, v0
	v_mov_b32_e32 v1, v3
	s_mov_b32 s1, s3
	s_waitcnt lgkmcnt(0)
	s_and_b32 s2, s0, 0xffff
	s_add_u32 s6, s10, s12
	s_addc_u32 s7, s11, s13
	v_lshl_add_u64 v[2:3], s[6:7], 0, v[2:3]
	s_lshl_b32 s0, s2, 5
	v_lshl_add_u64 v[2:3], v[2:3], 0, 16
	s_mov_b64 s[6:7], 0
.LBB3_24:                               ; =>This Inner Loop Header: Depth=1
	global_load_dwordx4 v[4:7], v[2:3], off offset:-16
	global_load_dwordx4 v[8:11], v[2:3], off
	v_lshl_add_u64 v[0:1], v[0:1], 0, s[2:3]
	v_lshlrev_b64 v[12:13], 2, v[0:1]
	v_cmp_le_i64_e32 vcc, s[4:5], v[12:13]
	s_or_b64 s[6:7], vcc, s[6:7]
	s_waitcnt vmcnt(1)
	v_lshl_add_u64 v[4:5], v[4:5], 0, s[8:9]
	v_lshl_add_u64 v[6:7], v[6:7], 0, s[8:9]
	s_waitcnt vmcnt(0)
	v_lshl_add_u64 v[8:9], v[8:9], 0, s[8:9]
	v_lshl_add_u64 v[10:11], v[10:11], 0, s[8:9]
	global_store_dwordx4 v[2:3], v[4:7], off offset:-16
	global_store_dwordx4 v[2:3], v[8:11], off
	v_lshl_add_u64 v[2:3], v[2:3], 0, s[0:1]
	s_andn2_b64 exec, exec, s[6:7]
	s_cbranch_execnz .LBB3_24
.LBB3_25:
	s_endpgm
	.section	.rodata,"a",@progbits
	.p2align	6, 0x0
	.amdhsa_kernel _ZN2at6native12_GLOBAL__N_125multi_tensor_apply_kernelINS1_18TensorListMetadataILi1EEENS1_21BinaryOpScalarFunctorIlLi1ELi1ELi0EEEJSt4plusIlElEEEvT_T0_DpT1_
		.amdhsa_group_segment_fixed_size 0
		.amdhsa_private_segment_fixed_size 0
		.amdhsa_kernarg_size 3640
		.amdhsa_user_sgpr_count 2
		.amdhsa_user_sgpr_dispatch_ptr 0
		.amdhsa_user_sgpr_queue_ptr 0
		.amdhsa_user_sgpr_kernarg_segment_ptr 1
		.amdhsa_user_sgpr_dispatch_id 0
		.amdhsa_user_sgpr_kernarg_preload_length 0
		.amdhsa_user_sgpr_kernarg_preload_offset 0
		.amdhsa_user_sgpr_private_segment_size 0
		.amdhsa_uses_dynamic_stack 0
		.amdhsa_enable_private_segment 0
		.amdhsa_system_sgpr_workgroup_id_x 1
		.amdhsa_system_sgpr_workgroup_id_y 0
		.amdhsa_system_sgpr_workgroup_id_z 0
		.amdhsa_system_sgpr_workgroup_info 0
		.amdhsa_system_vgpr_workitem_id 0
		.amdhsa_next_free_vgpr 26
		.amdhsa_next_free_sgpr 29
		.amdhsa_accum_offset 28
		.amdhsa_reserve_vcc 1
		.amdhsa_float_round_mode_32 0
		.amdhsa_float_round_mode_16_64 0
		.amdhsa_float_denorm_mode_32 3
		.amdhsa_float_denorm_mode_16_64 3
		.amdhsa_dx10_clamp 1
		.amdhsa_ieee_mode 1
		.amdhsa_fp16_overflow 0
		.amdhsa_tg_split 0
		.amdhsa_exception_fp_ieee_invalid_op 0
		.amdhsa_exception_fp_denorm_src 0
		.amdhsa_exception_fp_ieee_div_zero 0
		.amdhsa_exception_fp_ieee_overflow 0
		.amdhsa_exception_fp_ieee_underflow 0
		.amdhsa_exception_fp_ieee_inexact 0
		.amdhsa_exception_int_div_zero 0
	.end_amdhsa_kernel
	.section	.text._ZN2at6native12_GLOBAL__N_125multi_tensor_apply_kernelINS1_18TensorListMetadataILi1EEENS1_21BinaryOpScalarFunctorIlLi1ELi1ELi0EEEJSt4plusIlElEEEvT_T0_DpT1_,"axG",@progbits,_ZN2at6native12_GLOBAL__N_125multi_tensor_apply_kernelINS1_18TensorListMetadataILi1EEENS1_21BinaryOpScalarFunctorIlLi1ELi1ELi0EEEJSt4plusIlElEEEvT_T0_DpT1_,comdat
.Lfunc_end3:
	.size	_ZN2at6native12_GLOBAL__N_125multi_tensor_apply_kernelINS1_18TensorListMetadataILi1EEENS1_21BinaryOpScalarFunctorIlLi1ELi1ELi0EEEJSt4plusIlElEEEvT_T0_DpT1_, .Lfunc_end3-_ZN2at6native12_GLOBAL__N_125multi_tensor_apply_kernelINS1_18TensorListMetadataILi1EEENS1_21BinaryOpScalarFunctorIlLi1ELi1ELi0EEEJSt4plusIlElEEEvT_T0_DpT1_
                                        ; -- End function
	.set _ZN2at6native12_GLOBAL__N_125multi_tensor_apply_kernelINS1_18TensorListMetadataILi1EEENS1_21BinaryOpScalarFunctorIlLi1ELi1ELi0EEEJSt4plusIlElEEEvT_T0_DpT1_.num_vgpr, 26
	.set _ZN2at6native12_GLOBAL__N_125multi_tensor_apply_kernelINS1_18TensorListMetadataILi1EEENS1_21BinaryOpScalarFunctorIlLi1ELi1ELi0EEEJSt4plusIlElEEEvT_T0_DpT1_.num_agpr, 0
	.set _ZN2at6native12_GLOBAL__N_125multi_tensor_apply_kernelINS1_18TensorListMetadataILi1EEENS1_21BinaryOpScalarFunctorIlLi1ELi1ELi0EEEJSt4plusIlElEEEvT_T0_DpT1_.numbered_sgpr, 29
	.set _ZN2at6native12_GLOBAL__N_125multi_tensor_apply_kernelINS1_18TensorListMetadataILi1EEENS1_21BinaryOpScalarFunctorIlLi1ELi1ELi0EEEJSt4plusIlElEEEvT_T0_DpT1_.num_named_barrier, 0
	.set _ZN2at6native12_GLOBAL__N_125multi_tensor_apply_kernelINS1_18TensorListMetadataILi1EEENS1_21BinaryOpScalarFunctorIlLi1ELi1ELi0EEEJSt4plusIlElEEEvT_T0_DpT1_.private_seg_size, 0
	.set _ZN2at6native12_GLOBAL__N_125multi_tensor_apply_kernelINS1_18TensorListMetadataILi1EEENS1_21BinaryOpScalarFunctorIlLi1ELi1ELi0EEEJSt4plusIlElEEEvT_T0_DpT1_.uses_vcc, 1
	.set _ZN2at6native12_GLOBAL__N_125multi_tensor_apply_kernelINS1_18TensorListMetadataILi1EEENS1_21BinaryOpScalarFunctorIlLi1ELi1ELi0EEEJSt4plusIlElEEEvT_T0_DpT1_.uses_flat_scratch, 0
	.set _ZN2at6native12_GLOBAL__N_125multi_tensor_apply_kernelINS1_18TensorListMetadataILi1EEENS1_21BinaryOpScalarFunctorIlLi1ELi1ELi0EEEJSt4plusIlElEEEvT_T0_DpT1_.has_dyn_sized_stack, 0
	.set _ZN2at6native12_GLOBAL__N_125multi_tensor_apply_kernelINS1_18TensorListMetadataILi1EEENS1_21BinaryOpScalarFunctorIlLi1ELi1ELi0EEEJSt4plusIlElEEEvT_T0_DpT1_.has_recursion, 0
	.set _ZN2at6native12_GLOBAL__N_125multi_tensor_apply_kernelINS1_18TensorListMetadataILi1EEENS1_21BinaryOpScalarFunctorIlLi1ELi1ELi0EEEJSt4plusIlElEEEvT_T0_DpT1_.has_indirect_call, 0
	.section	.AMDGPU.csdata,"",@progbits
; Kernel info:
; codeLenInByte = 972
; TotalNumSgprs: 35
; NumVgprs: 26
; NumAgprs: 0
; TotalNumVgprs: 26
; ScratchSize: 0
; MemoryBound: 0
; FloatMode: 240
; IeeeMode: 1
; LDSByteSize: 0 bytes/workgroup (compile time only)
; SGPRBlocks: 4
; VGPRBlocks: 3
; NumSGPRsForWavesPerEU: 35
; NumVGPRsForWavesPerEU: 26
; AccumOffset: 28
; Occupancy: 8
; WaveLimiterHint : 0
; COMPUTE_PGM_RSRC2:SCRATCH_EN: 0
; COMPUTE_PGM_RSRC2:USER_SGPR: 2
; COMPUTE_PGM_RSRC2:TRAP_HANDLER: 0
; COMPUTE_PGM_RSRC2:TGID_X_EN: 1
; COMPUTE_PGM_RSRC2:TGID_Y_EN: 0
; COMPUTE_PGM_RSRC2:TGID_Z_EN: 0
; COMPUTE_PGM_RSRC2:TIDIG_COMP_CNT: 0
; COMPUTE_PGM_RSRC3_GFX90A:ACCUM_OFFSET: 6
; COMPUTE_PGM_RSRC3_GFX90A:TG_SPLIT: 0
	.section	.text._ZN2at6native12_GLOBAL__N_125multi_tensor_apply_kernelINS1_18TensorListMetadataILi1EEENS1_21BinaryOpScalarFunctorIsLi1ELi1ELi0EEEJSt4plusIsEsEEEvT_T0_DpT1_,"axG",@progbits,_ZN2at6native12_GLOBAL__N_125multi_tensor_apply_kernelINS1_18TensorListMetadataILi1EEENS1_21BinaryOpScalarFunctorIsLi1ELi1ELi0EEEJSt4plusIsEsEEEvT_T0_DpT1_,comdat
	.globl	_ZN2at6native12_GLOBAL__N_125multi_tensor_apply_kernelINS1_18TensorListMetadataILi1EEENS1_21BinaryOpScalarFunctorIsLi1ELi1ELi0EEEJSt4plusIsEsEEEvT_T0_DpT1_ ; -- Begin function _ZN2at6native12_GLOBAL__N_125multi_tensor_apply_kernelINS1_18TensorListMetadataILi1EEENS1_21BinaryOpScalarFunctorIsLi1ELi1ELi0EEEJSt4plusIsEsEEEvT_T0_DpT1_
	.p2align	8
	.type	_ZN2at6native12_GLOBAL__N_125multi_tensor_apply_kernelINS1_18TensorListMetadataILi1EEENS1_21BinaryOpScalarFunctorIsLi1ELi1ELi0EEEJSt4plusIsEsEEEvT_T0_DpT1_,@function
_ZN2at6native12_GLOBAL__N_125multi_tensor_apply_kernelINS1_18TensorListMetadataILi1EEENS1_21BinaryOpScalarFunctorIsLi1ELi1ELi0EEEJSt4plusIsEsEEEvT_T0_DpT1_: ; @_ZN2at6native12_GLOBAL__N_125multi_tensor_apply_kernelINS1_18TensorListMetadataILi1EEENS1_21BinaryOpScalarFunctorIsLi1ELi1ELi0EEEJSt4plusIsEsEEEvT_T0_DpT1_
; %bb.0:
	v_mov_b32_e32 v1, s2
	global_load_ubyte v1, v1, s[0:1] offset:1760
	s_load_dword s3, s[0:1], 0xd28
	s_mul_hi_u32 s4, s2, 3
	s_mul_i32 s5, s2, 3
	s_mov_b32 s7, 0
	s_waitcnt lgkmcnt(0)
	s_lshr_b32 s26, s3, 16
	s_add_u32 s2, s0, s2
	s_addc_u32 s3, s1, 0
	s_add_u32 s2, s2, s5
	s_addc_u32 s3, s3, s4
	s_load_dword s2, s[2:3], 0x820
	s_waitcnt vmcnt(0)
	v_readfirstlane_b32 s3, v1
	s_lshl_b32 s3, s3, 3
	s_load_dwordx2 s[4:5], s[0:1], s3 offset:0x370
	s_load_dwordx2 s[8:9], s[0:1], s3 offset:0x0
	s_waitcnt lgkmcnt(0)
	s_ashr_i32 s3, s2, 31
	s_lshl_b64 s[10:11], s[2:3], 17
	s_lshl_b64 s[2:3], s[2:3], 16
	s_and_b32 s6, s8, 7
	s_sub_u32 s12, s4, s2
	s_subb_u32 s13, s5, s3
	s_and_b32 s2, s4, 3
	s_mov_b32 s3, s7
	s_or_b64 s[2:3], s[6:7], s[2:3]
	s_cmp_eq_u64 s[2:3], 0
	s_cbranch_scc1 .LBB4_21
; %bb.1:
	v_cmp_lt_i64_e64 s[2:3], s[12:13], 1
	s_and_b64 vcc, exec, s[2:3]
	s_cbranch_vccnz .LBB4_20
; %bb.2:
	s_load_dword s2, s[0:1], 0xd3c
	v_mov_b64_e32 v[2:3], 0x10000
	v_cmp_lt_i64_e32 vcc, s[12:13], v[2:3]
	s_and_b64 s[4:5], vcc, exec
	s_cselect_b32 s5, s13, 0
	s_cselect_b32 s4, s12, 0x10000
	s_waitcnt lgkmcnt(0)
	s_and_b32 s2, s2, 0xffff
	v_cmp_lt_u64_e32 vcc, s[12:13], v[2:3]
	s_and_b64 s[6:7], vcc, exec
	s_mov_b32 s3, 0
	v_mov_b32_e32 v1, 0
	s_cselect_b32 s15, s13, 0
	s_cselect_b32 s14, s12, 0x10000
	s_lshl_b32 s6, s2, 1
	s_lshl_b32 s16, s2, 2
	s_add_u32 s24, s8, s10
	v_lshl_add_u64 v[8:9], v[0:1], 0, s[2:3]
	s_mov_b32 s7, s3
	s_mul_i32 s22, s2, 3
	s_mov_b32 s23, s3
	v_lshlrev_b32_e32 v2, 1, v0
	v_mov_b32_e32 v3, v1
	s_addc_u32 s25, s9, s11
	v_lshlrev_b32_e32 v10, 1, v8
	v_mov_b32_e32 v11, v1
	s_mov_b32 s17, s3
	v_lshl_add_u64 v[2:3], s[24:25], 0, v[2:3]
	s_lshl_b32 s18, s2, 3
	s_mov_b32 s19, s3
	s_mul_i32 s20, s2, 6
	s_mov_b32 s21, s3
	v_lshl_add_u64 v[4:5], s[22:23], 0, v[0:1]
	v_lshl_add_u64 v[6:7], s[6:7], 0, v[0:1]
	;; [unrolled: 1-line block ×3, first 2 shown]
	s_mov_b64 s[22:23], 0
	v_mov_b64_e32 v[12:13], s[4:5]
	s_branch .LBB4_4
.LBB4_3:                                ;   in Loop: Header=BB4_4 Depth=1
	s_or_b64 exec, exec, s[2:3]
	s_add_u32 s22, s22, s16
	s_addc_u32 s23, s23, 0
	v_cmp_lt_i64_e32 vcc, s[22:23], v[12:13]
	v_lshl_add_u64 v[2:3], v[2:3], 0, s[18:19]
	v_lshl_add_u64 v[10:11], v[10:11], 0, s[18:19]
	s_cbranch_vccz .LBB4_20
.LBB4_4:                                ; =>This Inner Loop Header: Depth=1
	v_lshl_add_u64 v[14:15], v[0:1], 0, s[22:23]
	v_cmp_gt_u64_e32 vcc, s[14:15], v[14:15]
	s_waitcnt vmcnt(0)
	v_mov_b32_e32 v19, 0
	s_and_saveexec_b64 s[2:3], vcc
	s_cbranch_execz .LBB4_6
; %bb.5:                                ;   in Loop: Header=BB4_4 Depth=1
	global_load_ushort v19, v[2:3], off
.LBB4_6:                                ;   in Loop: Header=BB4_4 Depth=1
	s_or_b64 exec, exec, s[2:3]
	v_lshl_add_u64 v[14:15], v[8:9], 0, s[22:23]
	v_cmp_gt_u64_e64 s[2:3], s[14:15], v[14:15]
	v_mov_b32_e32 v18, 0
	v_mov_b32_e32 v20, 0
	s_and_saveexec_b64 s[4:5], s[2:3]
	s_cbranch_execz .LBB4_8
; %bb.7:                                ;   in Loop: Header=BB4_4 Depth=1
	global_load_ushort v20, v[10:11], off
.LBB4_8:                                ;   in Loop: Header=BB4_4 Depth=1
	s_or_b64 exec, exec, s[4:5]
	v_lshl_add_u64 v[14:15], v[6:7], 0, s[22:23]
	v_cmp_gt_u64_e64 s[4:5], s[14:15], v[14:15]
	v_lshl_add_u64 v[14:15], v[2:3], 0, s[16:17]
	s_and_saveexec_b64 s[6:7], s[4:5]
	s_cbranch_execz .LBB4_10
; %bb.9:                                ;   in Loop: Header=BB4_4 Depth=1
	global_load_ushort v18, v[14:15], off
.LBB4_10:                               ;   in Loop: Header=BB4_4 Depth=1
	s_or_b64 exec, exec, s[6:7]
	v_lshl_add_u64 v[16:17], v[4:5], 0, s[22:23]
	v_cmp_gt_u64_e64 s[6:7], s[14:15], v[16:17]
	v_mov_b32_e32 v21, 0
	v_lshl_add_u64 v[16:17], v[2:3], 0, s[20:21]
	s_and_saveexec_b64 s[24:25], s[6:7]
	s_cbranch_execnz .LBB4_15
; %bb.11:                               ;   in Loop: Header=BB4_4 Depth=1
	s_or_b64 exec, exec, s[24:25]
	s_and_saveexec_b64 s[24:25], vcc
	s_cbranch_execnz .LBB4_16
.LBB4_12:                               ;   in Loop: Header=BB4_4 Depth=1
	s_or_b64 exec, exec, s[24:25]
	s_and_saveexec_b64 s[24:25], s[2:3]
	s_cbranch_execnz .LBB4_17
.LBB4_13:                               ;   in Loop: Header=BB4_4 Depth=1
	s_or_b64 exec, exec, s[24:25]
	s_and_saveexec_b64 s[2:3], s[4:5]
	s_cbranch_execnz .LBB4_18
.LBB4_14:                               ;   in Loop: Header=BB4_4 Depth=1
	s_or_b64 exec, exec, s[2:3]
	s_and_saveexec_b64 s[2:3], s[6:7]
	s_cbranch_execz .LBB4_3
	s_branch .LBB4_19
.LBB4_15:                               ;   in Loop: Header=BB4_4 Depth=1
	global_load_ushort v21, v[16:17], off
	s_or_b64 exec, exec, s[24:25]
	s_and_saveexec_b64 s[24:25], vcc
	s_cbranch_execz .LBB4_12
.LBB4_16:                               ;   in Loop: Header=BB4_4 Depth=1
	s_waitcnt vmcnt(0)
	v_add_u16_e32 v19, s26, v19
	global_store_short v[2:3], v19, off
	s_or_b64 exec, exec, s[24:25]
	s_and_saveexec_b64 s[24:25], s[2:3]
	s_cbranch_execz .LBB4_13
.LBB4_17:                               ;   in Loop: Header=BB4_4 Depth=1
	s_waitcnt vmcnt(0)
	v_add_u16_e32 v19, s26, v20
	global_store_short v[10:11], v19, off
	s_or_b64 exec, exec, s[24:25]
	s_and_saveexec_b64 s[2:3], s[4:5]
	s_cbranch_execz .LBB4_14
.LBB4_18:                               ;   in Loop: Header=BB4_4 Depth=1
	s_waitcnt vmcnt(0)
	v_add_u16_e32 v18, s26, v18
	global_store_short v[14:15], v18, off
	s_or_b64 exec, exec, s[2:3]
	s_and_saveexec_b64 s[2:3], s[6:7]
	s_cbranch_execz .LBB4_3
.LBB4_19:                               ;   in Loop: Header=BB4_4 Depth=1
	s_waitcnt vmcnt(0)
	v_add_u16_e32 v14, s26, v21
	global_store_short v[16:17], v14, off
	s_branch .LBB4_3
.LBB4_20:
	s_cbranch_execz .LBB4_22
	s_branch .LBB4_25
.LBB4_21:
.LBB4_22:
	v_mov_b64_e32 v[4:5], 0x10000
	v_cmp_lt_i64_e32 vcc, s[12:13], v[4:5]
	s_and_b64 s[4:5], vcc, exec
	v_mov_b32_e32 v3, 0
	s_cselect_b32 s5, s13, 0
	s_cselect_b32 s4, s12, 0x10000
	v_lshlrev_b32_e32 v2, 2, v0
	s_mov_b32 s3, 0
	v_cmp_gt_i64_e32 vcc, s[4:5], v[2:3]
	s_and_saveexec_b64 s[6:7], vcc
	s_cbranch_execz .LBB4_25
; %bb.23:
	s_load_dword s0, s[0:1], 0xd3c
	v_lshlrev_b32_e32 v2, 3, v0
	v_mov_b32_e32 v1, v3
	s_mov_b32 s1, s3
	s_waitcnt lgkmcnt(0)
	s_and_b32 s2, s0, 0xffff
	s_add_u32 s6, s8, s10
	s_addc_u32 s7, s9, s11
	s_lshl_b32 s0, s2, 3
	v_lshl_add_u64 v[2:3], s[6:7], 0, v[2:3]
	s_mov_b64 s[6:7], 0
	s_mov_b32 s8, 0x5040100
.LBB4_24:                               ; =>This Inner Loop Header: Depth=1
	global_load_dwordx2 v[4:5], v[2:3], off
	v_lshl_add_u64 v[0:1], v[0:1], 0, s[2:3]
	v_lshlrev_b64 v[6:7], 2, v[0:1]
	v_cmp_le_i64_e32 vcc, s[4:5], v[6:7]
	s_or_b64 s[6:7], vcc, s[6:7]
	s_waitcnt vmcnt(0)
	v_add_u16_e32 v6, s26, v4
	v_add_u16_sdwa v4, s26, v4 dst_sel:DWORD dst_unused:UNUSED_PAD src0_sel:DWORD src1_sel:WORD_1
	v_add_u16_e32 v7, s26, v5
	v_add_u16_sdwa v5, s26, v5 dst_sel:DWORD dst_unused:UNUSED_PAD src0_sel:DWORD src1_sel:WORD_1
	v_perm_b32 v5, v5, v7, s8
	v_perm_b32 v4, v4, v6, s8
	global_store_dwordx2 v[2:3], v[4:5], off
	v_lshl_add_u64 v[2:3], v[2:3], 0, s[0:1]
	s_andn2_b64 exec, exec, s[6:7]
	s_cbranch_execnz .LBB4_24
.LBB4_25:
	s_endpgm
	.section	.rodata,"a",@progbits
	.p2align	6, 0x0
	.amdhsa_kernel _ZN2at6native12_GLOBAL__N_125multi_tensor_apply_kernelINS1_18TensorListMetadataILi1EEENS1_21BinaryOpScalarFunctorIsLi1ELi1ELi0EEEJSt4plusIsEsEEEvT_T0_DpT1_
		.amdhsa_group_segment_fixed_size 0
		.amdhsa_private_segment_fixed_size 0
		.amdhsa_kernarg_size 3632
		.amdhsa_user_sgpr_count 2
		.amdhsa_user_sgpr_dispatch_ptr 0
		.amdhsa_user_sgpr_queue_ptr 0
		.amdhsa_user_sgpr_kernarg_segment_ptr 1
		.amdhsa_user_sgpr_dispatch_id 0
		.amdhsa_user_sgpr_kernarg_preload_length 0
		.amdhsa_user_sgpr_kernarg_preload_offset 0
		.amdhsa_user_sgpr_private_segment_size 0
		.amdhsa_uses_dynamic_stack 0
		.amdhsa_enable_private_segment 0
		.amdhsa_system_sgpr_workgroup_id_x 1
		.amdhsa_system_sgpr_workgroup_id_y 0
		.amdhsa_system_sgpr_workgroup_id_z 0
		.amdhsa_system_sgpr_workgroup_info 0
		.amdhsa_system_vgpr_workitem_id 0
		.amdhsa_next_free_vgpr 22
		.amdhsa_next_free_sgpr 27
		.amdhsa_accum_offset 24
		.amdhsa_reserve_vcc 1
		.amdhsa_float_round_mode_32 0
		.amdhsa_float_round_mode_16_64 0
		.amdhsa_float_denorm_mode_32 3
		.amdhsa_float_denorm_mode_16_64 3
		.amdhsa_dx10_clamp 1
		.amdhsa_ieee_mode 1
		.amdhsa_fp16_overflow 0
		.amdhsa_tg_split 0
		.amdhsa_exception_fp_ieee_invalid_op 0
		.amdhsa_exception_fp_denorm_src 0
		.amdhsa_exception_fp_ieee_div_zero 0
		.amdhsa_exception_fp_ieee_overflow 0
		.amdhsa_exception_fp_ieee_underflow 0
		.amdhsa_exception_fp_ieee_inexact 0
		.amdhsa_exception_int_div_zero 0
	.end_amdhsa_kernel
	.section	.text._ZN2at6native12_GLOBAL__N_125multi_tensor_apply_kernelINS1_18TensorListMetadataILi1EEENS1_21BinaryOpScalarFunctorIsLi1ELi1ELi0EEEJSt4plusIsEsEEEvT_T0_DpT1_,"axG",@progbits,_ZN2at6native12_GLOBAL__N_125multi_tensor_apply_kernelINS1_18TensorListMetadataILi1EEENS1_21BinaryOpScalarFunctorIsLi1ELi1ELi0EEEJSt4plusIsEsEEEvT_T0_DpT1_,comdat
.Lfunc_end4:
	.size	_ZN2at6native12_GLOBAL__N_125multi_tensor_apply_kernelINS1_18TensorListMetadataILi1EEENS1_21BinaryOpScalarFunctorIsLi1ELi1ELi0EEEJSt4plusIsEsEEEvT_T0_DpT1_, .Lfunc_end4-_ZN2at6native12_GLOBAL__N_125multi_tensor_apply_kernelINS1_18TensorListMetadataILi1EEENS1_21BinaryOpScalarFunctorIsLi1ELi1ELi0EEEJSt4plusIsEsEEEvT_T0_DpT1_
                                        ; -- End function
	.set _ZN2at6native12_GLOBAL__N_125multi_tensor_apply_kernelINS1_18TensorListMetadataILi1EEENS1_21BinaryOpScalarFunctorIsLi1ELi1ELi0EEEJSt4plusIsEsEEEvT_T0_DpT1_.num_vgpr, 22
	.set _ZN2at6native12_GLOBAL__N_125multi_tensor_apply_kernelINS1_18TensorListMetadataILi1EEENS1_21BinaryOpScalarFunctorIsLi1ELi1ELi0EEEJSt4plusIsEsEEEvT_T0_DpT1_.num_agpr, 0
	.set _ZN2at6native12_GLOBAL__N_125multi_tensor_apply_kernelINS1_18TensorListMetadataILi1EEENS1_21BinaryOpScalarFunctorIsLi1ELi1ELi0EEEJSt4plusIsEsEEEvT_T0_DpT1_.numbered_sgpr, 27
	.set _ZN2at6native12_GLOBAL__N_125multi_tensor_apply_kernelINS1_18TensorListMetadataILi1EEENS1_21BinaryOpScalarFunctorIsLi1ELi1ELi0EEEJSt4plusIsEsEEEvT_T0_DpT1_.num_named_barrier, 0
	.set _ZN2at6native12_GLOBAL__N_125multi_tensor_apply_kernelINS1_18TensorListMetadataILi1EEENS1_21BinaryOpScalarFunctorIsLi1ELi1ELi0EEEJSt4plusIsEsEEEvT_T0_DpT1_.private_seg_size, 0
	.set _ZN2at6native12_GLOBAL__N_125multi_tensor_apply_kernelINS1_18TensorListMetadataILi1EEENS1_21BinaryOpScalarFunctorIsLi1ELi1ELi0EEEJSt4plusIsEsEEEvT_T0_DpT1_.uses_vcc, 1
	.set _ZN2at6native12_GLOBAL__N_125multi_tensor_apply_kernelINS1_18TensorListMetadataILi1EEENS1_21BinaryOpScalarFunctorIsLi1ELi1ELi0EEEJSt4plusIsEsEEEvT_T0_DpT1_.uses_flat_scratch, 0
	.set _ZN2at6native12_GLOBAL__N_125multi_tensor_apply_kernelINS1_18TensorListMetadataILi1EEENS1_21BinaryOpScalarFunctorIsLi1ELi1ELi0EEEJSt4plusIsEsEEEvT_T0_DpT1_.has_dyn_sized_stack, 0
	.set _ZN2at6native12_GLOBAL__N_125multi_tensor_apply_kernelINS1_18TensorListMetadataILi1EEENS1_21BinaryOpScalarFunctorIsLi1ELi1ELi0EEEJSt4plusIsEsEEEvT_T0_DpT1_.has_recursion, 0
	.set _ZN2at6native12_GLOBAL__N_125multi_tensor_apply_kernelINS1_18TensorListMetadataILi1EEENS1_21BinaryOpScalarFunctorIsLi1ELi1ELi0EEEJSt4plusIsEsEEEvT_T0_DpT1_.has_indirect_call, 0
	.section	.AMDGPU.csdata,"",@progbits
; Kernel info:
; codeLenInByte = 952
; TotalNumSgprs: 33
; NumVgprs: 22
; NumAgprs: 0
; TotalNumVgprs: 22
; ScratchSize: 0
; MemoryBound: 0
; FloatMode: 240
; IeeeMode: 1
; LDSByteSize: 0 bytes/workgroup (compile time only)
; SGPRBlocks: 4
; VGPRBlocks: 2
; NumSGPRsForWavesPerEU: 33
; NumVGPRsForWavesPerEU: 22
; AccumOffset: 24
; Occupancy: 8
; WaveLimiterHint : 0
; COMPUTE_PGM_RSRC2:SCRATCH_EN: 0
; COMPUTE_PGM_RSRC2:USER_SGPR: 2
; COMPUTE_PGM_RSRC2:TRAP_HANDLER: 0
; COMPUTE_PGM_RSRC2:TGID_X_EN: 1
; COMPUTE_PGM_RSRC2:TGID_Y_EN: 0
; COMPUTE_PGM_RSRC2:TGID_Z_EN: 0
; COMPUTE_PGM_RSRC2:TIDIG_COMP_CNT: 0
; COMPUTE_PGM_RSRC3_GFX90A:ACCUM_OFFSET: 5
; COMPUTE_PGM_RSRC3_GFX90A:TG_SPLIT: 0
	.section	.text._ZN2at6native12_GLOBAL__N_125multi_tensor_apply_kernelINS1_18TensorListMetadataILi1EEENS1_21BinaryOpScalarFunctorIdLi1ELi1ELi0EEEJSt4plusIdEdEEEvT_T0_DpT1_,"axG",@progbits,_ZN2at6native12_GLOBAL__N_125multi_tensor_apply_kernelINS1_18TensorListMetadataILi1EEENS1_21BinaryOpScalarFunctorIdLi1ELi1ELi0EEEJSt4plusIdEdEEEvT_T0_DpT1_,comdat
	.globl	_ZN2at6native12_GLOBAL__N_125multi_tensor_apply_kernelINS1_18TensorListMetadataILi1EEENS1_21BinaryOpScalarFunctorIdLi1ELi1ELi0EEEJSt4plusIdEdEEEvT_T0_DpT1_ ; -- Begin function _ZN2at6native12_GLOBAL__N_125multi_tensor_apply_kernelINS1_18TensorListMetadataILi1EEENS1_21BinaryOpScalarFunctorIdLi1ELi1ELi0EEEJSt4plusIdEdEEEvT_T0_DpT1_
	.p2align	8
	.type	_ZN2at6native12_GLOBAL__N_125multi_tensor_apply_kernelINS1_18TensorListMetadataILi1EEENS1_21BinaryOpScalarFunctorIdLi1ELi1ELi0EEEJSt4plusIdEdEEEvT_T0_DpT1_,@function
_ZN2at6native12_GLOBAL__N_125multi_tensor_apply_kernelINS1_18TensorListMetadataILi1EEENS1_21BinaryOpScalarFunctorIdLi1ELi1ELi0EEEJSt4plusIdEdEEEvT_T0_DpT1_: ; @_ZN2at6native12_GLOBAL__N_125multi_tensor_apply_kernelINS1_18TensorListMetadataILi1EEENS1_21BinaryOpScalarFunctorIdLi1ELi1ELi0EEEJSt4plusIdEdEEEvT_T0_DpT1_
; %bb.0:
	v_mov_b32_e32 v1, s2
	global_load_ubyte v1, v1, s[0:1] offset:1760
	s_add_u32 s3, s0, s2
	s_mul_hi_u32 s4, s2, 3
	s_mul_i32 s2, s2, 3
	s_addc_u32 s5, s1, 0
	s_add_u32 s2, s3, s2
	s_addc_u32 s3, s5, s4
	s_load_dword s2, s[2:3], 0x820
	s_mov_b32 s7, 0
	s_waitcnt vmcnt(0)
	v_readfirstlane_b32 s3, v1
	s_lshl_b32 s3, s3, 3
	s_load_dwordx2 s[8:9], s[0:1], 0xd30
	s_load_dwordx2 s[4:5], s[0:1], s3 offset:0x370
	s_load_dwordx2 s[10:11], s[0:1], s3 offset:0x0
	s_waitcnt lgkmcnt(0)
	s_ashr_i32 s3, s2, 31
	s_lshl_b64 s[12:13], s[2:3], 19
	s_lshl_b64 s[2:3], s[2:3], 16
	s_and_b32 s6, s10, 31
	s_sub_u32 s14, s4, s2
	s_subb_u32 s15, s5, s3
	s_and_b32 s2, s4, 3
	s_mov_b32 s3, s7
	s_or_b64 s[2:3], s[6:7], s[2:3]
	s_cmp_eq_u64 s[2:3], 0
	s_cbranch_scc1 .LBB5_21
; %bb.1:
	v_cmp_lt_i64_e64 s[2:3], s[14:15], 1
	s_and_b64 vcc, exec, s[2:3]
	s_cbranch_vccnz .LBB5_20
; %bb.2:
	s_load_dword s2, s[0:1], 0xd44
	v_mov_b64_e32 v[2:3], 0x10000
	v_cmp_lt_i64_e32 vcc, s[14:15], v[2:3]
	s_and_b64 s[4:5], vcc, exec
	s_cselect_b32 s5, s15, 0
	s_cselect_b32 s4, s14, 0x10000
	s_waitcnt lgkmcnt(0)
	s_and_b32 s2, s2, 0xffff
	v_cmp_lt_u64_e32 vcc, s[14:15], v[2:3]
	s_and_b64 s[6:7], vcc, exec
	s_mov_b32 s3, 0
	v_mov_b32_e32 v1, 0
	s_cselect_b32 s17, s15, 0
	s_cselect_b32 s16, s14, 0x10000
	s_lshl_b32 s6, s2, 1
	s_lshl_b32 s28, s2, 2
	s_add_u32 s24, s10, s12
	v_lshl_add_u64 v[8:9], v[0:1], 0, s[2:3]
	s_mov_b32 s7, s3
	s_mul_i32 s22, s2, 3
	s_mov_b32 s23, s3
	v_lshlrev_b32_e32 v2, 3, v0
	v_mov_b32_e32 v3, v1
	s_addc_u32 s25, s11, s13
	v_lshlrev_b32_e32 v10, 3, v8
	v_mov_b32_e32 v11, v1
	v_lshl_add_u64 v[2:3], s[24:25], 0, v[2:3]
	s_lshl_b32 s18, s2, 5
	s_mov_b32 s19, s3
	s_mul_i32 s20, s2, 24
	s_mov_b32 s21, s3
	v_lshl_add_u64 v[4:5], s[22:23], 0, v[0:1]
	s_lshl_b32 s22, s2, 4
	v_lshl_add_u64 v[6:7], s[6:7], 0, v[0:1]
	v_lshl_add_u64 v[10:11], s[24:25], 0, v[10:11]
	s_mov_b64 s[24:25], 0
	v_mov_b64_e32 v[12:13], s[4:5]
	s_branch .LBB5_4
.LBB5_3:                                ;   in Loop: Header=BB5_4 Depth=1
	s_or_b64 exec, exec, s[2:3]
	s_add_u32 s24, s24, s28
	s_addc_u32 s25, s25, 0
	v_cmp_lt_i64_e32 vcc, s[24:25], v[12:13]
	v_lshl_add_u64 v[2:3], v[2:3], 0, s[18:19]
	v_lshl_add_u64 v[10:11], v[10:11], 0, s[18:19]
	s_cbranch_vccz .LBB5_20
.LBB5_4:                                ; =>This Inner Loop Header: Depth=1
	s_waitcnt vmcnt(0)
	v_lshl_add_u64 v[14:15], v[0:1], 0, s[24:25]
	v_cmp_gt_u64_e32 vcc, s[16:17], v[14:15]
	v_mov_b64_e32 v[14:15], 0
	v_mov_b64_e32 v[18:19], 0
	s_and_saveexec_b64 s[2:3], vcc
	s_cbranch_execz .LBB5_6
; %bb.5:                                ;   in Loop: Header=BB5_4 Depth=1
	global_load_dwordx2 v[18:19], v[2:3], off
.LBB5_6:                                ;   in Loop: Header=BB5_4 Depth=1
	s_or_b64 exec, exec, s[2:3]
	v_lshl_add_u64 v[16:17], v[8:9], 0, s[24:25]
	v_cmp_gt_u64_e64 s[2:3], s[16:17], v[16:17]
	s_and_saveexec_b64 s[4:5], s[2:3]
	s_cbranch_execz .LBB5_8
; %bb.7:                                ;   in Loop: Header=BB5_4 Depth=1
	global_load_dwordx2 v[14:15], v[10:11], off
.LBB5_8:                                ;   in Loop: Header=BB5_4 Depth=1
	s_or_b64 exec, exec, s[4:5]
	v_lshl_add_u64 v[16:17], v[6:7], 0, s[24:25]
	v_cmp_gt_u64_e64 s[4:5], s[16:17], v[16:17]
	v_mov_b64_e32 v[16:17], 0
	v_lshl_add_u64 v[20:21], v[2:3], 0, s[22:23]
	v_mov_b64_e32 v[22:23], 0
	s_and_saveexec_b64 s[6:7], s[4:5]
	s_cbranch_execz .LBB5_10
; %bb.9:                                ;   in Loop: Header=BB5_4 Depth=1
	global_load_dwordx2 v[22:23], v[20:21], off
.LBB5_10:                               ;   in Loop: Header=BB5_4 Depth=1
	s_or_b64 exec, exec, s[6:7]
	v_lshl_add_u64 v[24:25], v[4:5], 0, s[24:25]
	v_cmp_gt_u64_e64 s[6:7], s[16:17], v[24:25]
	v_lshl_add_u64 v[24:25], v[2:3], 0, s[20:21]
	s_and_saveexec_b64 s[26:27], s[6:7]
	s_cbranch_execnz .LBB5_15
; %bb.11:                               ;   in Loop: Header=BB5_4 Depth=1
	s_or_b64 exec, exec, s[26:27]
	s_and_saveexec_b64 s[26:27], vcc
	s_cbranch_execnz .LBB5_16
.LBB5_12:                               ;   in Loop: Header=BB5_4 Depth=1
	s_or_b64 exec, exec, s[26:27]
	s_and_saveexec_b64 s[26:27], s[2:3]
	s_cbranch_execnz .LBB5_17
.LBB5_13:                               ;   in Loop: Header=BB5_4 Depth=1
	s_or_b64 exec, exec, s[26:27]
	s_and_saveexec_b64 s[2:3], s[4:5]
	s_cbranch_execnz .LBB5_18
.LBB5_14:                               ;   in Loop: Header=BB5_4 Depth=1
	s_or_b64 exec, exec, s[2:3]
	s_and_saveexec_b64 s[2:3], s[6:7]
	s_cbranch_execz .LBB5_3
	s_branch .LBB5_19
.LBB5_15:                               ;   in Loop: Header=BB5_4 Depth=1
	global_load_dwordx2 v[16:17], v[24:25], off
	s_or_b64 exec, exec, s[26:27]
	s_and_saveexec_b64 s[26:27], vcc
	s_cbranch_execz .LBB5_12
.LBB5_16:                               ;   in Loop: Header=BB5_4 Depth=1
	s_waitcnt vmcnt(0)
	v_add_f64 v[18:19], s[8:9], v[18:19]
	global_store_dwordx2 v[2:3], v[18:19], off
	s_or_b64 exec, exec, s[26:27]
	s_and_saveexec_b64 s[26:27], s[2:3]
	s_cbranch_execz .LBB5_13
.LBB5_17:                               ;   in Loop: Header=BB5_4 Depth=1
	s_waitcnt vmcnt(0)
	v_add_f64 v[14:15], s[8:9], v[14:15]
	global_store_dwordx2 v[10:11], v[14:15], off
	s_or_b64 exec, exec, s[26:27]
	s_and_saveexec_b64 s[2:3], s[4:5]
	s_cbranch_execz .LBB5_14
.LBB5_18:                               ;   in Loop: Header=BB5_4 Depth=1
	s_waitcnt vmcnt(0)
	v_add_f64 v[14:15], s[8:9], v[22:23]
	global_store_dwordx2 v[20:21], v[14:15], off
	s_or_b64 exec, exec, s[2:3]
	s_and_saveexec_b64 s[2:3], s[6:7]
	s_cbranch_execz .LBB5_3
.LBB5_19:                               ;   in Loop: Header=BB5_4 Depth=1
	s_waitcnt vmcnt(0)
	v_add_f64 v[14:15], s[8:9], v[16:17]
	global_store_dwordx2 v[24:25], v[14:15], off
	s_branch .LBB5_3
.LBB5_20:
	s_cbranch_execz .LBB5_22
	s_branch .LBB5_25
.LBB5_21:
.LBB5_22:
	v_mov_b64_e32 v[4:5], 0x10000
	v_cmp_lt_i64_e32 vcc, s[14:15], v[4:5]
	s_and_b64 s[4:5], vcc, exec
	v_mov_b32_e32 v3, 0
	s_cselect_b32 s5, s15, 0
	s_cselect_b32 s4, s14, 0x10000
	v_lshlrev_b32_e32 v2, 2, v0
	s_mov_b32 s3, 0
	v_cmp_gt_i64_e32 vcc, s[4:5], v[2:3]
	s_and_saveexec_b64 s[6:7], vcc
	s_cbranch_execz .LBB5_25
; %bb.23:
	s_load_dword s0, s[0:1], 0xd44
	v_lshlrev_b32_e32 v2, 5, v0
	v_mov_b32_e32 v1, v3
	s_mov_b32 s1, s3
	s_waitcnt lgkmcnt(0)
	s_and_b32 s2, s0, 0xffff
	s_add_u32 s6, s10, s12
	s_addc_u32 s7, s11, s13
	v_lshl_add_u64 v[2:3], s[6:7], 0, v[2:3]
	s_lshl_b32 s0, s2, 5
	v_lshl_add_u64 v[2:3], v[2:3], 0, 16
	s_mov_b64 s[6:7], 0
.LBB5_24:                               ; =>This Inner Loop Header: Depth=1
	global_load_dwordx4 v[4:7], v[2:3], off offset:-16
	global_load_dwordx4 v[8:11], v[2:3], off
	v_lshl_add_u64 v[0:1], v[0:1], 0, s[2:3]
	v_lshlrev_b64 v[12:13], 2, v[0:1]
	v_cmp_le_i64_e32 vcc, s[4:5], v[12:13]
	s_or_b64 s[6:7], vcc, s[6:7]
	s_waitcnt vmcnt(1)
	v_add_f64 v[4:5], s[8:9], v[4:5]
	v_add_f64 v[6:7], s[8:9], v[6:7]
	s_waitcnt vmcnt(0)
	v_add_f64 v[8:9], s[8:9], v[8:9]
	v_add_f64 v[10:11], s[8:9], v[10:11]
	global_store_dwordx4 v[2:3], v[4:7], off offset:-16
	global_store_dwordx4 v[2:3], v[8:11], off
	v_lshl_add_u64 v[2:3], v[2:3], 0, s[0:1]
	s_andn2_b64 exec, exec, s[6:7]
	s_cbranch_execnz .LBB5_24
.LBB5_25:
	s_endpgm
	.section	.rodata,"a",@progbits
	.p2align	6, 0x0
	.amdhsa_kernel _ZN2at6native12_GLOBAL__N_125multi_tensor_apply_kernelINS1_18TensorListMetadataILi1EEENS1_21BinaryOpScalarFunctorIdLi1ELi1ELi0EEEJSt4plusIdEdEEEvT_T0_DpT1_
		.amdhsa_group_segment_fixed_size 0
		.amdhsa_private_segment_fixed_size 0
		.amdhsa_kernarg_size 3640
		.amdhsa_user_sgpr_count 2
		.amdhsa_user_sgpr_dispatch_ptr 0
		.amdhsa_user_sgpr_queue_ptr 0
		.amdhsa_user_sgpr_kernarg_segment_ptr 1
		.amdhsa_user_sgpr_dispatch_id 0
		.amdhsa_user_sgpr_kernarg_preload_length 0
		.amdhsa_user_sgpr_kernarg_preload_offset 0
		.amdhsa_user_sgpr_private_segment_size 0
		.amdhsa_uses_dynamic_stack 0
		.amdhsa_enable_private_segment 0
		.amdhsa_system_sgpr_workgroup_id_x 1
		.amdhsa_system_sgpr_workgroup_id_y 0
		.amdhsa_system_sgpr_workgroup_id_z 0
		.amdhsa_system_sgpr_workgroup_info 0
		.amdhsa_system_vgpr_workitem_id 0
		.amdhsa_next_free_vgpr 26
		.amdhsa_next_free_sgpr 29
		.amdhsa_accum_offset 28
		.amdhsa_reserve_vcc 1
		.amdhsa_float_round_mode_32 0
		.amdhsa_float_round_mode_16_64 0
		.amdhsa_float_denorm_mode_32 3
		.amdhsa_float_denorm_mode_16_64 3
		.amdhsa_dx10_clamp 1
		.amdhsa_ieee_mode 1
		.amdhsa_fp16_overflow 0
		.amdhsa_tg_split 0
		.amdhsa_exception_fp_ieee_invalid_op 0
		.amdhsa_exception_fp_denorm_src 0
		.amdhsa_exception_fp_ieee_div_zero 0
		.amdhsa_exception_fp_ieee_overflow 0
		.amdhsa_exception_fp_ieee_underflow 0
		.amdhsa_exception_fp_ieee_inexact 0
		.amdhsa_exception_int_div_zero 0
	.end_amdhsa_kernel
	.section	.text._ZN2at6native12_GLOBAL__N_125multi_tensor_apply_kernelINS1_18TensorListMetadataILi1EEENS1_21BinaryOpScalarFunctorIdLi1ELi1ELi0EEEJSt4plusIdEdEEEvT_T0_DpT1_,"axG",@progbits,_ZN2at6native12_GLOBAL__N_125multi_tensor_apply_kernelINS1_18TensorListMetadataILi1EEENS1_21BinaryOpScalarFunctorIdLi1ELi1ELi0EEEJSt4plusIdEdEEEvT_T0_DpT1_,comdat
.Lfunc_end5:
	.size	_ZN2at6native12_GLOBAL__N_125multi_tensor_apply_kernelINS1_18TensorListMetadataILi1EEENS1_21BinaryOpScalarFunctorIdLi1ELi1ELi0EEEJSt4plusIdEdEEEvT_T0_DpT1_, .Lfunc_end5-_ZN2at6native12_GLOBAL__N_125multi_tensor_apply_kernelINS1_18TensorListMetadataILi1EEENS1_21BinaryOpScalarFunctorIdLi1ELi1ELi0EEEJSt4plusIdEdEEEvT_T0_DpT1_
                                        ; -- End function
	.set _ZN2at6native12_GLOBAL__N_125multi_tensor_apply_kernelINS1_18TensorListMetadataILi1EEENS1_21BinaryOpScalarFunctorIdLi1ELi1ELi0EEEJSt4plusIdEdEEEvT_T0_DpT1_.num_vgpr, 26
	.set _ZN2at6native12_GLOBAL__N_125multi_tensor_apply_kernelINS1_18TensorListMetadataILi1EEENS1_21BinaryOpScalarFunctorIdLi1ELi1ELi0EEEJSt4plusIdEdEEEvT_T0_DpT1_.num_agpr, 0
	.set _ZN2at6native12_GLOBAL__N_125multi_tensor_apply_kernelINS1_18TensorListMetadataILi1EEENS1_21BinaryOpScalarFunctorIdLi1ELi1ELi0EEEJSt4plusIdEdEEEvT_T0_DpT1_.numbered_sgpr, 29
	.set _ZN2at6native12_GLOBAL__N_125multi_tensor_apply_kernelINS1_18TensorListMetadataILi1EEENS1_21BinaryOpScalarFunctorIdLi1ELi1ELi0EEEJSt4plusIdEdEEEvT_T0_DpT1_.num_named_barrier, 0
	.set _ZN2at6native12_GLOBAL__N_125multi_tensor_apply_kernelINS1_18TensorListMetadataILi1EEENS1_21BinaryOpScalarFunctorIdLi1ELi1ELi0EEEJSt4plusIdEdEEEvT_T0_DpT1_.private_seg_size, 0
	.set _ZN2at6native12_GLOBAL__N_125multi_tensor_apply_kernelINS1_18TensorListMetadataILi1EEENS1_21BinaryOpScalarFunctorIdLi1ELi1ELi0EEEJSt4plusIdEdEEEvT_T0_DpT1_.uses_vcc, 1
	.set _ZN2at6native12_GLOBAL__N_125multi_tensor_apply_kernelINS1_18TensorListMetadataILi1EEENS1_21BinaryOpScalarFunctorIdLi1ELi1ELi0EEEJSt4plusIdEdEEEvT_T0_DpT1_.uses_flat_scratch, 0
	.set _ZN2at6native12_GLOBAL__N_125multi_tensor_apply_kernelINS1_18TensorListMetadataILi1EEENS1_21BinaryOpScalarFunctorIdLi1ELi1ELi0EEEJSt4plusIdEdEEEvT_T0_DpT1_.has_dyn_sized_stack, 0
	.set _ZN2at6native12_GLOBAL__N_125multi_tensor_apply_kernelINS1_18TensorListMetadataILi1EEENS1_21BinaryOpScalarFunctorIdLi1ELi1ELi0EEEJSt4plusIdEdEEEvT_T0_DpT1_.has_recursion, 0
	.set _ZN2at6native12_GLOBAL__N_125multi_tensor_apply_kernelINS1_18TensorListMetadataILi1EEENS1_21BinaryOpScalarFunctorIdLi1ELi1ELi0EEEJSt4plusIdEdEEEvT_T0_DpT1_.has_indirect_call, 0
	.section	.AMDGPU.csdata,"",@progbits
; Kernel info:
; codeLenInByte = 972
; TotalNumSgprs: 35
; NumVgprs: 26
; NumAgprs: 0
; TotalNumVgprs: 26
; ScratchSize: 0
; MemoryBound: 0
; FloatMode: 240
; IeeeMode: 1
; LDSByteSize: 0 bytes/workgroup (compile time only)
; SGPRBlocks: 4
; VGPRBlocks: 3
; NumSGPRsForWavesPerEU: 35
; NumVGPRsForWavesPerEU: 26
; AccumOffset: 28
; Occupancy: 8
; WaveLimiterHint : 0
; COMPUTE_PGM_RSRC2:SCRATCH_EN: 0
; COMPUTE_PGM_RSRC2:USER_SGPR: 2
; COMPUTE_PGM_RSRC2:TRAP_HANDLER: 0
; COMPUTE_PGM_RSRC2:TGID_X_EN: 1
; COMPUTE_PGM_RSRC2:TGID_Y_EN: 0
; COMPUTE_PGM_RSRC2:TGID_Z_EN: 0
; COMPUTE_PGM_RSRC2:TIDIG_COMP_CNT: 0
; COMPUTE_PGM_RSRC3_GFX90A:ACCUM_OFFSET: 6
; COMPUTE_PGM_RSRC3_GFX90A:TG_SPLIT: 0
	.section	.text._ZN2at6native12_GLOBAL__N_125multi_tensor_apply_kernelINS1_18TensorListMetadataILi1EEENS1_21BinaryOpScalarFunctorIfLi1ELi1ELi0EEEJSt4plusIfEfEEEvT_T0_DpT1_,"axG",@progbits,_ZN2at6native12_GLOBAL__N_125multi_tensor_apply_kernelINS1_18TensorListMetadataILi1EEENS1_21BinaryOpScalarFunctorIfLi1ELi1ELi0EEEJSt4plusIfEfEEEvT_T0_DpT1_,comdat
	.globl	_ZN2at6native12_GLOBAL__N_125multi_tensor_apply_kernelINS1_18TensorListMetadataILi1EEENS1_21BinaryOpScalarFunctorIfLi1ELi1ELi0EEEJSt4plusIfEfEEEvT_T0_DpT1_ ; -- Begin function _ZN2at6native12_GLOBAL__N_125multi_tensor_apply_kernelINS1_18TensorListMetadataILi1EEENS1_21BinaryOpScalarFunctorIfLi1ELi1ELi0EEEJSt4plusIfEfEEEvT_T0_DpT1_
	.p2align	8
	.type	_ZN2at6native12_GLOBAL__N_125multi_tensor_apply_kernelINS1_18TensorListMetadataILi1EEENS1_21BinaryOpScalarFunctorIfLi1ELi1ELi0EEEJSt4plusIfEfEEEvT_T0_DpT1_,@function
_ZN2at6native12_GLOBAL__N_125multi_tensor_apply_kernelINS1_18TensorListMetadataILi1EEENS1_21BinaryOpScalarFunctorIfLi1ELi1ELi0EEEJSt4plusIfEfEEEvT_T0_DpT1_: ; @_ZN2at6native12_GLOBAL__N_125multi_tensor_apply_kernelINS1_18TensorListMetadataILi1EEENS1_21BinaryOpScalarFunctorIfLi1ELi1ELi0EEEJSt4plusIfEfEEEvT_T0_DpT1_
; %bb.0:
	v_mov_b32_e32 v1, s2
	global_load_ubyte v1, v1, s[0:1] offset:1760
	s_add_u32 s3, s0, s2
	s_mul_hi_u32 s4, s2, 3
	s_mul_i32 s2, s2, 3
	s_addc_u32 s5, s1, 0
	s_add_u32 s2, s3, s2
	s_addc_u32 s3, s5, s4
	s_load_dword s2, s[2:3], 0x820
	s_mov_b32 s7, 0
	s_waitcnt vmcnt(0)
	v_readfirstlane_b32 s3, v1
	s_lshl_b32 s3, s3, 3
	s_load_dword s10, s[0:1], 0xd2c
	s_load_dwordx2 s[4:5], s[0:1], s3 offset:0x370
	s_load_dwordx2 s[8:9], s[0:1], s3 offset:0x0
	s_waitcnt lgkmcnt(0)
	s_ashr_i32 s3, s2, 31
	s_lshl_b64 s[12:13], s[2:3], 18
	s_lshl_b64 s[2:3], s[2:3], 16
	s_and_b32 s6, s8, 15
	s_sub_u32 s14, s4, s2
	s_subb_u32 s15, s5, s3
	s_and_b32 s2, s4, 3
	s_mov_b32 s3, s7
	s_or_b64 s[2:3], s[6:7], s[2:3]
	s_cmp_eq_u64 s[2:3], 0
	s_cbranch_scc1 .LBB6_21
; %bb.1:
	v_cmp_lt_i64_e64 s[2:3], s[14:15], 1
	s_and_b64 vcc, exec, s[2:3]
	s_cbranch_vccnz .LBB6_20
; %bb.2:
	s_load_dword s2, s[0:1], 0xd3c
	v_mov_b64_e32 v[2:3], 0x10000
	v_cmp_lt_i64_e32 vcc, s[14:15], v[2:3]
	s_and_b64 s[4:5], vcc, exec
	s_cselect_b32 s5, s15, 0
	s_cselect_b32 s4, s14, 0x10000
	s_waitcnt lgkmcnt(0)
	s_and_b32 s2, s2, 0xffff
	v_cmp_lt_u64_e32 vcc, s[14:15], v[2:3]
	s_and_b64 s[6:7], vcc, exec
	s_mov_b32 s3, 0
	v_mov_b32_e32 v1, 0
	s_cselect_b32 s17, s15, 0
	s_cselect_b32 s16, s14, 0x10000
	s_lshl_b32 s6, s2, 1
	s_lshl_b32 s11, s2, 2
	s_add_u32 s24, s8, s12
	v_lshl_add_u64 v[8:9], v[0:1], 0, s[2:3]
	s_mov_b32 s7, s3
	s_mul_i32 s22, s2, 3
	s_mov_b32 s23, s3
	v_lshlrev_b32_e32 v2, 2, v0
	v_mov_b32_e32 v3, v1
	s_addc_u32 s25, s9, s13
	v_lshlrev_b32_e32 v10, 2, v8
	v_mov_b32_e32 v11, v1
	v_lshl_add_u64 v[2:3], s[24:25], 0, v[2:3]
	s_lshl_b32 s18, s2, 4
	s_mov_b32 s19, s3
	s_mul_i32 s20, s2, 12
	s_mov_b32 s21, s3
	v_lshl_add_u64 v[4:5], s[22:23], 0, v[0:1]
	s_lshl_b32 s22, s2, 3
	v_lshl_add_u64 v[6:7], s[6:7], 0, v[0:1]
	v_lshl_add_u64 v[10:11], s[24:25], 0, v[10:11]
	s_mov_b64 s[24:25], 0
	v_mov_b64_e32 v[12:13], s[4:5]
	s_branch .LBB6_4
.LBB6_3:                                ;   in Loop: Header=BB6_4 Depth=1
	s_or_b64 exec, exec, s[2:3]
	s_add_u32 s24, s24, s11
	s_addc_u32 s25, s25, 0
	v_cmp_lt_i64_e32 vcc, s[24:25], v[12:13]
	v_lshl_add_u64 v[2:3], v[2:3], 0, s[18:19]
	v_lshl_add_u64 v[10:11], v[10:11], 0, s[18:19]
	s_cbranch_vccz .LBB6_20
.LBB6_4:                                ; =>This Inner Loop Header: Depth=1
	v_lshl_add_u64 v[14:15], v[0:1], 0, s[24:25]
	v_cmp_gt_u64_e32 vcc, s[16:17], v[14:15]
	s_waitcnt vmcnt(0)
	v_mov_b32_e32 v19, 0
	s_and_saveexec_b64 s[2:3], vcc
	s_cbranch_execz .LBB6_6
; %bb.5:                                ;   in Loop: Header=BB6_4 Depth=1
	global_load_dword v19, v[2:3], off
.LBB6_6:                                ;   in Loop: Header=BB6_4 Depth=1
	s_or_b64 exec, exec, s[2:3]
	v_lshl_add_u64 v[14:15], v[8:9], 0, s[24:25]
	v_cmp_gt_u64_e64 s[2:3], s[16:17], v[14:15]
	v_mov_b32_e32 v18, 0
	v_mov_b32_e32 v20, 0
	s_and_saveexec_b64 s[4:5], s[2:3]
	s_cbranch_execz .LBB6_8
; %bb.7:                                ;   in Loop: Header=BB6_4 Depth=1
	global_load_dword v20, v[10:11], off
.LBB6_8:                                ;   in Loop: Header=BB6_4 Depth=1
	s_or_b64 exec, exec, s[4:5]
	v_lshl_add_u64 v[14:15], v[6:7], 0, s[24:25]
	v_cmp_gt_u64_e64 s[4:5], s[16:17], v[14:15]
	v_lshl_add_u64 v[14:15], v[2:3], 0, s[22:23]
	s_and_saveexec_b64 s[6:7], s[4:5]
	s_cbranch_execz .LBB6_10
; %bb.9:                                ;   in Loop: Header=BB6_4 Depth=1
	global_load_dword v18, v[14:15], off
.LBB6_10:                               ;   in Loop: Header=BB6_4 Depth=1
	s_or_b64 exec, exec, s[6:7]
	v_lshl_add_u64 v[16:17], v[4:5], 0, s[24:25]
	v_cmp_gt_u64_e64 s[6:7], s[16:17], v[16:17]
	v_mov_b32_e32 v21, 0
	v_lshl_add_u64 v[16:17], v[2:3], 0, s[20:21]
	s_and_saveexec_b64 s[26:27], s[6:7]
	s_cbranch_execnz .LBB6_15
; %bb.11:                               ;   in Loop: Header=BB6_4 Depth=1
	s_or_b64 exec, exec, s[26:27]
	s_and_saveexec_b64 s[26:27], vcc
	s_cbranch_execnz .LBB6_16
.LBB6_12:                               ;   in Loop: Header=BB6_4 Depth=1
	s_or_b64 exec, exec, s[26:27]
	s_and_saveexec_b64 s[26:27], s[2:3]
	s_cbranch_execnz .LBB6_17
.LBB6_13:                               ;   in Loop: Header=BB6_4 Depth=1
	s_or_b64 exec, exec, s[26:27]
	s_and_saveexec_b64 s[2:3], s[4:5]
	s_cbranch_execnz .LBB6_18
.LBB6_14:                               ;   in Loop: Header=BB6_4 Depth=1
	s_or_b64 exec, exec, s[2:3]
	s_and_saveexec_b64 s[2:3], s[6:7]
	s_cbranch_execz .LBB6_3
	s_branch .LBB6_19
.LBB6_15:                               ;   in Loop: Header=BB6_4 Depth=1
	global_load_dword v21, v[16:17], off
	s_or_b64 exec, exec, s[26:27]
	s_and_saveexec_b64 s[26:27], vcc
	s_cbranch_execz .LBB6_12
.LBB6_16:                               ;   in Loop: Header=BB6_4 Depth=1
	s_waitcnt vmcnt(0)
	v_add_f32_e32 v19, s10, v19
	global_store_dword v[2:3], v19, off
	s_or_b64 exec, exec, s[26:27]
	s_and_saveexec_b64 s[26:27], s[2:3]
	s_cbranch_execz .LBB6_13
.LBB6_17:                               ;   in Loop: Header=BB6_4 Depth=1
	s_waitcnt vmcnt(0)
	v_add_f32_e32 v19, s10, v20
	global_store_dword v[10:11], v19, off
	s_or_b64 exec, exec, s[26:27]
	s_and_saveexec_b64 s[2:3], s[4:5]
	s_cbranch_execz .LBB6_14
.LBB6_18:                               ;   in Loop: Header=BB6_4 Depth=1
	s_waitcnt vmcnt(0)
	v_add_f32_e32 v18, s10, v18
	global_store_dword v[14:15], v18, off
	s_or_b64 exec, exec, s[2:3]
	s_and_saveexec_b64 s[2:3], s[6:7]
	s_cbranch_execz .LBB6_3
.LBB6_19:                               ;   in Loop: Header=BB6_4 Depth=1
	s_waitcnt vmcnt(0)
	v_add_f32_e32 v14, s10, v21
	global_store_dword v[16:17], v14, off
	s_branch .LBB6_3
.LBB6_20:
	s_cbranch_execz .LBB6_22
	s_branch .LBB6_32
.LBB6_21:
.LBB6_22:
	v_mov_b64_e32 v[4:5], 0x10000
	v_cmp_lt_i64_e32 vcc, s[14:15], v[4:5]
	s_and_b64 s[2:3], vcc, exec
	v_mov_b32_e32 v3, 0
	s_cselect_b32 s3, s15, 0
	s_cselect_b32 s2, s14, 0x10000
	v_lshlrev_b32_e32 v2, 2, v0
	s_mov_b32 s4, 0
	v_cmp_gt_i64_e32 vcc, s[2:3], v[2:3]
	s_and_saveexec_b64 s[6:7], vcc
	s_cbranch_execz .LBB6_32
; %bb.23:
	v_add_u32_e32 v4, 4, v2
	v_mov_b32_e32 v5, v3
	v_mov_b32_e32 v6, s3
	v_cmp_gt_i64_e32 vcc, s[2:3], v[4:5]
	s_load_dword s0, s[0:1], 0xd3c
	v_mov_b32_e32 v1, v3
	v_cndmask_b32_e32 v5, 0, v6, vcc
	v_mov_b32_e32 v6, s2
	v_cndmask_b32_e32 v4, v4, v6, vcc
	v_lshl_add_u64 v[4:5], v[4:5], 0, -4
	v_cmp_ne_u64_e32 vcc, v[4:5], v[2:3]
	s_waitcnt lgkmcnt(0)
	s_and_b32 s0, s0, 0xffff
	v_mov_b32_e32 v7, s4
	v_cndmask_b32_e64 v6, 0, 1, vcc
	v_or_b32_e32 v2, v2, v6
	v_sub_co_u32_e32 v2, vcc, v4, v2
	s_cmp_lg_u32 s0, 1
	s_nop 0
	v_subbrev_co_u32_e32 v3, vcc, 0, v5, vcc
	v_lshrrev_b64 v[2:3], 2, v[2:3]
	v_lshl_add_u64 v[4:5], v[2:3], 0, v[6:7]
	v_cmp_eq_u64_e32 vcc, 0, v[4:5]
	s_cselect_b64 s[6:7], -1, 0
	s_mov_b64 s[4:5], 0
	s_or_b64 s[6:7], vcc, s[6:7]
	s_and_saveexec_b64 s[14:15], s[6:7]
	s_xor_b64 s[6:7], exec, s[14:15]
	s_cbranch_execnz .LBB6_26
; %bb.24:
	s_or_saveexec_b64 s[6:7], s[6:7]
	v_mov_b64_e32 v[2:3], s[10:11]
	s_xor_b64 exec, exec, s[6:7]
	s_cbranch_execnz .LBB6_27
.LBB6_25:
	s_or_b64 exec, exec, s[6:7]
	s_and_b64 exec, exec, s[4:5]
	s_cbranch_execnz .LBB6_30
	s_branch .LBB6_32
.LBB6_26:
	s_mov_b64 s[4:5], exec
                                        ; implicit-def: $vgpr4_vgpr5
	s_or_saveexec_b64 s[6:7], s[6:7]
	v_mov_b64_e32 v[2:3], s[10:11]
	s_xor_b64 exec, exec, s[6:7]
	s_cbranch_execz .LBB6_25
.LBB6_27:
	s_add_u32 s14, s8, s12
	v_lshl_add_u64 v[2:3], v[4:5], 0, 1
	v_lshlrev_b32_e32 v6, 4, v0
	v_mov_b32_e32 v7, 0
	s_addc_u32 s15, s9, s13
	v_and_b32_e32 v4, -2, v2
	v_mov_b32_e32 v5, v3
	v_lshl_add_u64 v[6:7], s[14:15], 0, v[6:7]
	s_mov_b32 s11, s10
	v_lshl_add_u64 v[6:7], v[6:7], 0, 28
	s_mov_b64 s[14:15], 0
	v_mov_b64_e32 v[8:9], v[4:5]
.LBB6_28:                               ; =>This Inner Loop Header: Depth=1
	global_load_dwordx4 v[10:13], v[6:7], off offset:-28
	global_load_dwordx4 v[14:17], v[6:7], off offset:-12
	v_lshl_add_u64 v[8:9], v[8:9], 0, -2
	v_cmp_eq_u64_e32 vcc, 0, v[8:9]
	s_or_b64 s[14:15], vcc, s[14:15]
	s_waitcnt vmcnt(1)
	v_mov_b32_e32 v18, v10
	s_waitcnt vmcnt(0)
	v_mov_b32_e32 v19, v14
	v_mov_b32_e32 v14, v11
	;; [unrolled: 1-line block ×5, first 2 shown]
	v_pk_add_f32 v[18:19], s[10:11], v[18:19]
	v_pk_add_f32 v[10:11], s[10:11], v[14:15]
	;; [unrolled: 1-line block ×4, first 2 shown]
	v_mov_b32_e32 v14, v18
	v_mov_b32_e32 v15, v10
	v_mov_b32_e32 v16, v20
	v_mov_b32_e32 v17, v12
	v_mov_b32_e32 v10, v19
	v_mov_b32_e32 v12, v21
	global_store_dwordx4 v[6:7], v[14:17], off offset:-28
	global_store_dwordx4 v[6:7], v[10:13], off offset:-12
	v_lshl_add_u64 v[6:7], v[6:7], 0, 32
	s_andn2_b64 exec, exec, s[14:15]
	s_cbranch_execnz .LBB6_28
; %bb.29:
	s_or_b64 exec, exec, s[14:15]
	v_cmp_ne_u64_e32 vcc, v[2:3], v[4:5]
	s_andn2_b64 s[4:5], s[4:5], exec
	s_and_b64 s[14:15], vcc, exec
	v_lshl_add_u64 v[0:1], v[4:5], 0, v[0:1]
	v_mov_b64_e32 v[2:3], s[10:11]
	s_or_b64 s[4:5], s[4:5], s[14:15]
	s_or_b64 exec, exec, s[6:7]
	s_and_b64 exec, exec, s[4:5]
	s_cbranch_execz .LBB6_32
.LBB6_30:
	s_add_u32 s4, s8, s12
	s_addc_u32 s5, s9, s13
	s_mov_b32 s1, 0
	v_lshl_add_u64 v[4:5], v[0:1], 4, s[4:5]
	v_mov_b32_e32 v3, s10
	v_lshl_add_u64 v[4:5], v[4:5], 0, 8
	s_lshl_b32 s4, s0, 4
	s_mov_b32 s5, s1
	s_mov_b64 s[6:7], 0
.LBB6_31:                               ; =>This Inner Loop Header: Depth=1
	global_load_dwordx4 v[6:9], v[4:5], off offset:-8
	v_lshl_add_u64 v[0:1], v[0:1], 0, s[0:1]
	v_lshlrev_b64 v[10:11], 2, v[0:1]
	v_cmp_le_i64_e32 vcc, s[2:3], v[10:11]
	s_or_b64 s[6:7], vcc, s[6:7]
	s_waitcnt vmcnt(0)
	v_pk_add_f32 v[6:7], v[2:3], v[6:7]
	v_pk_add_f32 v[8:9], v[2:3], v[8:9]
	global_store_dwordx4 v[4:5], v[6:9], off offset:-8
	v_lshl_add_u64 v[4:5], v[4:5], 0, s[4:5]
	s_andn2_b64 exec, exec, s[6:7]
	s_cbranch_execnz .LBB6_31
.LBB6_32:
	s_endpgm
	.section	.rodata,"a",@progbits
	.p2align	6, 0x0
	.amdhsa_kernel _ZN2at6native12_GLOBAL__N_125multi_tensor_apply_kernelINS1_18TensorListMetadataILi1EEENS1_21BinaryOpScalarFunctorIfLi1ELi1ELi0EEEJSt4plusIfEfEEEvT_T0_DpT1_
		.amdhsa_group_segment_fixed_size 0
		.amdhsa_private_segment_fixed_size 0
		.amdhsa_kernarg_size 3632
		.amdhsa_user_sgpr_count 2
		.amdhsa_user_sgpr_dispatch_ptr 0
		.amdhsa_user_sgpr_queue_ptr 0
		.amdhsa_user_sgpr_kernarg_segment_ptr 1
		.amdhsa_user_sgpr_dispatch_id 0
		.amdhsa_user_sgpr_kernarg_preload_length 0
		.amdhsa_user_sgpr_kernarg_preload_offset 0
		.amdhsa_user_sgpr_private_segment_size 0
		.amdhsa_uses_dynamic_stack 0
		.amdhsa_enable_private_segment 0
		.amdhsa_system_sgpr_workgroup_id_x 1
		.amdhsa_system_sgpr_workgroup_id_y 0
		.amdhsa_system_sgpr_workgroup_id_z 0
		.amdhsa_system_sgpr_workgroup_info 0
		.amdhsa_system_vgpr_workitem_id 0
		.amdhsa_next_free_vgpr 22
		.amdhsa_next_free_sgpr 28
		.amdhsa_accum_offset 24
		.amdhsa_reserve_vcc 1
		.amdhsa_float_round_mode_32 0
		.amdhsa_float_round_mode_16_64 0
		.amdhsa_float_denorm_mode_32 3
		.amdhsa_float_denorm_mode_16_64 3
		.amdhsa_dx10_clamp 1
		.amdhsa_ieee_mode 1
		.amdhsa_fp16_overflow 0
		.amdhsa_tg_split 0
		.amdhsa_exception_fp_ieee_invalid_op 0
		.amdhsa_exception_fp_denorm_src 0
		.amdhsa_exception_fp_ieee_div_zero 0
		.amdhsa_exception_fp_ieee_overflow 0
		.amdhsa_exception_fp_ieee_underflow 0
		.amdhsa_exception_fp_ieee_inexact 0
		.amdhsa_exception_int_div_zero 0
	.end_amdhsa_kernel
	.section	.text._ZN2at6native12_GLOBAL__N_125multi_tensor_apply_kernelINS1_18TensorListMetadataILi1EEENS1_21BinaryOpScalarFunctorIfLi1ELi1ELi0EEEJSt4plusIfEfEEEvT_T0_DpT1_,"axG",@progbits,_ZN2at6native12_GLOBAL__N_125multi_tensor_apply_kernelINS1_18TensorListMetadataILi1EEENS1_21BinaryOpScalarFunctorIfLi1ELi1ELi0EEEJSt4plusIfEfEEEvT_T0_DpT1_,comdat
.Lfunc_end6:
	.size	_ZN2at6native12_GLOBAL__N_125multi_tensor_apply_kernelINS1_18TensorListMetadataILi1EEENS1_21BinaryOpScalarFunctorIfLi1ELi1ELi0EEEJSt4plusIfEfEEEvT_T0_DpT1_, .Lfunc_end6-_ZN2at6native12_GLOBAL__N_125multi_tensor_apply_kernelINS1_18TensorListMetadataILi1EEENS1_21BinaryOpScalarFunctorIfLi1ELi1ELi0EEEJSt4plusIfEfEEEvT_T0_DpT1_
                                        ; -- End function
	.set _ZN2at6native12_GLOBAL__N_125multi_tensor_apply_kernelINS1_18TensorListMetadataILi1EEENS1_21BinaryOpScalarFunctorIfLi1ELi1ELi0EEEJSt4plusIfEfEEEvT_T0_DpT1_.num_vgpr, 22
	.set _ZN2at6native12_GLOBAL__N_125multi_tensor_apply_kernelINS1_18TensorListMetadataILi1EEENS1_21BinaryOpScalarFunctorIfLi1ELi1ELi0EEEJSt4plusIfEfEEEvT_T0_DpT1_.num_agpr, 0
	.set _ZN2at6native12_GLOBAL__N_125multi_tensor_apply_kernelINS1_18TensorListMetadataILi1EEENS1_21BinaryOpScalarFunctorIfLi1ELi1ELi0EEEJSt4plusIfEfEEEvT_T0_DpT1_.numbered_sgpr, 28
	.set _ZN2at6native12_GLOBAL__N_125multi_tensor_apply_kernelINS1_18TensorListMetadataILi1EEENS1_21BinaryOpScalarFunctorIfLi1ELi1ELi0EEEJSt4plusIfEfEEEvT_T0_DpT1_.num_named_barrier, 0
	.set _ZN2at6native12_GLOBAL__N_125multi_tensor_apply_kernelINS1_18TensorListMetadataILi1EEENS1_21BinaryOpScalarFunctorIfLi1ELi1ELi0EEEJSt4plusIfEfEEEvT_T0_DpT1_.private_seg_size, 0
	.set _ZN2at6native12_GLOBAL__N_125multi_tensor_apply_kernelINS1_18TensorListMetadataILi1EEENS1_21BinaryOpScalarFunctorIfLi1ELi1ELi0EEEJSt4plusIfEfEEEvT_T0_DpT1_.uses_vcc, 1
	.set _ZN2at6native12_GLOBAL__N_125multi_tensor_apply_kernelINS1_18TensorListMetadataILi1EEENS1_21BinaryOpScalarFunctorIfLi1ELi1ELi0EEEJSt4plusIfEfEEEvT_T0_DpT1_.uses_flat_scratch, 0
	.set _ZN2at6native12_GLOBAL__N_125multi_tensor_apply_kernelINS1_18TensorListMetadataILi1EEENS1_21BinaryOpScalarFunctorIfLi1ELi1ELi0EEEJSt4plusIfEfEEEvT_T0_DpT1_.has_dyn_sized_stack, 0
	.set _ZN2at6native12_GLOBAL__N_125multi_tensor_apply_kernelINS1_18TensorListMetadataILi1EEENS1_21BinaryOpScalarFunctorIfLi1ELi1ELi0EEEJSt4plusIfEfEEEvT_T0_DpT1_.has_recursion, 0
	.set _ZN2at6native12_GLOBAL__N_125multi_tensor_apply_kernelINS1_18TensorListMetadataILi1EEENS1_21BinaryOpScalarFunctorIfLi1ELi1ELi0EEEJSt4plusIfEfEEEvT_T0_DpT1_.has_indirect_call, 0
	.section	.AMDGPU.csdata,"",@progbits
; Kernel info:
; codeLenInByte = 1348
; TotalNumSgprs: 34
; NumVgprs: 22
; NumAgprs: 0
; TotalNumVgprs: 22
; ScratchSize: 0
; MemoryBound: 0
; FloatMode: 240
; IeeeMode: 1
; LDSByteSize: 0 bytes/workgroup (compile time only)
; SGPRBlocks: 4
; VGPRBlocks: 2
; NumSGPRsForWavesPerEU: 34
; NumVGPRsForWavesPerEU: 22
; AccumOffset: 24
; Occupancy: 8
; WaveLimiterHint : 0
; COMPUTE_PGM_RSRC2:SCRATCH_EN: 0
; COMPUTE_PGM_RSRC2:USER_SGPR: 2
; COMPUTE_PGM_RSRC2:TRAP_HANDLER: 0
; COMPUTE_PGM_RSRC2:TGID_X_EN: 1
; COMPUTE_PGM_RSRC2:TGID_Y_EN: 0
; COMPUTE_PGM_RSRC2:TGID_Z_EN: 0
; COMPUTE_PGM_RSRC2:TIDIG_COMP_CNT: 0
; COMPUTE_PGM_RSRC3_GFX90A:ACCUM_OFFSET: 5
; COMPUTE_PGM_RSRC3_GFX90A:TG_SPLIT: 0
	.section	.text._ZN2at6native12_GLOBAL__N_125multi_tensor_apply_kernelINS1_18TensorListMetadataILi1EEENS1_21BinaryOpScalarFunctorIN3c107complexIdEELi1ELi1ELi0EEEJSt4plusIS8_ES8_EEEvT_T0_DpT1_,"axG",@progbits,_ZN2at6native12_GLOBAL__N_125multi_tensor_apply_kernelINS1_18TensorListMetadataILi1EEENS1_21BinaryOpScalarFunctorIN3c107complexIdEELi1ELi1ELi0EEEJSt4plusIS8_ES8_EEEvT_T0_DpT1_,comdat
	.globl	_ZN2at6native12_GLOBAL__N_125multi_tensor_apply_kernelINS1_18TensorListMetadataILi1EEENS1_21BinaryOpScalarFunctorIN3c107complexIdEELi1ELi1ELi0EEEJSt4plusIS8_ES8_EEEvT_T0_DpT1_ ; -- Begin function _ZN2at6native12_GLOBAL__N_125multi_tensor_apply_kernelINS1_18TensorListMetadataILi1EEENS1_21BinaryOpScalarFunctorIN3c107complexIdEELi1ELi1ELi0EEEJSt4plusIS8_ES8_EEEvT_T0_DpT1_
	.p2align	8
	.type	_ZN2at6native12_GLOBAL__N_125multi_tensor_apply_kernelINS1_18TensorListMetadataILi1EEENS1_21BinaryOpScalarFunctorIN3c107complexIdEELi1ELi1ELi0EEEJSt4plusIS8_ES8_EEEvT_T0_DpT1_,@function
_ZN2at6native12_GLOBAL__N_125multi_tensor_apply_kernelINS1_18TensorListMetadataILi1EEENS1_21BinaryOpScalarFunctorIN3c107complexIdEELi1ELi1ELi0EEEJSt4plusIS8_ES8_EEEvT_T0_DpT1_: ; @_ZN2at6native12_GLOBAL__N_125multi_tensor_apply_kernelINS1_18TensorListMetadataILi1EEENS1_21BinaryOpScalarFunctorIN3c107complexIdEELi1ELi1ELi0EEEJSt4plusIS8_ES8_EEEvT_T0_DpT1_
; %bb.0:
	v_mov_b32_e32 v1, s2
	global_load_ubyte v1, v1, s[0:1] offset:1760
	s_add_u32 s3, s0, s2
	s_mul_hi_u32 s4, s2, 3
	s_mul_i32 s2, s2, 3
	s_addc_u32 s5, s1, 0
	s_add_u32 s2, s3, s2
	s_addc_u32 s3, s5, s4
	s_load_dwordx4 s[8:11], s[0:1], 0xd30
	s_load_dword s4, s[2:3], 0x820
	s_mov_b32 s7, 0
	s_waitcnt vmcnt(0)
	v_readfirstlane_b32 s2, v1
	s_lshl_b32 s5, s2, 3
	s_load_dwordx2 s[12:13], s[0:1], s5 offset:0x0
	s_load_dwordx2 s[2:3], s[0:1], s5 offset:0x370
	s_waitcnt lgkmcnt(0)
	s_ashr_i32 s5, s4, 31
	s_lshl_b64 s[14:15], s[4:5], 20
	s_add_u32 s18, s12, s14
	s_addc_u32 s19, s13, s15
	s_and_b32 s6, s18, 63
	s_lshl_b64 s[4:5], s[4:5], 16
	s_sub_u32 s16, s2, s4
	s_subb_u32 s17, s3, s5
	s_and_b32 s2, s2, 3
	s_mov_b32 s3, s7
	s_or_b64 s[2:3], s[6:7], s[2:3]
	s_cmp_eq_u64 s[2:3], 0
	s_cbranch_scc1 .LBB7_21
; %bb.1:
	v_cmp_lt_i64_e64 s[2:3], s[16:17], 1
	s_and_b64 vcc, exec, s[2:3]
	s_cbranch_vccnz .LBB7_20
; %bb.2:
	s_load_dword s2, s[0:1], 0xd4c
	v_mov_b64_e32 v[2:3], 0x10000
	v_cmp_lt_i64_e32 vcc, s[16:17], v[2:3]
	s_and_b64 s[4:5], vcc, exec
	s_cselect_b32 s21, s17, 0
	s_cselect_b32 s20, s16, 0x10000
	v_mov_b32_e32 v1, 0
	s_waitcnt lgkmcnt(0)
	s_and_b32 s2, s2, 0xffff
	v_cmp_lt_u64_e32 vcc, s[16:17], v[2:3]
	s_mov_b32 s3, 0
	s_and_b64 s[4:5], vcc, exec
	v_lshlrev_b32_e32 v18, 4, v0
	v_mov_b32_e32 v19, v1
	s_cselect_b32 s23, s17, 0
	s_cselect_b32 s22, s16, 0x10000
	s_lshl_b32 s4, s2, 1
	s_mul_i32 s6, s2, 3
	s_lshl_b32 s28, s2, 2
	s_lshl_b32 s29, s2, 6
	v_lshl_add_u64 v[20:21], v[0:1], 0, s[2:3]
	v_mad_u64_u32 v[22:23], s[24:25], s2, 48, v[18:19]
	s_lshl_b32 s2, s2, 5
	s_mov_b32 s5, s3
	s_mov_b32 s7, s3
	v_lshl_add_u64 v[28:29], s[2:3], 0, v[18:19]
	v_or_b32_e32 v22, 8, v22
	v_lshl_add_u64 v[24:25], s[6:7], 0, v[0:1]
	v_lshlrev_b32_e32 v26, 4, v20
	v_mov_b32_e32 v27, v1
	v_or_b32_e32 v28, 8, v28
	v_lshl_add_u64 v[30:31], s[4:5], 0, v[0:1]
	s_mov_b64 s[24:25], 0
	s_branch .LBB7_4
.LBB7_3:                                ;   in Loop: Header=BB7_4 Depth=1
	s_or_b64 exec, exec, s[2:3]
	s_add_u32 s24, s24, s28
	s_addc_u32 s25, s25, 0
	s_waitcnt vmcnt(0)
	v_mov_b64_e32 v[2:3], s[20:21]
	s_add_u32 s18, s18, s29
	v_cmp_lt_i64_e32 vcc, s[24:25], v[2:3]
	s_addc_u32 s19, s19, 0
	s_cbranch_vccz .LBB7_20
.LBB7_4:                                ; =>This Inner Loop Header: Depth=1
	v_lshl_add_u64 v[2:3], v[0:1], 0, s[24:25]
	v_cmp_gt_u64_e32 vcc, s[22:23], v[2:3]
	v_mov_b64_e32 v[4:5], 0
	v_lshl_add_u64 v[32:33], s[18:19], 0, v[18:19]
	v_mov_b64_e32 v[8:9], 0
	v_mov_b64_e32 v[6:7], 0
	s_and_saveexec_b64 s[2:3], vcc
	s_cbranch_execz .LBB7_6
; %bb.5:                                ;   in Loop: Header=BB7_4 Depth=1
	global_load_dwordx4 v[6:9], v[32:33], off
.LBB7_6:                                ;   in Loop: Header=BB7_4 Depth=1
	s_or_b64 exec, exec, s[2:3]
	v_lshl_add_u64 v[2:3], v[20:21], 0, s[24:25]
	v_cmp_gt_u64_e64 s[2:3], s[22:23], v[2:3]
	v_lshl_add_u64 v[34:35], s[18:19], 0, v[26:27]
	v_mov_b64_e32 v[2:3], 0
	s_and_saveexec_b64 s[4:5], s[2:3]
	s_cbranch_execz .LBB7_8
; %bb.7:                                ;   in Loop: Header=BB7_4 Depth=1
	global_load_dwordx4 v[2:5], v[34:35], off
.LBB7_8:                                ;   in Loop: Header=BB7_4 Depth=1
	s_or_b64 exec, exec, s[4:5]
	v_lshl_add_u64 v[10:11], v[30:31], 0, s[24:25]
	v_cmp_gt_u64_e64 s[4:5], s[22:23], v[10:11]
	v_mov_b64_e32 v[12:13], 0
	v_lshl_add_u64 v[36:37], s[18:19], 0, v[28:29]
	v_mov_b64_e32 v[16:17], 0
	v_mov_b64_e32 v[14:15], 0
	s_and_saveexec_b64 s[6:7], s[4:5]
	s_cbranch_execz .LBB7_10
; %bb.9:                                ;   in Loop: Header=BB7_4 Depth=1
	global_load_dwordx4 v[14:17], v[36:37], off offset:-8
.LBB7_10:                               ;   in Loop: Header=BB7_4 Depth=1
	s_or_b64 exec, exec, s[6:7]
	v_lshl_add_u64 v[10:11], v[24:25], 0, s[24:25]
	v_cmp_gt_u64_e64 s[6:7], s[22:23], v[10:11]
	v_lshl_add_u64 v[38:39], s[18:19], 0, v[22:23]
	v_mov_b64_e32 v[10:11], 0
	s_and_saveexec_b64 s[26:27], s[6:7]
	s_cbranch_execnz .LBB7_15
; %bb.11:                               ;   in Loop: Header=BB7_4 Depth=1
	s_or_b64 exec, exec, s[26:27]
	s_and_saveexec_b64 s[26:27], vcc
	s_cbranch_execnz .LBB7_16
.LBB7_12:                               ;   in Loop: Header=BB7_4 Depth=1
	s_or_b64 exec, exec, s[26:27]
	s_and_saveexec_b64 s[26:27], s[2:3]
	s_cbranch_execnz .LBB7_17
.LBB7_13:                               ;   in Loop: Header=BB7_4 Depth=1
	s_or_b64 exec, exec, s[26:27]
	s_and_saveexec_b64 s[2:3], s[4:5]
	s_cbranch_execnz .LBB7_18
.LBB7_14:                               ;   in Loop: Header=BB7_4 Depth=1
	s_or_b64 exec, exec, s[2:3]
	s_and_saveexec_b64 s[2:3], s[6:7]
	s_cbranch_execz .LBB7_3
	s_branch .LBB7_19
.LBB7_15:                               ;   in Loop: Header=BB7_4 Depth=1
	global_load_dwordx4 v[10:13], v[38:39], off offset:-8
	s_or_b64 exec, exec, s[26:27]
	s_and_saveexec_b64 s[26:27], vcc
	s_cbranch_execz .LBB7_12
.LBB7_16:                               ;   in Loop: Header=BB7_4 Depth=1
	s_waitcnt vmcnt(0)
	v_add_f64 v[6:7], s[8:9], v[6:7]
	v_add_f64 v[8:9], s[10:11], v[8:9]
	global_store_dwordx4 v[32:33], v[6:9], off
	s_or_b64 exec, exec, s[26:27]
	s_and_saveexec_b64 s[26:27], s[2:3]
	s_cbranch_execz .LBB7_13
.LBB7_17:                               ;   in Loop: Header=BB7_4 Depth=1
	s_waitcnt vmcnt(0)
	v_add_f64 v[2:3], s[8:9], v[2:3]
	v_add_f64 v[4:5], s[10:11], v[4:5]
	global_store_dwordx4 v[34:35], v[2:5], off
	s_or_b64 exec, exec, s[26:27]
	s_and_saveexec_b64 s[2:3], s[4:5]
	s_cbranch_execz .LBB7_14
.LBB7_18:                               ;   in Loop: Header=BB7_4 Depth=1
	s_waitcnt vmcnt(0)
	v_add_f64 v[2:3], s[8:9], v[14:15]
	v_add_f64 v[4:5], s[10:11], v[16:17]
	global_store_dwordx4 v[36:37], v[2:5], off offset:-8
	s_or_b64 exec, exec, s[2:3]
	s_and_saveexec_b64 s[2:3], s[6:7]
	s_cbranch_execz .LBB7_3
.LBB7_19:                               ;   in Loop: Header=BB7_4 Depth=1
	s_waitcnt vmcnt(0)
	v_add_f64 v[2:3], s[8:9], v[10:11]
	v_add_f64 v[4:5], s[10:11], v[12:13]
	global_store_dwordx4 v[38:39], v[2:5], off offset:-8
	s_branch .LBB7_3
.LBB7_20:
	s_cbranch_execz .LBB7_22
	s_branch .LBB7_25
.LBB7_21:
.LBB7_22:
	v_mov_b64_e32 v[4:5], 0x10000
	v_cmp_lt_i64_e32 vcc, s[16:17], v[4:5]
	s_and_b64 s[4:5], vcc, exec
	v_mov_b32_e32 v3, 0
	s_cselect_b32 s5, s17, 0
	s_cselect_b32 s4, s16, 0x10000
	v_lshlrev_b32_e32 v2, 2, v0
	s_mov_b32 s3, 0
	v_cmp_gt_i64_e32 vcc, s[4:5], v[2:3]
	s_and_saveexec_b64 s[6:7], vcc
	s_cbranch_execz .LBB7_25
; %bb.23:
	s_load_dword s0, s[0:1], 0xd4c
	v_lshlrev_b32_e32 v2, 6, v0
	v_mov_b32_e32 v1, v3
	s_mov_b32 s1, s3
	s_waitcnt lgkmcnt(0)
	s_and_b32 s2, s0, 0xffff
	s_add_u32 s6, s12, s14
	s_addc_u32 s7, s13, s15
	s_lshl_b32 s0, s2, 6
	v_lshl_add_u64 v[2:3], s[6:7], 0, v[2:3]
	s_mov_b64 s[6:7], 0
.LBB7_24:                               ; =>This Inner Loop Header: Depth=1
	global_load_dwordx4 v[4:7], v[2:3], off
	global_load_dwordx4 v[8:11], v[2:3], off offset:16
	global_load_dwordx4 v[12:15], v[2:3], off offset:32
	;; [unrolled: 1-line block ×3, first 2 shown]
	v_lshl_add_u64 v[0:1], v[0:1], 0, s[2:3]
	v_lshlrev_b64 v[20:21], 2, v[0:1]
	v_cmp_le_i64_e32 vcc, s[4:5], v[20:21]
	s_or_b64 s[6:7], vcc, s[6:7]
	s_waitcnt vmcnt(3)
	v_add_f64 v[4:5], s[8:9], v[4:5]
	v_add_f64 v[6:7], s[10:11], v[6:7]
	s_waitcnt vmcnt(2)
	v_add_f64 v[8:9], s[8:9], v[8:9]
	v_add_f64 v[10:11], s[10:11], v[10:11]
	;; [unrolled: 3-line block ×4, first 2 shown]
	global_store_dwordx4 v[2:3], v[4:7], off
	global_store_dwordx4 v[2:3], v[8:11], off offset:16
	global_store_dwordx4 v[2:3], v[12:15], off offset:32
	;; [unrolled: 1-line block ×3, first 2 shown]
	v_lshl_add_u64 v[2:3], v[2:3], 0, s[0:1]
	s_andn2_b64 exec, exec, s[6:7]
	s_cbranch_execnz .LBB7_24
.LBB7_25:
	s_endpgm
	.section	.rodata,"a",@progbits
	.p2align	6, 0x0
	.amdhsa_kernel _ZN2at6native12_GLOBAL__N_125multi_tensor_apply_kernelINS1_18TensorListMetadataILi1EEENS1_21BinaryOpScalarFunctorIN3c107complexIdEELi1ELi1ELi0EEEJSt4plusIS8_ES8_EEEvT_T0_DpT1_
		.amdhsa_group_segment_fixed_size 0
		.amdhsa_private_segment_fixed_size 0
		.amdhsa_kernarg_size 3648
		.amdhsa_user_sgpr_count 2
		.amdhsa_user_sgpr_dispatch_ptr 0
		.amdhsa_user_sgpr_queue_ptr 0
		.amdhsa_user_sgpr_kernarg_segment_ptr 1
		.amdhsa_user_sgpr_dispatch_id 0
		.amdhsa_user_sgpr_kernarg_preload_length 0
		.amdhsa_user_sgpr_kernarg_preload_offset 0
		.amdhsa_user_sgpr_private_segment_size 0
		.amdhsa_uses_dynamic_stack 0
		.amdhsa_enable_private_segment 0
		.amdhsa_system_sgpr_workgroup_id_x 1
		.amdhsa_system_sgpr_workgroup_id_y 0
		.amdhsa_system_sgpr_workgroup_id_z 0
		.amdhsa_system_sgpr_workgroup_info 0
		.amdhsa_system_vgpr_workitem_id 0
		.amdhsa_next_free_vgpr 40
		.amdhsa_next_free_sgpr 30
		.amdhsa_accum_offset 40
		.amdhsa_reserve_vcc 1
		.amdhsa_float_round_mode_32 0
		.amdhsa_float_round_mode_16_64 0
		.amdhsa_float_denorm_mode_32 3
		.amdhsa_float_denorm_mode_16_64 3
		.amdhsa_dx10_clamp 1
		.amdhsa_ieee_mode 1
		.amdhsa_fp16_overflow 0
		.amdhsa_tg_split 0
		.amdhsa_exception_fp_ieee_invalid_op 0
		.amdhsa_exception_fp_denorm_src 0
		.amdhsa_exception_fp_ieee_div_zero 0
		.amdhsa_exception_fp_ieee_overflow 0
		.amdhsa_exception_fp_ieee_underflow 0
		.amdhsa_exception_fp_ieee_inexact 0
		.amdhsa_exception_int_div_zero 0
	.end_amdhsa_kernel
	.section	.text._ZN2at6native12_GLOBAL__N_125multi_tensor_apply_kernelINS1_18TensorListMetadataILi1EEENS1_21BinaryOpScalarFunctorIN3c107complexIdEELi1ELi1ELi0EEEJSt4plusIS8_ES8_EEEvT_T0_DpT1_,"axG",@progbits,_ZN2at6native12_GLOBAL__N_125multi_tensor_apply_kernelINS1_18TensorListMetadataILi1EEENS1_21BinaryOpScalarFunctorIN3c107complexIdEELi1ELi1ELi0EEEJSt4plusIS8_ES8_EEEvT_T0_DpT1_,comdat
.Lfunc_end7:
	.size	_ZN2at6native12_GLOBAL__N_125multi_tensor_apply_kernelINS1_18TensorListMetadataILi1EEENS1_21BinaryOpScalarFunctorIN3c107complexIdEELi1ELi1ELi0EEEJSt4plusIS8_ES8_EEEvT_T0_DpT1_, .Lfunc_end7-_ZN2at6native12_GLOBAL__N_125multi_tensor_apply_kernelINS1_18TensorListMetadataILi1EEENS1_21BinaryOpScalarFunctorIN3c107complexIdEELi1ELi1ELi0EEEJSt4plusIS8_ES8_EEEvT_T0_DpT1_
                                        ; -- End function
	.set _ZN2at6native12_GLOBAL__N_125multi_tensor_apply_kernelINS1_18TensorListMetadataILi1EEENS1_21BinaryOpScalarFunctorIN3c107complexIdEELi1ELi1ELi0EEEJSt4plusIS8_ES8_EEEvT_T0_DpT1_.num_vgpr, 40
	.set _ZN2at6native12_GLOBAL__N_125multi_tensor_apply_kernelINS1_18TensorListMetadataILi1EEENS1_21BinaryOpScalarFunctorIN3c107complexIdEELi1ELi1ELi0EEEJSt4plusIS8_ES8_EEEvT_T0_DpT1_.num_agpr, 0
	.set _ZN2at6native12_GLOBAL__N_125multi_tensor_apply_kernelINS1_18TensorListMetadataILi1EEENS1_21BinaryOpScalarFunctorIN3c107complexIdEELi1ELi1ELi0EEEJSt4plusIS8_ES8_EEEvT_T0_DpT1_.numbered_sgpr, 30
	.set _ZN2at6native12_GLOBAL__N_125multi_tensor_apply_kernelINS1_18TensorListMetadataILi1EEENS1_21BinaryOpScalarFunctorIN3c107complexIdEELi1ELi1ELi0EEEJSt4plusIS8_ES8_EEEvT_T0_DpT1_.num_named_barrier, 0
	.set _ZN2at6native12_GLOBAL__N_125multi_tensor_apply_kernelINS1_18TensorListMetadataILi1EEENS1_21BinaryOpScalarFunctorIN3c107complexIdEELi1ELi1ELi0EEEJSt4plusIS8_ES8_EEEvT_T0_DpT1_.private_seg_size, 0
	.set _ZN2at6native12_GLOBAL__N_125multi_tensor_apply_kernelINS1_18TensorListMetadataILi1EEENS1_21BinaryOpScalarFunctorIN3c107complexIdEELi1ELi1ELi0EEEJSt4plusIS8_ES8_EEEvT_T0_DpT1_.uses_vcc, 1
	.set _ZN2at6native12_GLOBAL__N_125multi_tensor_apply_kernelINS1_18TensorListMetadataILi1EEENS1_21BinaryOpScalarFunctorIN3c107complexIdEELi1ELi1ELi0EEEJSt4plusIS8_ES8_EEEvT_T0_DpT1_.uses_flat_scratch, 0
	.set _ZN2at6native12_GLOBAL__N_125multi_tensor_apply_kernelINS1_18TensorListMetadataILi1EEENS1_21BinaryOpScalarFunctorIN3c107complexIdEELi1ELi1ELi0EEEJSt4plusIS8_ES8_EEEvT_T0_DpT1_.has_dyn_sized_stack, 0
	.set _ZN2at6native12_GLOBAL__N_125multi_tensor_apply_kernelINS1_18TensorListMetadataILi1EEENS1_21BinaryOpScalarFunctorIN3c107complexIdEELi1ELi1ELi0EEEJSt4plusIS8_ES8_EEEvT_T0_DpT1_.has_recursion, 0
	.set _ZN2at6native12_GLOBAL__N_125multi_tensor_apply_kernelINS1_18TensorListMetadataILi1EEENS1_21BinaryOpScalarFunctorIN3c107complexIdEELi1ELi1ELi0EEEJSt4plusIS8_ES8_EEEvT_T0_DpT1_.has_indirect_call, 0
	.section	.AMDGPU.csdata,"",@progbits
; Kernel info:
; codeLenInByte = 1088
; TotalNumSgprs: 36
; NumVgprs: 40
; NumAgprs: 0
; TotalNumVgprs: 40
; ScratchSize: 0
; MemoryBound: 1
; FloatMode: 240
; IeeeMode: 1
; LDSByteSize: 0 bytes/workgroup (compile time only)
; SGPRBlocks: 4
; VGPRBlocks: 4
; NumSGPRsForWavesPerEU: 36
; NumVGPRsForWavesPerEU: 40
; AccumOffset: 40
; Occupancy: 8
; WaveLimiterHint : 0
; COMPUTE_PGM_RSRC2:SCRATCH_EN: 0
; COMPUTE_PGM_RSRC2:USER_SGPR: 2
; COMPUTE_PGM_RSRC2:TRAP_HANDLER: 0
; COMPUTE_PGM_RSRC2:TGID_X_EN: 1
; COMPUTE_PGM_RSRC2:TGID_Y_EN: 0
; COMPUTE_PGM_RSRC2:TGID_Z_EN: 0
; COMPUTE_PGM_RSRC2:TIDIG_COMP_CNT: 0
; COMPUTE_PGM_RSRC3_GFX90A:ACCUM_OFFSET: 9
; COMPUTE_PGM_RSRC3_GFX90A:TG_SPLIT: 0
	.section	.text._ZN2at6native12_GLOBAL__N_125multi_tensor_apply_kernelINS1_18TensorListMetadataILi1EEENS1_21BinaryOpScalarFunctorIN3c107complexIfEELi1ELi1ELi0EEEJSt4plusIS8_ES8_EEEvT_T0_DpT1_,"axG",@progbits,_ZN2at6native12_GLOBAL__N_125multi_tensor_apply_kernelINS1_18TensorListMetadataILi1EEENS1_21BinaryOpScalarFunctorIN3c107complexIfEELi1ELi1ELi0EEEJSt4plusIS8_ES8_EEEvT_T0_DpT1_,comdat
	.globl	_ZN2at6native12_GLOBAL__N_125multi_tensor_apply_kernelINS1_18TensorListMetadataILi1EEENS1_21BinaryOpScalarFunctorIN3c107complexIfEELi1ELi1ELi0EEEJSt4plusIS8_ES8_EEEvT_T0_DpT1_ ; -- Begin function _ZN2at6native12_GLOBAL__N_125multi_tensor_apply_kernelINS1_18TensorListMetadataILi1EEENS1_21BinaryOpScalarFunctorIN3c107complexIfEELi1ELi1ELi0EEEJSt4plusIS8_ES8_EEEvT_T0_DpT1_
	.p2align	8
	.type	_ZN2at6native12_GLOBAL__N_125multi_tensor_apply_kernelINS1_18TensorListMetadataILi1EEENS1_21BinaryOpScalarFunctorIN3c107complexIfEELi1ELi1ELi0EEEJSt4plusIS8_ES8_EEEvT_T0_DpT1_,@function
_ZN2at6native12_GLOBAL__N_125multi_tensor_apply_kernelINS1_18TensorListMetadataILi1EEENS1_21BinaryOpScalarFunctorIN3c107complexIfEELi1ELi1ELi0EEEJSt4plusIS8_ES8_EEEvT_T0_DpT1_: ; @_ZN2at6native12_GLOBAL__N_125multi_tensor_apply_kernelINS1_18TensorListMetadataILi1EEENS1_21BinaryOpScalarFunctorIN3c107complexIfEELi1ELi1ELi0EEEJSt4plusIS8_ES8_EEEvT_T0_DpT1_
; %bb.0:
	v_mov_b32_e32 v1, s2
	global_load_ubyte v1, v1, s[0:1] offset:1760
	s_add_u32 s3, s0, s2
	s_mul_hi_u32 s4, s2, 3
	s_mul_i32 s2, s2, 3
	s_addc_u32 s5, s1, 0
	s_add_u32 s2, s3, s2
	s_addc_u32 s3, s5, s4
	s_load_dword s2, s[2:3], 0x820
	s_mov_b32 s7, 0
	s_waitcnt vmcnt(0)
	v_readfirstlane_b32 s3, v1
	s_lshl_b32 s3, s3, 3
	s_load_dwordx2 s[8:9], s[0:1], 0xd30
	s_load_dwordx2 s[10:11], s[0:1], s3 offset:0x0
	s_load_dwordx2 s[4:5], s[0:1], s3 offset:0x370
	s_waitcnt lgkmcnt(0)
	s_ashr_i32 s3, s2, 31
	s_lshl_b64 s[12:13], s[2:3], 19
	s_add_u32 s16, s10, s12
	s_addc_u32 s17, s11, s13
	s_and_b32 s6, s16, 31
	s_lshl_b64 s[2:3], s[2:3], 16
	s_sub_u32 s14, s4, s2
	s_subb_u32 s15, s5, s3
	s_and_b32 s2, s4, 3
	s_mov_b32 s3, s7
	s_or_b64 s[2:3], s[6:7], s[2:3]
	s_cmp_eq_u64 s[2:3], 0
	s_cbranch_scc1 .LBB8_20
; %bb.1:
	v_cmp_lt_i64_e64 s[2:3], s[14:15], 1
	s_and_b64 vcc, exec, s[2:3]
	s_cbranch_vccnz .LBB8_18
; %bb.2:
	s_mov_b64 s[2:3], src_private_base
	s_load_dword s2, s[0:1], 0xd44
	v_mov_b64_e32 v[2:3], 0x10000
	v_cmp_lt_i64_e32 vcc, s[14:15], v[2:3]
	s_and_b64 s[6:7], vcc, exec
	s_mov_b32 s5, 0
	s_cselect_b32 s7, s15, 0
	s_cselect_b32 s6, s14, 0x10000
	s_waitcnt lgkmcnt(0)
	s_and_b32 s4, s2, 0xffff
	v_cmp_lt_u64_e32 vcc, s[14:15], v[2:3]
	v_mov_b32_e32 v1, 0
	s_and_b64 s[18:19], vcc, exec
	s_mul_i32 s22, s4, 3
	s_mov_b32 s23, s5
	s_cselect_b32 s19, s15, 0
	s_cselect_b32 s18, s14, 0x10000
	s_lshl_b32 s20, s4, 1
	s_mov_b32 s21, s5
	v_lshlrev_b32_e32 v2, 3, v0
	v_mov_b32_e32 v3, v1
	v_lshl_add_u64 v[6:7], s[22:23], 0, v[0:1]
	s_lshl_b32 s22, s4, 4
	v_lshl_add_u64 v[12:13], v[0:1], 0, s[4:5]
	s_lshl_b32 s24, s4, 2
	s_lshl_b32 s25, s4, 5
	v_mad_u64_u32 v[4:5], s[26:27], s4, 24, v[2:3]
	v_lshl_add_u64 v[8:9], s[22:23], 0, v[2:3]
	v_lshl_add_u64 v[10:11], s[20:21], 0, v[0:1]
	v_lshlrev_b32_e32 v14, 3, v12
	v_mov_b32_e32 v15, v1
	s_mov_b64 s[20:21], 0
	v_mov_b32_e32 v36, v1
	v_mov_b32_e32 v37, v1
	;; [unrolled: 1-line block ×4, first 2 shown]
	v_mov_b64_e32 v[16:17], s[6:7]
	s_branch .LBB8_4
.LBB8_3:                                ;   in Loop: Header=BB8_4 Depth=1
	s_or_b64 exec, exec, s[2:3]
	s_add_u32 s20, s20, s24
	s_addc_u32 s21, s21, 0
	s_add_u32 s16, s16, s25
	v_cmp_ge_i64_e32 vcc, s[20:21], v[16:17]
	s_addc_u32 s17, s17, 0
	s_cbranch_vccnz .LBB8_18
.LBB8_4:                                ; =>This Inner Loop Header: Depth=1
	v_lshl_add_u64 v[18:19], v[0:1], 0, s[20:21]
	v_cmp_gt_u64_e32 vcc, s[18:19], v[18:19]
	v_lshl_add_u64 v[18:19], s[16:17], 0, v[2:3]
	v_mov_b32_e32 v20, 0
	v_mov_b32_e32 v21, 0
	s_and_saveexec_b64 s[2:3], vcc
	s_cbranch_execz .LBB8_6
; %bb.5:                                ;   in Loop: Header=BB8_4 Depth=1
	global_load_dwordx2 v[20:21], v[18:19], off
.LBB8_6:                                ;   in Loop: Header=BB8_4 Depth=1
	s_or_b64 exec, exec, s[2:3]
	v_lshl_add_u64 v[22:23], v[12:13], 0, s[20:21]
	v_cmp_gt_u64_e64 s[2:3], s[18:19], v[22:23]
	v_mov_b32_e32 v24, 0
	v_lshl_add_u64 v[22:23], s[16:17], 0, v[14:15]
	v_mov_b32_e32 v25, 0
	s_and_saveexec_b64 s[4:5], s[2:3]
	s_cbranch_execz .LBB8_8
; %bb.7:                                ;   in Loop: Header=BB8_4 Depth=1
	global_load_dwordx2 v[24:25], v[22:23], off
.LBB8_8:                                ;   in Loop: Header=BB8_4 Depth=1
	s_or_b64 exec, exec, s[4:5]
	v_lshl_add_u64 v[26:27], v[10:11], 0, s[20:21]
	v_cmp_gt_u64_e64 s[4:5], s[18:19], v[26:27]
	v_mov_b64_e32 v[28:29], 0
	v_lshl_add_u64 v[26:27], s[16:17], 0, v[8:9]
	s_and_saveexec_b64 s[6:7], s[4:5]
	s_cbranch_execz .LBB8_10
; %bb.9:                                ;   in Loop: Header=BB8_4 Depth=1
	global_load_dwordx2 v[28:29], v[26:27], off
.LBB8_10:                               ;   in Loop: Header=BB8_4 Depth=1
	s_or_b64 exec, exec, s[6:7]
	v_lshl_add_u64 v[32:33], v[6:7], 0, s[20:21]
	v_lshl_add_u64 v[30:31], s[16:17], 0, v[4:5]
	v_cmp_gt_u64_e64 s[6:7], s[18:19], v[32:33]
	scratch_store_dwordx2 off, v[36:37], off
	s_nop 0
	v_cndmask_b32_e64 v33, v34, v31, s[6:7]
	v_cndmask_b32_e64 v32, v35, v30, s[6:7]
	flat_load_dwordx2 v[32:33], v[32:33]
	s_waitcnt vmcnt(0) lgkmcnt(0)
	v_pk_add_f32 v[32:33], s[8:9], v[32:33]
	scratch_store_dwordx2 off, v[32:33], off
	s_and_saveexec_b64 s[22:23], vcc
	s_cbranch_execnz .LBB8_14
; %bb.11:                               ;   in Loop: Header=BB8_4 Depth=1
	s_or_b64 exec, exec, s[22:23]
	s_and_saveexec_b64 s[22:23], s[2:3]
	s_cbranch_execnz .LBB8_15
.LBB8_12:                               ;   in Loop: Header=BB8_4 Depth=1
	s_or_b64 exec, exec, s[22:23]
	s_and_saveexec_b64 s[2:3], s[4:5]
	s_cbranch_execnz .LBB8_16
.LBB8_13:                               ;   in Loop: Header=BB8_4 Depth=1
	s_or_b64 exec, exec, s[2:3]
	s_and_saveexec_b64 s[2:3], s[6:7]
	s_cbranch_execz .LBB8_3
	s_branch .LBB8_17
.LBB8_14:                               ;   in Loop: Header=BB8_4 Depth=1
	v_pk_add_f32 v[20:21], v[20:21], s[8:9]
	global_store_dwordx2 v[18:19], v[20:21], off
	s_or_b64 exec, exec, s[22:23]
	s_and_saveexec_b64 s[22:23], s[2:3]
	s_cbranch_execz .LBB8_12
.LBB8_15:                               ;   in Loop: Header=BB8_4 Depth=1
	v_pk_add_f32 v[18:19], v[24:25], s[8:9]
	global_store_dwordx2 v[22:23], v[18:19], off
	s_or_b64 exec, exec, s[22:23]
	s_and_saveexec_b64 s[2:3], s[4:5]
	s_cbranch_execz .LBB8_13
.LBB8_16:                               ;   in Loop: Header=BB8_4 Depth=1
	v_pk_add_f32 v[18:19], s[8:9], v[28:29]
	global_store_dwordx2 v[26:27], v[18:19], off
	s_or_b64 exec, exec, s[2:3]
	s_and_saveexec_b64 s[2:3], s[6:7]
	s_cbranch_execz .LBB8_3
.LBB8_17:                               ;   in Loop: Header=BB8_4 Depth=1
	global_store_dwordx2 v[30:31], v[32:33], off
	s_branch .LBB8_3
.LBB8_18:
	s_cbranch_execz .LBB8_21
.LBB8_19:
	s_endpgm
.LBB8_20:
.LBB8_21:
	v_mov_b64_e32 v[4:5], 0x10000
	v_cmp_lt_i64_e32 vcc, s[14:15], v[4:5]
	s_and_b64 s[4:5], vcc, exec
	v_mov_b32_e32 v3, 0
	s_cselect_b32 s5, s15, 0
	s_cselect_b32 s4, s14, 0x10000
	v_lshlrev_b32_e32 v2, 2, v0
	s_mov_b32 s3, 0
	v_cmp_gt_i64_e32 vcc, s[4:5], v[2:3]
	s_and_saveexec_b64 s[6:7], vcc
	s_cbranch_execz .LBB8_19
; %bb.22:
	s_load_dword s0, s[0:1], 0xd44
	v_lshlrev_b32_e32 v2, 5, v0
	v_mov_b32_e32 v1, v3
	s_mov_b32 s1, s3
	s_waitcnt lgkmcnt(0)
	s_and_b32 s2, s0, 0xffff
	s_add_u32 s6, s10, s12
	s_addc_u32 s7, s11, s13
	v_lshl_add_u64 v[2:3], s[6:7], 0, v[2:3]
	s_lshl_b32 s0, s2, 5
	v_lshl_add_u64 v[6:7], v[2:3], 0, 16
	s_mov_b64 s[6:7], 0
.LBB8_23:                               ; =>This Inner Loop Header: Depth=1
	global_load_dwordx4 v[2:5], v[6:7], off
	global_load_dwordx4 v[8:11], v[6:7], off offset:-16
	v_lshl_add_u64 v[0:1], v[0:1], 0, s[2:3]
	v_lshlrev_b64 v[12:13], 2, v[0:1]
	v_cmp_le_i64_e32 vcc, s[4:5], v[12:13]
	s_or_b64 s[6:7], vcc, s[6:7]
	s_waitcnt vmcnt(1)
	v_pk_add_f32 v[4:5], s[8:9], v[4:5]
	s_waitcnt vmcnt(0)
	v_pk_add_f32 v[8:9], v[8:9], s[8:9]
	v_pk_add_f32 v[10:11], v[10:11], s[8:9]
	;; [unrolled: 1-line block ×3, first 2 shown]
	global_store_dwordx4 v[6:7], v[8:11], off offset:-16
	global_store_dwordx4 v[6:7], v[2:5], off
	v_lshl_add_u64 v[6:7], v[6:7], 0, s[0:1]
	s_andn2_b64 exec, exec, s[6:7]
	s_cbranch_execnz .LBB8_23
; %bb.24:
	s_or_b64 exec, exec, s[6:7]
	scratch_store_dwordx2 off, v[4:5], off
	s_endpgm
	.section	.rodata,"a",@progbits
	.p2align	6, 0x0
	.amdhsa_kernel _ZN2at6native12_GLOBAL__N_125multi_tensor_apply_kernelINS1_18TensorListMetadataILi1EEENS1_21BinaryOpScalarFunctorIN3c107complexIfEELi1ELi1ELi0EEEJSt4plusIS8_ES8_EEEvT_T0_DpT1_
		.amdhsa_group_segment_fixed_size 0
		.amdhsa_private_segment_fixed_size 16
		.amdhsa_kernarg_size 3640
		.amdhsa_user_sgpr_count 2
		.amdhsa_user_sgpr_dispatch_ptr 0
		.amdhsa_user_sgpr_queue_ptr 0
		.amdhsa_user_sgpr_kernarg_segment_ptr 1
		.amdhsa_user_sgpr_dispatch_id 0
		.amdhsa_user_sgpr_kernarg_preload_length 0
		.amdhsa_user_sgpr_kernarg_preload_offset 0
		.amdhsa_user_sgpr_private_segment_size 0
		.amdhsa_uses_dynamic_stack 0
		.amdhsa_enable_private_segment 1
		.amdhsa_system_sgpr_workgroup_id_x 1
		.amdhsa_system_sgpr_workgroup_id_y 0
		.amdhsa_system_sgpr_workgroup_id_z 0
		.amdhsa_system_sgpr_workgroup_info 0
		.amdhsa_system_vgpr_workitem_id 0
		.amdhsa_next_free_vgpr 38
		.amdhsa_next_free_sgpr 28
		.amdhsa_accum_offset 40
		.amdhsa_reserve_vcc 1
		.amdhsa_float_round_mode_32 0
		.amdhsa_float_round_mode_16_64 0
		.amdhsa_float_denorm_mode_32 3
		.amdhsa_float_denorm_mode_16_64 3
		.amdhsa_dx10_clamp 1
		.amdhsa_ieee_mode 1
		.amdhsa_fp16_overflow 0
		.amdhsa_tg_split 0
		.amdhsa_exception_fp_ieee_invalid_op 0
		.amdhsa_exception_fp_denorm_src 0
		.amdhsa_exception_fp_ieee_div_zero 0
		.amdhsa_exception_fp_ieee_overflow 0
		.amdhsa_exception_fp_ieee_underflow 0
		.amdhsa_exception_fp_ieee_inexact 0
		.amdhsa_exception_int_div_zero 0
	.end_amdhsa_kernel
	.section	.text._ZN2at6native12_GLOBAL__N_125multi_tensor_apply_kernelINS1_18TensorListMetadataILi1EEENS1_21BinaryOpScalarFunctorIN3c107complexIfEELi1ELi1ELi0EEEJSt4plusIS8_ES8_EEEvT_T0_DpT1_,"axG",@progbits,_ZN2at6native12_GLOBAL__N_125multi_tensor_apply_kernelINS1_18TensorListMetadataILi1EEENS1_21BinaryOpScalarFunctorIN3c107complexIfEELi1ELi1ELi0EEEJSt4plusIS8_ES8_EEEvT_T0_DpT1_,comdat
.Lfunc_end8:
	.size	_ZN2at6native12_GLOBAL__N_125multi_tensor_apply_kernelINS1_18TensorListMetadataILi1EEENS1_21BinaryOpScalarFunctorIN3c107complexIfEELi1ELi1ELi0EEEJSt4plusIS8_ES8_EEEvT_T0_DpT1_, .Lfunc_end8-_ZN2at6native12_GLOBAL__N_125multi_tensor_apply_kernelINS1_18TensorListMetadataILi1EEENS1_21BinaryOpScalarFunctorIN3c107complexIfEELi1ELi1ELi0EEEJSt4plusIS8_ES8_EEEvT_T0_DpT1_
                                        ; -- End function
	.set _ZN2at6native12_GLOBAL__N_125multi_tensor_apply_kernelINS1_18TensorListMetadataILi1EEENS1_21BinaryOpScalarFunctorIN3c107complexIfEELi1ELi1ELi0EEEJSt4plusIS8_ES8_EEEvT_T0_DpT1_.num_vgpr, 38
	.set _ZN2at6native12_GLOBAL__N_125multi_tensor_apply_kernelINS1_18TensorListMetadataILi1EEENS1_21BinaryOpScalarFunctorIN3c107complexIfEELi1ELi1ELi0EEEJSt4plusIS8_ES8_EEEvT_T0_DpT1_.num_agpr, 0
	.set _ZN2at6native12_GLOBAL__N_125multi_tensor_apply_kernelINS1_18TensorListMetadataILi1EEENS1_21BinaryOpScalarFunctorIN3c107complexIfEELi1ELi1ELi0EEEJSt4plusIS8_ES8_EEEvT_T0_DpT1_.numbered_sgpr, 28
	.set _ZN2at6native12_GLOBAL__N_125multi_tensor_apply_kernelINS1_18TensorListMetadataILi1EEENS1_21BinaryOpScalarFunctorIN3c107complexIfEELi1ELi1ELi0EEEJSt4plusIS8_ES8_EEEvT_T0_DpT1_.num_named_barrier, 0
	.set _ZN2at6native12_GLOBAL__N_125multi_tensor_apply_kernelINS1_18TensorListMetadataILi1EEENS1_21BinaryOpScalarFunctorIN3c107complexIfEELi1ELi1ELi0EEEJSt4plusIS8_ES8_EEEvT_T0_DpT1_.private_seg_size, 16
	.set _ZN2at6native12_GLOBAL__N_125multi_tensor_apply_kernelINS1_18TensorListMetadataILi1EEENS1_21BinaryOpScalarFunctorIN3c107complexIfEELi1ELi1ELi0EEEJSt4plusIS8_ES8_EEEvT_T0_DpT1_.uses_vcc, 1
	.set _ZN2at6native12_GLOBAL__N_125multi_tensor_apply_kernelINS1_18TensorListMetadataILi1EEENS1_21BinaryOpScalarFunctorIN3c107complexIfEELi1ELi1ELi0EEEJSt4plusIS8_ES8_EEEvT_T0_DpT1_.uses_flat_scratch, 0
	.set _ZN2at6native12_GLOBAL__N_125multi_tensor_apply_kernelINS1_18TensorListMetadataILi1EEENS1_21BinaryOpScalarFunctorIN3c107complexIfEELi1ELi1ELi0EEEJSt4plusIS8_ES8_EEEvT_T0_DpT1_.has_dyn_sized_stack, 0
	.set _ZN2at6native12_GLOBAL__N_125multi_tensor_apply_kernelINS1_18TensorListMetadataILi1EEENS1_21BinaryOpScalarFunctorIN3c107complexIfEELi1ELi1ELi0EEEJSt4plusIS8_ES8_EEEvT_T0_DpT1_.has_recursion, 0
	.set _ZN2at6native12_GLOBAL__N_125multi_tensor_apply_kernelINS1_18TensorListMetadataILi1EEENS1_21BinaryOpScalarFunctorIN3c107complexIfEELi1ELi1ELi0EEEJSt4plusIS8_ES8_EEEvT_T0_DpT1_.has_indirect_call, 0
	.section	.AMDGPU.csdata,"",@progbits
; Kernel info:
; codeLenInByte = 1000
; TotalNumSgprs: 34
; NumVgprs: 38
; NumAgprs: 0
; TotalNumVgprs: 38
; ScratchSize: 16
; MemoryBound: 0
; FloatMode: 240
; IeeeMode: 1
; LDSByteSize: 0 bytes/workgroup (compile time only)
; SGPRBlocks: 4
; VGPRBlocks: 4
; NumSGPRsForWavesPerEU: 34
; NumVGPRsForWavesPerEU: 38
; AccumOffset: 40
; Occupancy: 8
; WaveLimiterHint : 0
; COMPUTE_PGM_RSRC2:SCRATCH_EN: 1
; COMPUTE_PGM_RSRC2:USER_SGPR: 2
; COMPUTE_PGM_RSRC2:TRAP_HANDLER: 0
; COMPUTE_PGM_RSRC2:TGID_X_EN: 1
; COMPUTE_PGM_RSRC2:TGID_Y_EN: 0
; COMPUTE_PGM_RSRC2:TGID_Z_EN: 0
; COMPUTE_PGM_RSRC2:TIDIG_COMP_CNT: 0
; COMPUTE_PGM_RSRC3_GFX90A:ACCUM_OFFSET: 9
; COMPUTE_PGM_RSRC3_GFX90A:TG_SPLIT: 0
	.section	.text._ZN2at6native12_GLOBAL__N_125multi_tensor_apply_kernelINS1_18TensorListMetadataILi1EEENS1_21BinaryOpScalarFunctorIbLi1ELi1ELi0EEEJSt4plusIbEbEEEvT_T0_DpT1_,"axG",@progbits,_ZN2at6native12_GLOBAL__N_125multi_tensor_apply_kernelINS1_18TensorListMetadataILi1EEENS1_21BinaryOpScalarFunctorIbLi1ELi1ELi0EEEJSt4plusIbEbEEEvT_T0_DpT1_,comdat
	.globl	_ZN2at6native12_GLOBAL__N_125multi_tensor_apply_kernelINS1_18TensorListMetadataILi1EEENS1_21BinaryOpScalarFunctorIbLi1ELi1ELi0EEEJSt4plusIbEbEEEvT_T0_DpT1_ ; -- Begin function _ZN2at6native12_GLOBAL__N_125multi_tensor_apply_kernelINS1_18TensorListMetadataILi1EEENS1_21BinaryOpScalarFunctorIbLi1ELi1ELi0EEEJSt4plusIbEbEEEvT_T0_DpT1_
	.p2align	8
	.type	_ZN2at6native12_GLOBAL__N_125multi_tensor_apply_kernelINS1_18TensorListMetadataILi1EEENS1_21BinaryOpScalarFunctorIbLi1ELi1ELi0EEEJSt4plusIbEbEEEvT_T0_DpT1_,@function
_ZN2at6native12_GLOBAL__N_125multi_tensor_apply_kernelINS1_18TensorListMetadataILi1EEENS1_21BinaryOpScalarFunctorIbLi1ELi1ELi0EEEJSt4plusIbEbEEEvT_T0_DpT1_: ; @_ZN2at6native12_GLOBAL__N_125multi_tensor_apply_kernelINS1_18TensorListMetadataILi1EEENS1_21BinaryOpScalarFunctorIbLi1ELi1ELi0EEEJSt4plusIbEbEEEvT_T0_DpT1_
; %bb.0:
	v_mov_b32_e32 v1, s2
	global_load_ubyte v1, v1, s[0:1] offset:1760
	s_add_u32 s3, s0, s2
	s_mul_hi_u32 s4, s2, 3
	s_mul_i32 s2, s2, 3
	s_addc_u32 s5, s1, 0
	s_add_u32 s2, s3, s2
	s_addc_u32 s3, s5, s4
	s_load_dword s2, s[2:3], 0x820
	s_waitcnt vmcnt(0)
	v_readfirstlane_b32 s3, v1
	s_lshl_b32 s6, s3, 3
	s_load_dwordx2 s[4:5], s[0:1], s6 offset:0x370
	s_load_dword s7, s[0:1], 0xd28
	s_load_dwordx2 s[8:9], s[0:1], s6 offset:0x0
	s_waitcnt lgkmcnt(0)
	s_ashr_i32 s3, s2, 31
	s_lshl_b64 s[10:11], s[2:3], 16
	s_sub_u32 s12, s4, s10
	s_subb_u32 s13, s5, s11
	s_or_b32 s2, s4, s8
	s_bfe_u32 s20, s7, 0x10010
	s_and_b32 s2, s2, 3
	s_cmp_eq_u32 s2, 0
	s_cbranch_scc1 .LBB9_21
; %bb.1:
	v_cmp_lt_i64_e64 s[2:3], s[12:13], 1
	s_and_b64 vcc, exec, s[2:3]
	s_cbranch_vccnz .LBB9_20
; %bb.2:
	s_load_dword s2, s[0:1], 0xd3c
	v_mov_b64_e32 v[2:3], 0x10000
	v_cmp_lt_i64_e32 vcc, s[12:13], v[2:3]
	s_and_b64 s[4:5], vcc, exec
	s_cselect_b32 s5, s13, 0
	s_cselect_b32 s4, s12, 0x10000
	s_waitcnt lgkmcnt(0)
	s_and_b32 s2, s2, 0xffff
	v_cmp_lt_u64_e32 vcc, s[12:13], v[2:3]
	s_and_b64 s[6:7], vcc, exec
	s_cselect_b32 s15, s13, 0
	s_cselect_b32 s14, s12, 0x10000
	s_lshl_b32 s6, s2, 1
	s_mul_i32 s16, s2, 3
	s_lshl_b32 s21, s2, 2
	s_add_u32 s18, s10, s16
	s_addc_u32 s19, s11, 0
	s_mov_b32 s3, 0
	s_add_u32 s18, s8, s18
	v_mov_b32_e32 v1, 0
	s_mov_b32 s17, s3
	s_addc_u32 s19, s9, s19
	v_lshl_add_u64 v[6:7], s[16:17], 0, v[0:1]
	s_add_u32 s16, s10, s6
	s_addc_u32 s17, s11, 0
	s_add_u32 s16, s8, s16
	s_mov_b32 s7, s3
	s_addc_u32 s17, s9, s17
	v_lshl_add_u64 v[10:11], s[6:7], 0, v[0:1]
	s_add_u32 s6, s8, s2
	v_lshl_add_u64 v[12:13], s[10:11], 0, v[0:1]
	s_addc_u32 s7, s9, 0
	v_lshl_add_u64 v[2:3], s[8:9], 0, v[12:13]
	v_lshl_add_u64 v[4:5], s[18:19], 0, v[0:1]
	;; [unrolled: 1-line block ×5, first 2 shown]
	s_mov_b64 s[16:17], 0
	v_mov_b64_e32 v[16:17], s[4:5]
	s_branch .LBB9_4
.LBB9_3:                                ;   in Loop: Header=BB9_4 Depth=1
	s_or_b64 exec, exec, s[2:3]
	s_add_u32 s16, s16, s21
	s_addc_u32 s17, s17, 0
	v_cmp_lt_i64_e32 vcc, s[16:17], v[16:17]
	s_cbranch_vccz .LBB9_20
.LBB9_4:                                ; =>This Inner Loop Header: Depth=1
	v_lshl_add_u64 v[18:19], v[0:1], 0, s[16:17]
	v_cmp_gt_u64_e32 vcc, s[14:15], v[18:19]
	v_lshl_add_u64 v[18:19], v[2:3], 0, s[16:17]
	s_waitcnt vmcnt(0)
	v_mov_b32_e32 v27, 0
	s_and_saveexec_b64 s[2:3], vcc
	s_cbranch_execz .LBB9_6
; %bb.5:                                ;   in Loop: Header=BB9_4 Depth=1
	global_load_ubyte v27, v[18:19], off
.LBB9_6:                                ;   in Loop: Header=BB9_4 Depth=1
	s_or_b64 exec, exec, s[2:3]
	v_lshl_add_u64 v[20:21], v[14:15], 0, s[16:17]
	v_cmp_gt_u64_e64 s[2:3], s[14:15], v[20:21]
	v_mov_b32_e32 v26, 0
	v_lshl_add_u64 v[20:21], v[12:13], 0, s[16:17]
	v_mov_b32_e32 v28, 0
	s_and_saveexec_b64 s[4:5], s[2:3]
	s_cbranch_execz .LBB9_8
; %bb.7:                                ;   in Loop: Header=BB9_4 Depth=1
	global_load_ubyte v28, v[20:21], off
.LBB9_8:                                ;   in Loop: Header=BB9_4 Depth=1
	s_or_b64 exec, exec, s[4:5]
	v_lshl_add_u64 v[22:23], v[10:11], 0, s[16:17]
	v_cmp_gt_u64_e64 s[4:5], s[14:15], v[22:23]
	v_lshl_add_u64 v[22:23], v[8:9], 0, s[16:17]
	s_and_saveexec_b64 s[6:7], s[4:5]
	s_cbranch_execz .LBB9_10
; %bb.9:                                ;   in Loop: Header=BB9_4 Depth=1
	global_load_ubyte v26, v[22:23], off
.LBB9_10:                               ;   in Loop: Header=BB9_4 Depth=1
	s_or_b64 exec, exec, s[6:7]
	v_lshl_add_u64 v[24:25], v[6:7], 0, s[16:17]
	v_cmp_gt_u64_e64 s[6:7], s[14:15], v[24:25]
	v_mov_b32_e32 v29, 0
	v_lshl_add_u64 v[24:25], v[4:5], 0, s[16:17]
	s_and_saveexec_b64 s[18:19], s[6:7]
	s_cbranch_execnz .LBB9_15
; %bb.11:                               ;   in Loop: Header=BB9_4 Depth=1
	s_or_b64 exec, exec, s[18:19]
	s_and_saveexec_b64 s[18:19], vcc
	s_cbranch_execnz .LBB9_16
.LBB9_12:                               ;   in Loop: Header=BB9_4 Depth=1
	s_or_b64 exec, exec, s[18:19]
	s_and_saveexec_b64 s[18:19], s[2:3]
	s_cbranch_execnz .LBB9_17
.LBB9_13:                               ;   in Loop: Header=BB9_4 Depth=1
	s_or_b64 exec, exec, s[18:19]
	s_and_saveexec_b64 s[2:3], s[4:5]
	s_cbranch_execnz .LBB9_18
.LBB9_14:                               ;   in Loop: Header=BB9_4 Depth=1
	s_or_b64 exec, exec, s[2:3]
	s_and_saveexec_b64 s[2:3], s[6:7]
	s_cbranch_execz .LBB9_3
	s_branch .LBB9_19
.LBB9_15:                               ;   in Loop: Header=BB9_4 Depth=1
	global_load_ubyte v29, v[24:25], off
	s_or_b64 exec, exec, s[18:19]
	s_and_saveexec_b64 s[18:19], vcc
	s_cbranch_execz .LBB9_12
.LBB9_16:                               ;   in Loop: Header=BB9_4 Depth=1
	s_waitcnt vmcnt(0)
	v_or_b32_e32 v27, s20, v27
	global_store_byte v[18:19], v27, off
	s_or_b64 exec, exec, s[18:19]
	s_and_saveexec_b64 s[18:19], s[2:3]
	s_cbranch_execz .LBB9_13
.LBB9_17:                               ;   in Loop: Header=BB9_4 Depth=1
	s_waitcnt vmcnt(0)
	v_or_b32_e32 v18, s20, v28
	global_store_byte v[20:21], v18, off
	s_or_b64 exec, exec, s[18:19]
	s_and_saveexec_b64 s[2:3], s[4:5]
	s_cbranch_execz .LBB9_14
.LBB9_18:                               ;   in Loop: Header=BB9_4 Depth=1
	s_waitcnt vmcnt(0)
	v_or_b32_e32 v18, s20, v26
	global_store_byte v[22:23], v18, off
	s_or_b64 exec, exec, s[2:3]
	s_and_saveexec_b64 s[2:3], s[6:7]
	s_cbranch_execz .LBB9_3
.LBB9_19:                               ;   in Loop: Header=BB9_4 Depth=1
	s_waitcnt vmcnt(0)
	v_or_b32_e32 v18, s20, v29
	global_store_byte v[24:25], v18, off
	s_branch .LBB9_3
.LBB9_20:
	s_cbranch_execz .LBB9_22
	s_branch .LBB9_25
.LBB9_21:
.LBB9_22:
	v_mov_b64_e32 v[4:5], 0x10000
	v_cmp_lt_i64_e32 vcc, s[12:13], v[4:5]
	s_and_b64 s[4:5], vcc, exec
	v_mov_b32_e32 v3, 0
	s_cselect_b32 s5, s13, 0
	s_cselect_b32 s4, s12, 0x10000
	v_lshlrev_b32_e32 v2, 2, v0
	s_mov_b32 s3, 0
	v_cmp_gt_i64_e32 vcc, s[4:5], v[2:3]
	s_and_saveexec_b64 s[6:7], vcc
	s_cbranch_execz .LBB9_25
; %bb.23:
	s_load_dword s0, s[0:1], 0xd3c
	v_mov_b32_e32 v1, v3
	s_mov_b32 s1, s3
	s_mov_b64 s[6:7], 0
	s_waitcnt lgkmcnt(0)
	s_and_b32 s2, s0, 0xffff
	s_add_u32 s8, s8, s10
	s_addc_u32 s9, s9, s11
	s_lshl_b32 s0, s2, 2
	v_lshl_add_u64 v[2:3], s[8:9], 0, v[2:3]
	s_movk_i32 s8, 0xff
.LBB9_24:                               ; =>This Inner Loop Header: Depth=1
	global_load_dword v6, v[2:3], off
	v_lshl_add_u64 v[0:1], v[0:1], 0, s[2:3]
	v_lshlrev_b64 v[4:5], 2, v[0:1]
	v_cmp_le_i64_e32 vcc, s[4:5], v[4:5]
	s_or_b64 s[6:7], vcc, s[6:7]
	s_waitcnt vmcnt(0)
	v_or_b32_e32 v4, s20, v6
	v_lshrrev_b32_e32 v5, 8, v6
	v_or_b32_sdwa v7, v6, s20 dst_sel:DWORD dst_unused:UNUSED_PAD src0_sel:WORD_1 src1_sel:DWORD
	v_or_b32_sdwa v6, v6, s20 dst_sel:BYTE_1 dst_unused:UNUSED_PAD src0_sel:BYTE_3 src1_sel:DWORD
	v_or_b32_sdwa v5, v5, s20 dst_sel:BYTE_1 dst_unused:UNUSED_PAD src0_sel:DWORD src1_sel:DWORD
	v_bitop3_b16 v6, v7, v6, s8 bitop3:0xec
	v_bitop3_b16 v4, v4, v5, s8 bitop3:0xec
	v_lshlrev_b32_e32 v5, 16, v6
	v_or_b32_sdwa v4, v4, v5 dst_sel:DWORD dst_unused:UNUSED_PAD src0_sel:WORD_0 src1_sel:DWORD
	global_store_dword v[2:3], v4, off
	v_lshl_add_u64 v[2:3], v[2:3], 0, s[0:1]
	s_andn2_b64 exec, exec, s[6:7]
	s_cbranch_execnz .LBB9_24
.LBB9_25:
	s_endpgm
	.section	.rodata,"a",@progbits
	.p2align	6, 0x0
	.amdhsa_kernel _ZN2at6native12_GLOBAL__N_125multi_tensor_apply_kernelINS1_18TensorListMetadataILi1EEENS1_21BinaryOpScalarFunctorIbLi1ELi1ELi0EEEJSt4plusIbEbEEEvT_T0_DpT1_
		.amdhsa_group_segment_fixed_size 0
		.amdhsa_private_segment_fixed_size 0
		.amdhsa_kernarg_size 3632
		.amdhsa_user_sgpr_count 2
		.amdhsa_user_sgpr_dispatch_ptr 0
		.amdhsa_user_sgpr_queue_ptr 0
		.amdhsa_user_sgpr_kernarg_segment_ptr 1
		.amdhsa_user_sgpr_dispatch_id 0
		.amdhsa_user_sgpr_kernarg_preload_length 0
		.amdhsa_user_sgpr_kernarg_preload_offset 0
		.amdhsa_user_sgpr_private_segment_size 0
		.amdhsa_uses_dynamic_stack 0
		.amdhsa_enable_private_segment 0
		.amdhsa_system_sgpr_workgroup_id_x 1
		.amdhsa_system_sgpr_workgroup_id_y 0
		.amdhsa_system_sgpr_workgroup_id_z 0
		.amdhsa_system_sgpr_workgroup_info 0
		.amdhsa_system_vgpr_workitem_id 0
		.amdhsa_next_free_vgpr 30
		.amdhsa_next_free_sgpr 22
		.amdhsa_accum_offset 32
		.amdhsa_reserve_vcc 1
		.amdhsa_float_round_mode_32 0
		.amdhsa_float_round_mode_16_64 0
		.amdhsa_float_denorm_mode_32 3
		.amdhsa_float_denorm_mode_16_64 3
		.amdhsa_dx10_clamp 1
		.amdhsa_ieee_mode 1
		.amdhsa_fp16_overflow 0
		.amdhsa_tg_split 0
		.amdhsa_exception_fp_ieee_invalid_op 0
		.amdhsa_exception_fp_denorm_src 0
		.amdhsa_exception_fp_ieee_div_zero 0
		.amdhsa_exception_fp_ieee_overflow 0
		.amdhsa_exception_fp_ieee_underflow 0
		.amdhsa_exception_fp_ieee_inexact 0
		.amdhsa_exception_int_div_zero 0
	.end_amdhsa_kernel
	.section	.text._ZN2at6native12_GLOBAL__N_125multi_tensor_apply_kernelINS1_18TensorListMetadataILi1EEENS1_21BinaryOpScalarFunctorIbLi1ELi1ELi0EEEJSt4plusIbEbEEEvT_T0_DpT1_,"axG",@progbits,_ZN2at6native12_GLOBAL__N_125multi_tensor_apply_kernelINS1_18TensorListMetadataILi1EEENS1_21BinaryOpScalarFunctorIbLi1ELi1ELi0EEEJSt4plusIbEbEEEvT_T0_DpT1_,comdat
.Lfunc_end9:
	.size	_ZN2at6native12_GLOBAL__N_125multi_tensor_apply_kernelINS1_18TensorListMetadataILi1EEENS1_21BinaryOpScalarFunctorIbLi1ELi1ELi0EEEJSt4plusIbEbEEEvT_T0_DpT1_, .Lfunc_end9-_ZN2at6native12_GLOBAL__N_125multi_tensor_apply_kernelINS1_18TensorListMetadataILi1EEENS1_21BinaryOpScalarFunctorIbLi1ELi1ELi0EEEJSt4plusIbEbEEEvT_T0_DpT1_
                                        ; -- End function
	.set _ZN2at6native12_GLOBAL__N_125multi_tensor_apply_kernelINS1_18TensorListMetadataILi1EEENS1_21BinaryOpScalarFunctorIbLi1ELi1ELi0EEEJSt4plusIbEbEEEvT_T0_DpT1_.num_vgpr, 30
	.set _ZN2at6native12_GLOBAL__N_125multi_tensor_apply_kernelINS1_18TensorListMetadataILi1EEENS1_21BinaryOpScalarFunctorIbLi1ELi1ELi0EEEJSt4plusIbEbEEEvT_T0_DpT1_.num_agpr, 0
	.set _ZN2at6native12_GLOBAL__N_125multi_tensor_apply_kernelINS1_18TensorListMetadataILi1EEENS1_21BinaryOpScalarFunctorIbLi1ELi1ELi0EEEJSt4plusIbEbEEEvT_T0_DpT1_.numbered_sgpr, 22
	.set _ZN2at6native12_GLOBAL__N_125multi_tensor_apply_kernelINS1_18TensorListMetadataILi1EEENS1_21BinaryOpScalarFunctorIbLi1ELi1ELi0EEEJSt4plusIbEbEEEvT_T0_DpT1_.num_named_barrier, 0
	.set _ZN2at6native12_GLOBAL__N_125multi_tensor_apply_kernelINS1_18TensorListMetadataILi1EEENS1_21BinaryOpScalarFunctorIbLi1ELi1ELi0EEEJSt4plusIbEbEEEvT_T0_DpT1_.private_seg_size, 0
	.set _ZN2at6native12_GLOBAL__N_125multi_tensor_apply_kernelINS1_18TensorListMetadataILi1EEENS1_21BinaryOpScalarFunctorIbLi1ELi1ELi0EEEJSt4plusIbEbEEEvT_T0_DpT1_.uses_vcc, 1
	.set _ZN2at6native12_GLOBAL__N_125multi_tensor_apply_kernelINS1_18TensorListMetadataILi1EEENS1_21BinaryOpScalarFunctorIbLi1ELi1ELi0EEEJSt4plusIbEbEEEvT_T0_DpT1_.uses_flat_scratch, 0
	.set _ZN2at6native12_GLOBAL__N_125multi_tensor_apply_kernelINS1_18TensorListMetadataILi1EEENS1_21BinaryOpScalarFunctorIbLi1ELi1ELi0EEEJSt4plusIbEbEEEvT_T0_DpT1_.has_dyn_sized_stack, 0
	.set _ZN2at6native12_GLOBAL__N_125multi_tensor_apply_kernelINS1_18TensorListMetadataILi1EEENS1_21BinaryOpScalarFunctorIbLi1ELi1ELi0EEEJSt4plusIbEbEEEvT_T0_DpT1_.has_recursion, 0
	.set _ZN2at6native12_GLOBAL__N_125multi_tensor_apply_kernelINS1_18TensorListMetadataILi1EEENS1_21BinaryOpScalarFunctorIbLi1ELi1ELi0EEEJSt4plusIbEbEEEvT_T0_DpT1_.has_indirect_call, 0
	.section	.AMDGPU.csdata,"",@progbits
; Kernel info:
; codeLenInByte = 968
; TotalNumSgprs: 28
; NumVgprs: 30
; NumAgprs: 0
; TotalNumVgprs: 30
; ScratchSize: 0
; MemoryBound: 0
; FloatMode: 240
; IeeeMode: 1
; LDSByteSize: 0 bytes/workgroup (compile time only)
; SGPRBlocks: 3
; VGPRBlocks: 3
; NumSGPRsForWavesPerEU: 28
; NumVGPRsForWavesPerEU: 30
; AccumOffset: 32
; Occupancy: 8
; WaveLimiterHint : 0
; COMPUTE_PGM_RSRC2:SCRATCH_EN: 0
; COMPUTE_PGM_RSRC2:USER_SGPR: 2
; COMPUTE_PGM_RSRC2:TRAP_HANDLER: 0
; COMPUTE_PGM_RSRC2:TGID_X_EN: 1
; COMPUTE_PGM_RSRC2:TGID_Y_EN: 0
; COMPUTE_PGM_RSRC2:TGID_Z_EN: 0
; COMPUTE_PGM_RSRC2:TIDIG_COMP_CNT: 0
; COMPUTE_PGM_RSRC3_GFX90A:ACCUM_OFFSET: 7
; COMPUTE_PGM_RSRC3_GFX90A:TG_SPLIT: 0
	.section	.text._ZN2at6native12_GLOBAL__N_125multi_tensor_apply_kernelINS1_18TensorListMetadataILi1EEENS1_21BinaryOpScalarFunctorIN3c104HalfELi1ELi1ELi0EEEJSt4plusIfEfEEEvT_T0_DpT1_,"axG",@progbits,_ZN2at6native12_GLOBAL__N_125multi_tensor_apply_kernelINS1_18TensorListMetadataILi1EEENS1_21BinaryOpScalarFunctorIN3c104HalfELi1ELi1ELi0EEEJSt4plusIfEfEEEvT_T0_DpT1_,comdat
	.globl	_ZN2at6native12_GLOBAL__N_125multi_tensor_apply_kernelINS1_18TensorListMetadataILi1EEENS1_21BinaryOpScalarFunctorIN3c104HalfELi1ELi1ELi0EEEJSt4plusIfEfEEEvT_T0_DpT1_ ; -- Begin function _ZN2at6native12_GLOBAL__N_125multi_tensor_apply_kernelINS1_18TensorListMetadataILi1EEENS1_21BinaryOpScalarFunctorIN3c104HalfELi1ELi1ELi0EEEJSt4plusIfEfEEEvT_T0_DpT1_
	.p2align	8
	.type	_ZN2at6native12_GLOBAL__N_125multi_tensor_apply_kernelINS1_18TensorListMetadataILi1EEENS1_21BinaryOpScalarFunctorIN3c104HalfELi1ELi1ELi0EEEJSt4plusIfEfEEEvT_T0_DpT1_,@function
_ZN2at6native12_GLOBAL__N_125multi_tensor_apply_kernelINS1_18TensorListMetadataILi1EEENS1_21BinaryOpScalarFunctorIN3c104HalfELi1ELi1ELi0EEEJSt4plusIfEfEEEvT_T0_DpT1_: ; @_ZN2at6native12_GLOBAL__N_125multi_tensor_apply_kernelINS1_18TensorListMetadataILi1EEENS1_21BinaryOpScalarFunctorIN3c104HalfELi1ELi1ELi0EEEJSt4plusIfEfEEEvT_T0_DpT1_
; %bb.0:
	v_mov_b32_e32 v1, s2
	global_load_ubyte v1, v1, s[0:1] offset:1760
	s_add_u32 s3, s0, s2
	s_mul_hi_u32 s4, s2, 3
	s_mul_i32 s2, s2, 3
	s_addc_u32 s5, s1, 0
	s_add_u32 s2, s3, s2
	s_addc_u32 s3, s5, s4
	s_load_dword s2, s[2:3], 0x820
	s_mov_b32 s7, 0
	s_waitcnt vmcnt(0)
	v_readfirstlane_b32 s3, v1
	s_lshl_b32 s3, s3, 3
	s_load_dword s8, s[0:1], 0xd2c
	s_load_dwordx2 s[4:5], s[0:1], s3 offset:0x370
	s_load_dwordx2 s[10:11], s[0:1], s3 offset:0x0
	s_waitcnt lgkmcnt(0)
	s_ashr_i32 s3, s2, 31
	s_lshl_b64 s[12:13], s[2:3], 17
	s_lshl_b64 s[2:3], s[2:3], 16
	s_and_b32 s6, s10, 7
	s_sub_u32 s14, s4, s2
	s_subb_u32 s15, s5, s3
	s_and_b32 s2, s4, 3
	s_mov_b32 s3, s7
	s_or_b64 s[2:3], s[6:7], s[2:3]
	s_cmp_eq_u64 s[2:3], 0
	s_cbranch_scc1 .LBB10_21
; %bb.1:
	v_cmp_lt_i64_e64 s[2:3], s[14:15], 1
	s_and_b64 vcc, exec, s[2:3]
	s_cbranch_vccnz .LBB10_20
; %bb.2:
	s_load_dword s2, s[0:1], 0xd3c
	v_mov_b64_e32 v[2:3], 0x10000
	v_cmp_lt_i64_e32 vcc, s[14:15], v[2:3]
	s_and_b64 s[4:5], vcc, exec
	s_cselect_b32 s5, s15, 0
	s_cselect_b32 s4, s14, 0x10000
	s_waitcnt lgkmcnt(0)
	s_and_b32 s2, s2, 0xffff
	v_cmp_lt_u64_e32 vcc, s[14:15], v[2:3]
	s_and_b64 s[6:7], vcc, exec
	s_mov_b32 s3, 0
	v_mov_b32_e32 v1, 0
	s_cselect_b32 s17, s15, 0
	s_cselect_b32 s16, s14, 0x10000
	s_lshl_b32 s6, s2, 1
	s_lshl_b32 s18, s2, 2
	s_add_u32 s26, s10, s12
	v_lshl_add_u64 v[8:9], v[0:1], 0, s[2:3]
	s_mov_b32 s7, s3
	s_mul_i32 s24, s2, 3
	s_mov_b32 s25, s3
	v_lshlrev_b32_e32 v2, 1, v0
	v_mov_b32_e32 v3, v1
	s_addc_u32 s27, s11, s13
	v_lshlrev_b32_e32 v10, 1, v8
	v_mov_b32_e32 v11, v1
	s_mov_b32 s19, s3
	v_lshl_add_u64 v[2:3], s[26:27], 0, v[2:3]
	s_lshl_b32 s20, s2, 3
	s_mov_b32 s21, s3
	s_mul_i32 s22, s2, 6
	s_mov_b32 s23, s3
	v_lshl_add_u64 v[4:5], s[24:25], 0, v[0:1]
	v_lshl_add_u64 v[6:7], s[6:7], 0, v[0:1]
	;; [unrolled: 1-line block ×3, first 2 shown]
	s_mov_b64 s[24:25], 0
	v_mov_b64_e32 v[12:13], s[4:5]
	s_branch .LBB10_4
.LBB10_3:                               ;   in Loop: Header=BB10_4 Depth=1
	s_or_b64 exec, exec, s[2:3]
	s_add_u32 s24, s24, s18
	s_addc_u32 s25, s25, 0
	v_cmp_lt_i64_e32 vcc, s[24:25], v[12:13]
	v_lshl_add_u64 v[2:3], v[2:3], 0, s[20:21]
	v_lshl_add_u64 v[10:11], v[10:11], 0, s[20:21]
	s_cbranch_vccz .LBB10_20
.LBB10_4:                               ; =>This Inner Loop Header: Depth=1
	v_lshl_add_u64 v[14:15], v[0:1], 0, s[24:25]
	v_cmp_gt_u64_e32 vcc, s[16:17], v[14:15]
	v_mov_b32_e32 v19, 0
	s_and_saveexec_b64 s[2:3], vcc
	s_cbranch_execz .LBB10_6
; %bb.5:                                ;   in Loop: Header=BB10_4 Depth=1
	global_load_ushort v14, v[2:3], off
	s_waitcnt vmcnt(0)
	v_cvt_f32_f16_e32 v19, v14
.LBB10_6:                               ;   in Loop: Header=BB10_4 Depth=1
	s_or_b64 exec, exec, s[2:3]
	v_lshl_add_u64 v[14:15], v[8:9], 0, s[24:25]
	v_cmp_gt_u64_e64 s[2:3], s[16:17], v[14:15]
	v_mov_b32_e32 v18, 0
	v_mov_b32_e32 v20, 0
	s_and_saveexec_b64 s[4:5], s[2:3]
	s_cbranch_execz .LBB10_8
; %bb.7:                                ;   in Loop: Header=BB10_4 Depth=1
	global_load_ushort v14, v[10:11], off
	s_waitcnt vmcnt(0)
	v_cvt_f32_f16_e32 v20, v14
.LBB10_8:                               ;   in Loop: Header=BB10_4 Depth=1
	s_or_b64 exec, exec, s[4:5]
	v_lshl_add_u64 v[14:15], v[6:7], 0, s[24:25]
	v_cmp_gt_u64_e64 s[4:5], s[16:17], v[14:15]
	v_lshl_add_u64 v[14:15], v[2:3], 0, s[18:19]
	s_and_saveexec_b64 s[6:7], s[4:5]
	s_cbranch_execz .LBB10_10
; %bb.9:                                ;   in Loop: Header=BB10_4 Depth=1
	global_load_ushort v16, v[14:15], off
	s_waitcnt vmcnt(0)
	v_cvt_f32_f16_e32 v18, v16
.LBB10_10:                              ;   in Loop: Header=BB10_4 Depth=1
	s_or_b64 exec, exec, s[6:7]
	v_lshl_add_u64 v[16:17], v[4:5], 0, s[24:25]
	v_cmp_gt_u64_e64 s[6:7], s[16:17], v[16:17]
	v_mov_b32_e32 v21, 0
	v_lshl_add_u64 v[16:17], v[2:3], 0, s[22:23]
	s_and_saveexec_b64 s[26:27], s[6:7]
	s_cbranch_execnz .LBB10_15
; %bb.11:                               ;   in Loop: Header=BB10_4 Depth=1
	s_or_b64 exec, exec, s[26:27]
	s_and_saveexec_b64 s[26:27], vcc
	s_cbranch_execnz .LBB10_16
.LBB10_12:                              ;   in Loop: Header=BB10_4 Depth=1
	s_or_b64 exec, exec, s[26:27]
	s_and_saveexec_b64 s[26:27], s[2:3]
	s_cbranch_execnz .LBB10_17
.LBB10_13:                              ;   in Loop: Header=BB10_4 Depth=1
	s_or_b64 exec, exec, s[26:27]
	s_and_saveexec_b64 s[2:3], s[4:5]
	s_cbranch_execnz .LBB10_18
.LBB10_14:                              ;   in Loop: Header=BB10_4 Depth=1
	s_or_b64 exec, exec, s[2:3]
	s_and_saveexec_b64 s[2:3], s[6:7]
	s_cbranch_execz .LBB10_3
	s_branch .LBB10_19
.LBB10_15:                              ;   in Loop: Header=BB10_4 Depth=1
	global_load_ushort v21, v[16:17], off
	s_waitcnt vmcnt(0)
	v_cvt_f32_f16_e32 v21, v21
	s_or_b64 exec, exec, s[26:27]
	s_and_saveexec_b64 s[26:27], vcc
	s_cbranch_execz .LBB10_12
.LBB10_16:                              ;   in Loop: Header=BB10_4 Depth=1
	v_add_f32_e32 v19, s8, v19
	v_cvt_f16_f32_e32 v19, v19
	global_store_short v[2:3], v19, off
	s_or_b64 exec, exec, s[26:27]
	s_and_saveexec_b64 s[26:27], s[2:3]
	s_cbranch_execz .LBB10_13
.LBB10_17:                              ;   in Loop: Header=BB10_4 Depth=1
	v_add_f32_e32 v19, s8, v20
	v_cvt_f16_f32_e32 v19, v19
	global_store_short v[10:11], v19, off
	s_or_b64 exec, exec, s[26:27]
	s_and_saveexec_b64 s[2:3], s[4:5]
	s_cbranch_execz .LBB10_14
.LBB10_18:                              ;   in Loop: Header=BB10_4 Depth=1
	v_add_f32_e32 v18, s8, v18
	v_cvt_f16_f32_e32 v18, v18
	global_store_short v[14:15], v18, off
	s_or_b64 exec, exec, s[2:3]
	s_and_saveexec_b64 s[2:3], s[6:7]
	s_cbranch_execz .LBB10_3
.LBB10_19:                              ;   in Loop: Header=BB10_4 Depth=1
	v_add_f32_e32 v14, s8, v21
	v_cvt_f16_f32_e32 v14, v14
	global_store_short v[16:17], v14, off
	s_branch .LBB10_3
.LBB10_20:
	s_cbranch_execz .LBB10_22
	s_branch .LBB10_25
.LBB10_21:
.LBB10_22:
	v_mov_b64_e32 v[4:5], 0x10000
	v_cmp_lt_i64_e32 vcc, s[14:15], v[4:5]
	s_and_b64 s[4:5], vcc, exec
	v_mov_b32_e32 v3, 0
	s_cselect_b32 s5, s15, 0
	s_cselect_b32 s4, s14, 0x10000
	v_lshlrev_b32_e32 v2, 2, v0
	s_mov_b32 s3, 0
	v_cmp_gt_i64_e32 vcc, s[4:5], v[2:3]
	s_and_saveexec_b64 s[6:7], vcc
	s_cbranch_execz .LBB10_25
; %bb.23:
	s_load_dword s2, s[0:1], 0xd3c
	v_lshlrev_b32_e32 v2, 3, v0
	v_mov_b32_e32 v1, v3
	s_mov_b32 s9, s8
	s_mov_b32 s0, s8
	s_waitcnt lgkmcnt(0)
	s_and_b32 s2, s2, 0xffff
	s_add_u32 s6, s10, s12
	s_addc_u32 s7, s11, s13
	s_mov_b32 s1, s8
	v_lshl_add_u64 v[2:3], s[6:7], 0, v[2:3]
	s_lshl_b32 s6, s2, 3
	s_mov_b32 s7, s3
	s_mov_b64 s[10:11], 0
.LBB10_24:                              ; =>This Inner Loop Header: Depth=1
	global_load_dwordx2 v[4:5], v[2:3], off
	v_lshl_add_u64 v[0:1], v[0:1], 0, s[2:3]
	v_lshlrev_b64 v[6:7], 2, v[0:1]
	v_cmp_le_i64_e32 vcc, s[4:5], v[6:7]
	s_or_b64 s[10:11], vcc, s[10:11]
	s_waitcnt vmcnt(0)
	v_cvt_f32_f16_sdwa v9, v4 dst_sel:DWORD dst_unused:UNUSED_PAD src0_sel:WORD_1
	v_cvt_f32_f16_sdwa v11, v5 dst_sel:DWORD dst_unused:UNUSED_PAD src0_sel:WORD_1
	v_cvt_f32_f16_e32 v10, v5
	v_cvt_f32_f16_e32 v8, v4
	v_pk_add_f32 v[4:5], s[0:1], v[10:11]
	v_pk_add_f32 v[6:7], s[8:9], v[8:9]
	v_cvt_pk_f16_f32 v5, v4, v5
	v_cvt_pk_f16_f32 v4, v6, v7
	global_store_dwordx2 v[2:3], v[4:5], off
	v_lshl_add_u64 v[2:3], v[2:3], 0, s[6:7]
	s_andn2_b64 exec, exec, s[10:11]
	s_cbranch_execnz .LBB10_24
.LBB10_25:
	s_endpgm
	.section	.rodata,"a",@progbits
	.p2align	6, 0x0
	.amdhsa_kernel _ZN2at6native12_GLOBAL__N_125multi_tensor_apply_kernelINS1_18TensorListMetadataILi1EEENS1_21BinaryOpScalarFunctorIN3c104HalfELi1ELi1ELi0EEEJSt4plusIfEfEEEvT_T0_DpT1_
		.amdhsa_group_segment_fixed_size 0
		.amdhsa_private_segment_fixed_size 0
		.amdhsa_kernarg_size 3632
		.amdhsa_user_sgpr_count 2
		.amdhsa_user_sgpr_dispatch_ptr 0
		.amdhsa_user_sgpr_queue_ptr 0
		.amdhsa_user_sgpr_kernarg_segment_ptr 1
		.amdhsa_user_sgpr_dispatch_id 0
		.amdhsa_user_sgpr_kernarg_preload_length 0
		.amdhsa_user_sgpr_kernarg_preload_offset 0
		.amdhsa_user_sgpr_private_segment_size 0
		.amdhsa_uses_dynamic_stack 0
		.amdhsa_enable_private_segment 0
		.amdhsa_system_sgpr_workgroup_id_x 1
		.amdhsa_system_sgpr_workgroup_id_y 0
		.amdhsa_system_sgpr_workgroup_id_z 0
		.amdhsa_system_sgpr_workgroup_info 0
		.amdhsa_system_vgpr_workitem_id 0
		.amdhsa_next_free_vgpr 22
		.amdhsa_next_free_sgpr 28
		.amdhsa_accum_offset 24
		.amdhsa_reserve_vcc 1
		.amdhsa_float_round_mode_32 0
		.amdhsa_float_round_mode_16_64 0
		.amdhsa_float_denorm_mode_32 3
		.amdhsa_float_denorm_mode_16_64 3
		.amdhsa_dx10_clamp 1
		.amdhsa_ieee_mode 1
		.amdhsa_fp16_overflow 0
		.amdhsa_tg_split 0
		.amdhsa_exception_fp_ieee_invalid_op 0
		.amdhsa_exception_fp_denorm_src 0
		.amdhsa_exception_fp_ieee_div_zero 0
		.amdhsa_exception_fp_ieee_overflow 0
		.amdhsa_exception_fp_ieee_underflow 0
		.amdhsa_exception_fp_ieee_inexact 0
		.amdhsa_exception_int_div_zero 0
	.end_amdhsa_kernel
	.section	.text._ZN2at6native12_GLOBAL__N_125multi_tensor_apply_kernelINS1_18TensorListMetadataILi1EEENS1_21BinaryOpScalarFunctorIN3c104HalfELi1ELi1ELi0EEEJSt4plusIfEfEEEvT_T0_DpT1_,"axG",@progbits,_ZN2at6native12_GLOBAL__N_125multi_tensor_apply_kernelINS1_18TensorListMetadataILi1EEENS1_21BinaryOpScalarFunctorIN3c104HalfELi1ELi1ELi0EEEJSt4plusIfEfEEEvT_T0_DpT1_,comdat
.Lfunc_end10:
	.size	_ZN2at6native12_GLOBAL__N_125multi_tensor_apply_kernelINS1_18TensorListMetadataILi1EEENS1_21BinaryOpScalarFunctorIN3c104HalfELi1ELi1ELi0EEEJSt4plusIfEfEEEvT_T0_DpT1_, .Lfunc_end10-_ZN2at6native12_GLOBAL__N_125multi_tensor_apply_kernelINS1_18TensorListMetadataILi1EEENS1_21BinaryOpScalarFunctorIN3c104HalfELi1ELi1ELi0EEEJSt4plusIfEfEEEvT_T0_DpT1_
                                        ; -- End function
	.set _ZN2at6native12_GLOBAL__N_125multi_tensor_apply_kernelINS1_18TensorListMetadataILi1EEENS1_21BinaryOpScalarFunctorIN3c104HalfELi1ELi1ELi0EEEJSt4plusIfEfEEEvT_T0_DpT1_.num_vgpr, 22
	.set _ZN2at6native12_GLOBAL__N_125multi_tensor_apply_kernelINS1_18TensorListMetadataILi1EEENS1_21BinaryOpScalarFunctorIN3c104HalfELi1ELi1ELi0EEEJSt4plusIfEfEEEvT_T0_DpT1_.num_agpr, 0
	.set _ZN2at6native12_GLOBAL__N_125multi_tensor_apply_kernelINS1_18TensorListMetadataILi1EEENS1_21BinaryOpScalarFunctorIN3c104HalfELi1ELi1ELi0EEEJSt4plusIfEfEEEvT_T0_DpT1_.numbered_sgpr, 28
	.set _ZN2at6native12_GLOBAL__N_125multi_tensor_apply_kernelINS1_18TensorListMetadataILi1EEENS1_21BinaryOpScalarFunctorIN3c104HalfELi1ELi1ELi0EEEJSt4plusIfEfEEEvT_T0_DpT1_.num_named_barrier, 0
	.set _ZN2at6native12_GLOBAL__N_125multi_tensor_apply_kernelINS1_18TensorListMetadataILi1EEENS1_21BinaryOpScalarFunctorIN3c104HalfELi1ELi1ELi0EEEJSt4plusIfEfEEEvT_T0_DpT1_.private_seg_size, 0
	.set _ZN2at6native12_GLOBAL__N_125multi_tensor_apply_kernelINS1_18TensorListMetadataILi1EEENS1_21BinaryOpScalarFunctorIN3c104HalfELi1ELi1ELi0EEEJSt4plusIfEfEEEvT_T0_DpT1_.uses_vcc, 1
	.set _ZN2at6native12_GLOBAL__N_125multi_tensor_apply_kernelINS1_18TensorListMetadataILi1EEENS1_21BinaryOpScalarFunctorIN3c104HalfELi1ELi1ELi0EEEJSt4plusIfEfEEEvT_T0_DpT1_.uses_flat_scratch, 0
	.set _ZN2at6native12_GLOBAL__N_125multi_tensor_apply_kernelINS1_18TensorListMetadataILi1EEENS1_21BinaryOpScalarFunctorIN3c104HalfELi1ELi1ELi0EEEJSt4plusIfEfEEEvT_T0_DpT1_.has_dyn_sized_stack, 0
	.set _ZN2at6native12_GLOBAL__N_125multi_tensor_apply_kernelINS1_18TensorListMetadataILi1EEENS1_21BinaryOpScalarFunctorIN3c104HalfELi1ELi1ELi0EEEJSt4plusIfEfEEEvT_T0_DpT1_.has_recursion, 0
	.set _ZN2at6native12_GLOBAL__N_125multi_tensor_apply_kernelINS1_18TensorListMetadataILi1EEENS1_21BinaryOpScalarFunctorIN3c104HalfELi1ELi1ELi0EEEJSt4plusIfEfEEEvT_T0_DpT1_.has_indirect_call, 0
	.section	.AMDGPU.csdata,"",@progbits
; Kernel info:
; codeLenInByte = 992
; TotalNumSgprs: 34
; NumVgprs: 22
; NumAgprs: 0
; TotalNumVgprs: 22
; ScratchSize: 0
; MemoryBound: 0
; FloatMode: 240
; IeeeMode: 1
; LDSByteSize: 0 bytes/workgroup (compile time only)
; SGPRBlocks: 4
; VGPRBlocks: 2
; NumSGPRsForWavesPerEU: 34
; NumVGPRsForWavesPerEU: 22
; AccumOffset: 24
; Occupancy: 8
; WaveLimiterHint : 0
; COMPUTE_PGM_RSRC2:SCRATCH_EN: 0
; COMPUTE_PGM_RSRC2:USER_SGPR: 2
; COMPUTE_PGM_RSRC2:TRAP_HANDLER: 0
; COMPUTE_PGM_RSRC2:TGID_X_EN: 1
; COMPUTE_PGM_RSRC2:TGID_Y_EN: 0
; COMPUTE_PGM_RSRC2:TGID_Z_EN: 0
; COMPUTE_PGM_RSRC2:TIDIG_COMP_CNT: 0
; COMPUTE_PGM_RSRC3_GFX90A:ACCUM_OFFSET: 5
; COMPUTE_PGM_RSRC3_GFX90A:TG_SPLIT: 0
	.section	.text._ZN2at6native12_GLOBAL__N_125multi_tensor_apply_kernelINS1_18TensorListMetadataILi1EEENS1_21BinaryOpScalarFunctorIN3c108BFloat16ELi1ELi1ELi0EEEJSt4plusIfEfEEEvT_T0_DpT1_,"axG",@progbits,_ZN2at6native12_GLOBAL__N_125multi_tensor_apply_kernelINS1_18TensorListMetadataILi1EEENS1_21BinaryOpScalarFunctorIN3c108BFloat16ELi1ELi1ELi0EEEJSt4plusIfEfEEEvT_T0_DpT1_,comdat
	.globl	_ZN2at6native12_GLOBAL__N_125multi_tensor_apply_kernelINS1_18TensorListMetadataILi1EEENS1_21BinaryOpScalarFunctorIN3c108BFloat16ELi1ELi1ELi0EEEJSt4plusIfEfEEEvT_T0_DpT1_ ; -- Begin function _ZN2at6native12_GLOBAL__N_125multi_tensor_apply_kernelINS1_18TensorListMetadataILi1EEENS1_21BinaryOpScalarFunctorIN3c108BFloat16ELi1ELi1ELi0EEEJSt4plusIfEfEEEvT_T0_DpT1_
	.p2align	8
	.type	_ZN2at6native12_GLOBAL__N_125multi_tensor_apply_kernelINS1_18TensorListMetadataILi1EEENS1_21BinaryOpScalarFunctorIN3c108BFloat16ELi1ELi1ELi0EEEJSt4plusIfEfEEEvT_T0_DpT1_,@function
_ZN2at6native12_GLOBAL__N_125multi_tensor_apply_kernelINS1_18TensorListMetadataILi1EEENS1_21BinaryOpScalarFunctorIN3c108BFloat16ELi1ELi1ELi0EEEJSt4plusIfEfEEEvT_T0_DpT1_: ; @_ZN2at6native12_GLOBAL__N_125multi_tensor_apply_kernelINS1_18TensorListMetadataILi1EEENS1_21BinaryOpScalarFunctorIN3c108BFloat16ELi1ELi1ELi0EEEJSt4plusIfEfEEEvT_T0_DpT1_
; %bb.0:
	v_mov_b32_e32 v1, s2
	global_load_ubyte v1, v1, s[0:1] offset:1760
	s_add_u32 s3, s0, s2
	s_mul_hi_u32 s4, s2, 3
	s_mul_i32 s2, s2, 3
	s_addc_u32 s5, s1, 0
	s_add_u32 s2, s3, s2
	s_addc_u32 s3, s5, s4
	s_load_dword s2, s[2:3], 0x820
	s_mov_b32 s7, 0
	s_waitcnt vmcnt(0)
	v_readfirstlane_b32 s3, v1
	s_lshl_b32 s3, s3, 3
	s_load_dword s26, s[0:1], 0xd2c
	s_load_dwordx2 s[4:5], s[0:1], s3 offset:0x370
	s_load_dwordx2 s[8:9], s[0:1], s3 offset:0x0
	s_waitcnt lgkmcnt(0)
	s_ashr_i32 s3, s2, 31
	s_lshl_b64 s[10:11], s[2:3], 17
	s_lshl_b64 s[2:3], s[2:3], 16
	s_and_b32 s6, s8, 7
	s_sub_u32 s12, s4, s2
	s_subb_u32 s13, s5, s3
	s_and_b32 s2, s4, 3
	s_mov_b32 s3, s7
	s_or_b64 s[2:3], s[6:7], s[2:3]
	s_cmp_eq_u64 s[2:3], 0
	s_cbranch_scc1 .LBB11_21
; %bb.1:
	v_cmp_lt_i64_e64 s[2:3], s[12:13], 1
	s_and_b64 vcc, exec, s[2:3]
	s_cbranch_vccnz .LBB11_20
; %bb.2:
	s_load_dword s2, s[0:1], 0xd3c
	v_mov_b64_e32 v[2:3], 0x10000
	v_cmp_lt_i64_e32 vcc, s[12:13], v[2:3]
	s_and_b64 s[4:5], vcc, exec
	s_cselect_b32 s5, s13, 0
	s_cselect_b32 s4, s12, 0x10000
	s_waitcnt lgkmcnt(0)
	s_and_b32 s2, s2, 0xffff
	v_cmp_lt_u64_e32 vcc, s[12:13], v[2:3]
	s_and_b64 s[6:7], vcc, exec
	s_mov_b32 s3, 0
	v_mov_b32_e32 v1, 0
	s_cselect_b32 s15, s13, 0
	s_cselect_b32 s14, s12, 0x10000
	s_lshl_b32 s6, s2, 1
	s_lshl_b32 s16, s2, 2
	s_add_u32 s24, s8, s10
	v_lshl_add_u64 v[8:9], v[0:1], 0, s[2:3]
	s_mov_b32 s7, s3
	s_mul_i32 s22, s2, 3
	s_mov_b32 s23, s3
	v_lshlrev_b32_e32 v2, 1, v0
	v_mov_b32_e32 v3, v1
	s_addc_u32 s25, s9, s11
	v_lshlrev_b32_e32 v10, 1, v8
	v_mov_b32_e32 v11, v1
	s_mov_b32 s17, s3
	v_lshl_add_u64 v[2:3], s[24:25], 0, v[2:3]
	s_lshl_b32 s18, s2, 3
	s_mov_b32 s19, s3
	s_mul_i32 s20, s2, 6
	s_mov_b32 s21, s3
	v_lshl_add_u64 v[4:5], s[22:23], 0, v[0:1]
	v_lshl_add_u64 v[6:7], s[6:7], 0, v[0:1]
	;; [unrolled: 1-line block ×3, first 2 shown]
	s_mov_b64 s[22:23], 0
	s_movk_i32 s27, 0x7fff
	v_mov_b64_e32 v[12:13], s[4:5]
	v_mov_b32_e32 v18, 0x7fc0
	s_branch .LBB11_4
.LBB11_3:                               ;   in Loop: Header=BB11_4 Depth=1
	s_or_b64 exec, exec, s[2:3]
	s_add_u32 s22, s22, s16
	s_addc_u32 s23, s23, 0
	v_cmp_lt_i64_e32 vcc, s[22:23], v[12:13]
	v_lshl_add_u64 v[2:3], v[2:3], 0, s[18:19]
	v_lshl_add_u64 v[10:11], v[10:11], 0, s[18:19]
	s_cbranch_vccz .LBB11_20
.LBB11_4:                               ; =>This Inner Loop Header: Depth=1
	v_lshl_add_u64 v[14:15], v[0:1], 0, s[22:23]
	v_cmp_gt_u64_e32 vcc, s[14:15], v[14:15]
	v_mov_b32_e32 v20, 0
	s_and_saveexec_b64 s[2:3], vcc
	s_cbranch_execz .LBB11_6
; %bb.5:                                ;   in Loop: Header=BB11_4 Depth=1
	global_load_ushort v14, v[2:3], off
	s_waitcnt vmcnt(0)
	v_lshlrev_b32_e32 v20, 16, v14
.LBB11_6:                               ;   in Loop: Header=BB11_4 Depth=1
	s_or_b64 exec, exec, s[2:3]
	v_lshl_add_u64 v[14:15], v[8:9], 0, s[22:23]
	v_cmp_gt_u64_e64 s[2:3], s[14:15], v[14:15]
	v_mov_b32_e32 v19, 0
	v_mov_b32_e32 v21, 0
	s_and_saveexec_b64 s[4:5], s[2:3]
	s_cbranch_execz .LBB11_8
; %bb.7:                                ;   in Loop: Header=BB11_4 Depth=1
	global_load_ushort v14, v[10:11], off
	s_waitcnt vmcnt(0)
	v_lshlrev_b32_e32 v21, 16, v14
.LBB11_8:                               ;   in Loop: Header=BB11_4 Depth=1
	s_or_b64 exec, exec, s[4:5]
	v_lshl_add_u64 v[14:15], v[6:7], 0, s[22:23]
	v_cmp_gt_u64_e64 s[4:5], s[14:15], v[14:15]
	v_lshl_add_u64 v[14:15], v[2:3], 0, s[16:17]
	s_and_saveexec_b64 s[6:7], s[4:5]
	s_cbranch_execz .LBB11_10
; %bb.9:                                ;   in Loop: Header=BB11_4 Depth=1
	global_load_ushort v16, v[14:15], off
	s_waitcnt vmcnt(0)
	v_lshlrev_b32_e32 v19, 16, v16
.LBB11_10:                              ;   in Loop: Header=BB11_4 Depth=1
	s_or_b64 exec, exec, s[6:7]
	v_lshl_add_u64 v[16:17], v[4:5], 0, s[22:23]
	v_cmp_gt_u64_e64 s[6:7], s[14:15], v[16:17]
	v_mov_b32_e32 v22, 0
	v_lshl_add_u64 v[16:17], v[2:3], 0, s[20:21]
	s_and_saveexec_b64 s[24:25], s[6:7]
	s_cbranch_execnz .LBB11_15
; %bb.11:                               ;   in Loop: Header=BB11_4 Depth=1
	s_or_b64 exec, exec, s[24:25]
	s_and_saveexec_b64 s[24:25], vcc
	s_cbranch_execnz .LBB11_16
.LBB11_12:                              ;   in Loop: Header=BB11_4 Depth=1
	s_or_b64 exec, exec, s[24:25]
	s_and_saveexec_b64 s[24:25], s[2:3]
	s_cbranch_execnz .LBB11_17
.LBB11_13:                              ;   in Loop: Header=BB11_4 Depth=1
	s_or_b64 exec, exec, s[24:25]
	s_and_saveexec_b64 s[2:3], s[4:5]
	s_cbranch_execnz .LBB11_18
.LBB11_14:                              ;   in Loop: Header=BB11_4 Depth=1
	s_or_b64 exec, exec, s[2:3]
	s_and_saveexec_b64 s[2:3], s[6:7]
	s_cbranch_execz .LBB11_3
	s_branch .LBB11_19
.LBB11_15:                              ;   in Loop: Header=BB11_4 Depth=1
	global_load_ushort v22, v[16:17], off
	s_waitcnt vmcnt(0)
	v_lshlrev_b32_e32 v22, 16, v22
	s_or_b64 exec, exec, s[24:25]
	s_and_saveexec_b64 s[24:25], vcc
	s_cbranch_execz .LBB11_12
.LBB11_16:                              ;   in Loop: Header=BB11_4 Depth=1
	v_add_f32_e32 v20, s26, v20
	v_bfe_u32 v23, v20, 16, 1
	v_add3_u32 v23, v20, v23, s27
	v_cmp_o_f32_e32 vcc, v20, v20
	s_nop 1
	v_cndmask_b32_sdwa v20, v18, v23, vcc dst_sel:DWORD dst_unused:UNUSED_PAD src0_sel:DWORD src1_sel:WORD_1
	global_store_short v[2:3], v20, off
	s_or_b64 exec, exec, s[24:25]
	s_and_saveexec_b64 s[24:25], s[2:3]
	s_cbranch_execz .LBB11_13
.LBB11_17:                              ;   in Loop: Header=BB11_4 Depth=1
	v_add_f32_e32 v20, s26, v21
	v_bfe_u32 v21, v20, 16, 1
	v_add3_u32 v21, v20, v21, s27
	v_cmp_o_f32_e32 vcc, v20, v20
	s_nop 1
	v_cndmask_b32_sdwa v20, v18, v21, vcc dst_sel:DWORD dst_unused:UNUSED_PAD src0_sel:DWORD src1_sel:WORD_1
	global_store_short v[10:11], v20, off
	s_or_b64 exec, exec, s[24:25]
	s_and_saveexec_b64 s[2:3], s[4:5]
	s_cbranch_execz .LBB11_14
.LBB11_18:                              ;   in Loop: Header=BB11_4 Depth=1
	v_add_f32_e32 v19, s26, v19
	v_bfe_u32 v20, v19, 16, 1
	v_add3_u32 v20, v19, v20, s27
	v_cmp_o_f32_e32 vcc, v19, v19
	s_nop 1
	v_cndmask_b32_sdwa v19, v18, v20, vcc dst_sel:DWORD dst_unused:UNUSED_PAD src0_sel:DWORD src1_sel:WORD_1
	global_store_short v[14:15], v19, off
	s_or_b64 exec, exec, s[2:3]
	s_and_saveexec_b64 s[2:3], s[6:7]
	s_cbranch_execz .LBB11_3
.LBB11_19:                              ;   in Loop: Header=BB11_4 Depth=1
	v_add_f32_e32 v14, s26, v22
	v_bfe_u32 v15, v14, 16, 1
	v_add3_u32 v15, v14, v15, s27
	v_cmp_o_f32_e32 vcc, v14, v14
	s_nop 1
	v_cndmask_b32_sdwa v14, v18, v15, vcc dst_sel:DWORD dst_unused:UNUSED_PAD src0_sel:DWORD src1_sel:WORD_1
	global_store_short v[16:17], v14, off
	s_branch .LBB11_3
.LBB11_20:
	s_cbranch_execz .LBB11_22
	s_branch .LBB11_25
.LBB11_21:
.LBB11_22:
	v_mov_b64_e32 v[4:5], 0x10000
	v_cmp_lt_i64_e32 vcc, s[12:13], v[4:5]
	s_and_b64 s[4:5], vcc, exec
	v_mov_b32_e32 v3, 0
	s_cselect_b32 s5, s13, 0
	s_cselect_b32 s4, s12, 0x10000
	v_lshlrev_b32_e32 v2, 2, v0
	s_mov_b32 s3, 0
	v_cmp_gt_i64_e32 vcc, s[4:5], v[2:3]
	s_and_saveexec_b64 s[6:7], vcc
	s_cbranch_execz .LBB11_25
; %bb.23:
	s_load_dword s0, s[0:1], 0xd3c
	v_lshlrev_b32_e32 v2, 3, v0
	v_mov_b32_e32 v1, v3
	s_mov_b32 s1, s3
	v_mov_b32_e32 v4, 0x7fc00000
	s_waitcnt lgkmcnt(0)
	s_and_b32 s2, s0, 0xffff
	s_add_u32 s6, s8, s10
	s_addc_u32 s7, s9, s11
	s_lshl_b32 s0, s2, 3
	v_lshl_add_u64 v[2:3], s[6:7], 0, v[2:3]
	s_mov_b64 s[6:7], 0
	s_movk_i32 s8, 0x7fff
	v_mov_b32_e32 v5, 0x7fc0
.LBB11_24:                              ; =>This Inner Loop Header: Depth=1
	global_load_dwordx2 v[6:7], v[2:3], off
	v_lshl_add_u64 v[0:1], v[0:1], 0, s[2:3]
	v_lshlrev_b64 v[8:9], 2, v[0:1]
	v_cmp_le_i64_e32 vcc, s[4:5], v[8:9]
	s_or_b64 s[6:7], vcc, s[6:7]
	s_waitcnt vmcnt(0)
	v_lshlrev_b32_e32 v8, 16, v6
	v_and_b32_e32 v9, 0xffff0000, v6
	v_alignbit_b32 v6, v7, v6, 16
	v_and_b32_e32 v7, 0xffff0000, v7
	v_add_f32_e32 v7, s26, v7
	v_add_f32_e32 v9, s26, v9
	v_bfe_u32 v12, v7, 16, 1
	v_add_f32_e32 v8, s26, v8
	v_and_b32_e32 v6, 0xffff0000, v6
	v_bfe_u32 v11, v9, 16, 1
	v_add3_u32 v12, v7, v12, s8
	v_bfe_u32 v10, v8, 16, 1
	v_add_f32_e32 v6, s26, v6
	v_add3_u32 v11, v9, v11, s8
	v_and_b32_e32 v12, 0xffff0000, v12
	v_cmp_o_f32_e32 vcc, v7, v7
	v_add3_u32 v10, v8, v10, s8
	v_bfe_u32 v13, v6, 16, 1
	v_and_b32_e32 v11, 0xffff0000, v11
	v_cndmask_b32_e32 v7, v4, v12, vcc
	v_cmp_o_f32_e32 vcc, v9, v9
	v_lshrrev_b32_e32 v10, 16, v10
	v_add3_u32 v13, v6, v13, s8
	v_cndmask_b32_e32 v9, v4, v11, vcc
	v_cmp_o_f32_e32 vcc, v8, v8
	v_lshrrev_b32_e32 v13, 16, v13
	s_nop 0
	v_cndmask_b32_e32 v8, v5, v10, vcc
	v_cmp_o_f32_e32 vcc, v6, v6
	v_or_b32_e32 v8, v8, v9
	s_nop 0
	v_cndmask_b32_e32 v6, v5, v13, vcc
	v_or3_b32 v7, 0, v6, v7
	v_or3_b32 v6, v8, 0, 0
	global_store_dwordx2 v[2:3], v[6:7], off
	v_lshl_add_u64 v[2:3], v[2:3], 0, s[0:1]
	s_andn2_b64 exec, exec, s[6:7]
	s_cbranch_execnz .LBB11_24
.LBB11_25:
	s_endpgm
	.section	.rodata,"a",@progbits
	.p2align	6, 0x0
	.amdhsa_kernel _ZN2at6native12_GLOBAL__N_125multi_tensor_apply_kernelINS1_18TensorListMetadataILi1EEENS1_21BinaryOpScalarFunctorIN3c108BFloat16ELi1ELi1ELi0EEEJSt4plusIfEfEEEvT_T0_DpT1_
		.amdhsa_group_segment_fixed_size 0
		.amdhsa_private_segment_fixed_size 0
		.amdhsa_kernarg_size 3632
		.amdhsa_user_sgpr_count 2
		.amdhsa_user_sgpr_dispatch_ptr 0
		.amdhsa_user_sgpr_queue_ptr 0
		.amdhsa_user_sgpr_kernarg_segment_ptr 1
		.amdhsa_user_sgpr_dispatch_id 0
		.amdhsa_user_sgpr_kernarg_preload_length 0
		.amdhsa_user_sgpr_kernarg_preload_offset 0
		.amdhsa_user_sgpr_private_segment_size 0
		.amdhsa_uses_dynamic_stack 0
		.amdhsa_enable_private_segment 0
		.amdhsa_system_sgpr_workgroup_id_x 1
		.amdhsa_system_sgpr_workgroup_id_y 0
		.amdhsa_system_sgpr_workgroup_id_z 0
		.amdhsa_system_sgpr_workgroup_info 0
		.amdhsa_system_vgpr_workitem_id 0
		.amdhsa_next_free_vgpr 24
		.amdhsa_next_free_sgpr 28
		.amdhsa_accum_offset 24
		.amdhsa_reserve_vcc 1
		.amdhsa_float_round_mode_32 0
		.amdhsa_float_round_mode_16_64 0
		.amdhsa_float_denorm_mode_32 3
		.amdhsa_float_denorm_mode_16_64 3
		.amdhsa_dx10_clamp 1
		.amdhsa_ieee_mode 1
		.amdhsa_fp16_overflow 0
		.amdhsa_tg_split 0
		.amdhsa_exception_fp_ieee_invalid_op 0
		.amdhsa_exception_fp_denorm_src 0
		.amdhsa_exception_fp_ieee_div_zero 0
		.amdhsa_exception_fp_ieee_overflow 0
		.amdhsa_exception_fp_ieee_underflow 0
		.amdhsa_exception_fp_ieee_inexact 0
		.amdhsa_exception_int_div_zero 0
	.end_amdhsa_kernel
	.section	.text._ZN2at6native12_GLOBAL__N_125multi_tensor_apply_kernelINS1_18TensorListMetadataILi1EEENS1_21BinaryOpScalarFunctorIN3c108BFloat16ELi1ELi1ELi0EEEJSt4plusIfEfEEEvT_T0_DpT1_,"axG",@progbits,_ZN2at6native12_GLOBAL__N_125multi_tensor_apply_kernelINS1_18TensorListMetadataILi1EEENS1_21BinaryOpScalarFunctorIN3c108BFloat16ELi1ELi1ELi0EEEJSt4plusIfEfEEEvT_T0_DpT1_,comdat
.Lfunc_end11:
	.size	_ZN2at6native12_GLOBAL__N_125multi_tensor_apply_kernelINS1_18TensorListMetadataILi1EEENS1_21BinaryOpScalarFunctorIN3c108BFloat16ELi1ELi1ELi0EEEJSt4plusIfEfEEEvT_T0_DpT1_, .Lfunc_end11-_ZN2at6native12_GLOBAL__N_125multi_tensor_apply_kernelINS1_18TensorListMetadataILi1EEENS1_21BinaryOpScalarFunctorIN3c108BFloat16ELi1ELi1ELi0EEEJSt4plusIfEfEEEvT_T0_DpT1_
                                        ; -- End function
	.set _ZN2at6native12_GLOBAL__N_125multi_tensor_apply_kernelINS1_18TensorListMetadataILi1EEENS1_21BinaryOpScalarFunctorIN3c108BFloat16ELi1ELi1ELi0EEEJSt4plusIfEfEEEvT_T0_DpT1_.num_vgpr, 24
	.set _ZN2at6native12_GLOBAL__N_125multi_tensor_apply_kernelINS1_18TensorListMetadataILi1EEENS1_21BinaryOpScalarFunctorIN3c108BFloat16ELi1ELi1ELi0EEEJSt4plusIfEfEEEvT_T0_DpT1_.num_agpr, 0
	.set _ZN2at6native12_GLOBAL__N_125multi_tensor_apply_kernelINS1_18TensorListMetadataILi1EEENS1_21BinaryOpScalarFunctorIN3c108BFloat16ELi1ELi1ELi0EEEJSt4plusIfEfEEEvT_T0_DpT1_.numbered_sgpr, 28
	.set _ZN2at6native12_GLOBAL__N_125multi_tensor_apply_kernelINS1_18TensorListMetadataILi1EEENS1_21BinaryOpScalarFunctorIN3c108BFloat16ELi1ELi1ELi0EEEJSt4plusIfEfEEEvT_T0_DpT1_.num_named_barrier, 0
	.set _ZN2at6native12_GLOBAL__N_125multi_tensor_apply_kernelINS1_18TensorListMetadataILi1EEENS1_21BinaryOpScalarFunctorIN3c108BFloat16ELi1ELi1ELi0EEEJSt4plusIfEfEEEvT_T0_DpT1_.private_seg_size, 0
	.set _ZN2at6native12_GLOBAL__N_125multi_tensor_apply_kernelINS1_18TensorListMetadataILi1EEENS1_21BinaryOpScalarFunctorIN3c108BFloat16ELi1ELi1ELi0EEEJSt4plusIfEfEEEvT_T0_DpT1_.uses_vcc, 1
	.set _ZN2at6native12_GLOBAL__N_125multi_tensor_apply_kernelINS1_18TensorListMetadataILi1EEENS1_21BinaryOpScalarFunctorIN3c108BFloat16ELi1ELi1ELi0EEEJSt4plusIfEfEEEvT_T0_DpT1_.uses_flat_scratch, 0
	.set _ZN2at6native12_GLOBAL__N_125multi_tensor_apply_kernelINS1_18TensorListMetadataILi1EEENS1_21BinaryOpScalarFunctorIN3c108BFloat16ELi1ELi1ELi0EEEJSt4plusIfEfEEEvT_T0_DpT1_.has_dyn_sized_stack, 0
	.set _ZN2at6native12_GLOBAL__N_125multi_tensor_apply_kernelINS1_18TensorListMetadataILi1EEENS1_21BinaryOpScalarFunctorIN3c108BFloat16ELi1ELi1ELi0EEEJSt4plusIfEfEEEvT_T0_DpT1_.has_recursion, 0
	.set _ZN2at6native12_GLOBAL__N_125multi_tensor_apply_kernelINS1_18TensorListMetadataILi1EEENS1_21BinaryOpScalarFunctorIN3c108BFloat16ELi1ELi1ELi0EEEJSt4plusIfEfEEEvT_T0_DpT1_.has_indirect_call, 0
	.section	.AMDGPU.csdata,"",@progbits
; Kernel info:
; codeLenInByte = 1268
; TotalNumSgprs: 34
; NumVgprs: 24
; NumAgprs: 0
; TotalNumVgprs: 24
; ScratchSize: 0
; MemoryBound: 0
; FloatMode: 240
; IeeeMode: 1
; LDSByteSize: 0 bytes/workgroup (compile time only)
; SGPRBlocks: 4
; VGPRBlocks: 2
; NumSGPRsForWavesPerEU: 34
; NumVGPRsForWavesPerEU: 24
; AccumOffset: 24
; Occupancy: 8
; WaveLimiterHint : 0
; COMPUTE_PGM_RSRC2:SCRATCH_EN: 0
; COMPUTE_PGM_RSRC2:USER_SGPR: 2
; COMPUTE_PGM_RSRC2:TRAP_HANDLER: 0
; COMPUTE_PGM_RSRC2:TGID_X_EN: 1
; COMPUTE_PGM_RSRC2:TGID_Y_EN: 0
; COMPUTE_PGM_RSRC2:TGID_Z_EN: 0
; COMPUTE_PGM_RSRC2:TIDIG_COMP_CNT: 0
; COMPUTE_PGM_RSRC3_GFX90A:ACCUM_OFFSET: 5
; COMPUTE_PGM_RSRC3_GFX90A:TG_SPLIT: 0
	.section	.text._ZN2at6native12_GLOBAL__N_125multi_tensor_apply_kernelINS1_18TensorListMetadataILi2EEENS1_21BinaryOpScalarFunctorIhLi2ELi1ELi1EEEJSt4plusIhEhEEEvT_T0_DpT1_,"axG",@progbits,_ZN2at6native12_GLOBAL__N_125multi_tensor_apply_kernelINS1_18TensorListMetadataILi2EEENS1_21BinaryOpScalarFunctorIhLi2ELi1ELi1EEEJSt4plusIhEhEEEvT_T0_DpT1_,comdat
	.globl	_ZN2at6native12_GLOBAL__N_125multi_tensor_apply_kernelINS1_18TensorListMetadataILi2EEENS1_21BinaryOpScalarFunctorIhLi2ELi1ELi1EEEJSt4plusIhEhEEEvT_T0_DpT1_ ; -- Begin function _ZN2at6native12_GLOBAL__N_125multi_tensor_apply_kernelINS1_18TensorListMetadataILi2EEENS1_21BinaryOpScalarFunctorIhLi2ELi1ELi1EEEJSt4plusIhEhEEEvT_T0_DpT1_
	.p2align	8
	.type	_ZN2at6native12_GLOBAL__N_125multi_tensor_apply_kernelINS1_18TensorListMetadataILi2EEENS1_21BinaryOpScalarFunctorIhLi2ELi1ELi1EEEJSt4plusIhEhEEEvT_T0_DpT1_,@function
_ZN2at6native12_GLOBAL__N_125multi_tensor_apply_kernelINS1_18TensorListMetadataILi2EEENS1_21BinaryOpScalarFunctorIhLi2ELi1ELi1EEEJSt4plusIhEhEEEvT_T0_DpT1_: ; @_ZN2at6native12_GLOBAL__N_125multi_tensor_apply_kernelINS1_18TensorListMetadataILi2EEENS1_21BinaryOpScalarFunctorIhLi2ELi1ELi1EEEJSt4plusIhEhEEEvT_T0_DpT1_
; %bb.0:
	v_mov_b32_e32 v1, s2
	global_load_ubyte v1, v1, s[0:1] offset:1536
	s_add_u32 s3, s0, s2
	s_mul_hi_u32 s4, s2, 3
	s_mul_i32 s2, s2, 3
	s_addc_u32 s5, s1, 0
	s_add_u32 s2, s3, s2
	s_addc_u32 s3, s5, s4
	s_load_dword s2, s[2:3], 0x740
	s_waitcnt lgkmcnt(0)
	s_ashr_i32 s3, s2, 31
	s_lshl_b64 s[12:13], s[2:3], 16
	s_waitcnt vmcnt(0)
	v_readfirstlane_b32 s4, v1
	s_lshl_b32 s6, s4, 3
	s_load_dwordx2 s[8:9], s[0:1], s6 offset:0x0
	s_load_dwordx2 s[4:5], s[0:1], s6 offset:0x400
	s_load_dword s22, s[0:1], 0xc48
	s_load_dwordx2 s[10:11], s[0:1], s6 offset:0x200
	s_waitcnt lgkmcnt(0)
	s_add_u32 s2, s8, s12
	s_sub_u32 s14, s4, s12
	s_subb_u32 s15, s5, s13
	s_or_b32 s3, s4, s10
	s_or_b32 s2, s3, s2
	s_and_b32 s2, s2, 3
	s_cmp_eq_u32 s2, 0
	s_mov_b64 s[2:3], -1
	s_cbranch_scc1 .LBB12_21
; %bb.1:
	v_cmp_lt_i64_e64 s[2:3], s[14:15], 1
	s_and_b64 vcc, exec, s[2:3]
	s_cbranch_vccnz .LBB12_20
; %bb.2:
	s_load_dword s2, s[0:1], 0xc5c
	v_mov_b64_e32 v[2:3], 0x10000
	v_cmp_lt_i64_e32 vcc, s[14:15], v[2:3]
	s_and_b64 s[4:5], vcc, exec
	s_cselect_b32 s5, s15, 0
	s_cselect_b32 s4, s14, 0x10000
	s_waitcnt lgkmcnt(0)
	s_and_b32 s2, s2, 0xffff
	v_cmp_lt_u64_e32 vcc, s[14:15], v[2:3]
	s_and_b64 s[6:7], vcc, exec
	s_cselect_b32 s17, s15, 0
	s_cselect_b32 s16, s14, 0x10000
	s_lshl_b32 s6, s2, 1
	s_mul_i32 s18, s2, 3
	s_lshl_b32 s23, s2, 2
	s_mov_b32 s3, 0
	s_add_u32 s20, s12, s18
	v_mov_b32_e32 v1, 0
	s_mov_b32 s19, s3
	s_addc_u32 s21, s13, 0
	v_lshl_add_u64 v[10:11], s[18:19], 0, v[0:1]
	s_add_u32 s18, s12, s6
	v_lshl_add_u64 v[18:19], s[12:13], 0, v[0:1]
	s_addc_u32 s19, s13, 0
	s_mov_b32 s7, s3
	v_lshl_add_u64 v[8:9], s[20:21], 0, v[0:1]
	v_lshl_add_u64 v[14:15], s[18:19], 0, v[0:1]
	;; [unrolled: 1-line block ×13, first 2 shown]
	s_mov_b64 s[18:19], 0
	s_lshr_b32 s24, s22, 16
	v_mov_b64_e32 v[24:25], s[4:5]
	s_branch .LBB12_4
.LBB12_3:                               ;   in Loop: Header=BB12_4 Depth=1
	s_or_b64 exec, exec, s[2:3]
	s_add_u32 s18, s18, s23
	s_addc_u32 s19, s19, 0
	v_cmp_lt_i64_e32 vcc, s[18:19], v[24:25]
	s_cbranch_vccz .LBB12_20
.LBB12_4:                               ; =>This Inner Loop Header: Depth=1
	s_waitcnt vmcnt(0)
	v_lshl_add_u64 v[26:27], v[0:1], 0, s[18:19]
	v_cmp_gt_u64_e32 vcc, s[16:17], v[26:27]
	v_mov_b32_e32 v27, 0
	s_and_saveexec_b64 s[2:3], vcc
	s_cbranch_execz .LBB12_6
; %bb.5:                                ;   in Loop: Header=BB12_4 Depth=1
	v_lshl_add_u64 v[26:27], v[2:3], 0, s[18:19]
	global_load_ubyte v27, v[26:27], off
.LBB12_6:                               ;   in Loop: Header=BB12_4 Depth=1
	s_or_b64 exec, exec, s[2:3]
	v_lshl_add_u64 v[28:29], v[22:23], 0, s[18:19]
	v_cmp_gt_u64_e64 s[2:3], s[16:17], v[28:29]
	v_mov_b32_e32 v26, 0
	v_mov_b32_e32 v28, 0
	s_and_saveexec_b64 s[4:5], s[2:3]
	s_cbranch_execz .LBB12_8
; %bb.7:                                ;   in Loop: Header=BB12_4 Depth=1
	v_lshl_add_u64 v[28:29], v[18:19], 0, s[18:19]
	global_load_ubyte v28, v[28:29], off
.LBB12_8:                               ;   in Loop: Header=BB12_4 Depth=1
	s_or_b64 exec, exec, s[4:5]
	v_lshl_add_u64 v[30:31], v[16:17], 0, s[18:19]
	v_cmp_gt_u64_e64 s[4:5], s[16:17], v[30:31]
	s_and_saveexec_b64 s[6:7], s[4:5]
	s_cbranch_execz .LBB12_10
; %bb.9:                                ;   in Loop: Header=BB12_4 Depth=1
	v_lshl_add_u64 v[30:31], v[12:13], 0, s[18:19]
	global_load_ubyte v26, v[30:31], off
.LBB12_10:                              ;   in Loop: Header=BB12_4 Depth=1
	s_or_b64 exec, exec, s[6:7]
	v_lshl_add_u64 v[30:31], v[10:11], 0, s[18:19]
	v_cmp_gt_u64_e64 s[6:7], s[16:17], v[30:31]
	v_mov_b32_e32 v29, 0
	s_and_saveexec_b64 s[20:21], s[6:7]
	s_cbranch_execnz .LBB12_15
; %bb.11:                               ;   in Loop: Header=BB12_4 Depth=1
	s_or_b64 exec, exec, s[20:21]
	s_and_saveexec_b64 s[20:21], vcc
	s_cbranch_execnz .LBB12_16
.LBB12_12:                              ;   in Loop: Header=BB12_4 Depth=1
	s_or_b64 exec, exec, s[20:21]
	s_and_saveexec_b64 s[20:21], s[2:3]
	s_cbranch_execnz .LBB12_17
.LBB12_13:                              ;   in Loop: Header=BB12_4 Depth=1
	s_or_b64 exec, exec, s[20:21]
	s_and_saveexec_b64 s[2:3], s[4:5]
	s_cbranch_execnz .LBB12_18
.LBB12_14:                              ;   in Loop: Header=BB12_4 Depth=1
	s_or_b64 exec, exec, s[2:3]
	s_and_saveexec_b64 s[2:3], s[6:7]
	s_cbranch_execz .LBB12_3
	s_branch .LBB12_19
.LBB12_15:                              ;   in Loop: Header=BB12_4 Depth=1
	v_lshl_add_u64 v[30:31], v[6:7], 0, s[18:19]
	global_load_ubyte v29, v[30:31], off
	s_or_b64 exec, exec, s[20:21]
	s_and_saveexec_b64 s[20:21], vcc
	s_cbranch_execz .LBB12_12
.LBB12_16:                              ;   in Loop: Header=BB12_4 Depth=1
	s_waitcnt vmcnt(0)
	v_add_u16_e32 v27, s24, v27
	v_lshl_add_u64 v[30:31], v[4:5], 0, s[18:19]
	global_store_byte v[30:31], v27, off
	s_or_b64 exec, exec, s[20:21]
	s_and_saveexec_b64 s[20:21], s[2:3]
	s_cbranch_execz .LBB12_13
.LBB12_17:                              ;   in Loop: Header=BB12_4 Depth=1
	s_waitcnt vmcnt(0)
	v_add_u16_e32 v27, s24, v28
	v_lshl_add_u64 v[30:31], v[20:21], 0, s[18:19]
	global_store_byte v[30:31], v27, off
	s_or_b64 exec, exec, s[20:21]
	s_and_saveexec_b64 s[2:3], s[4:5]
	s_cbranch_execz .LBB12_14
.LBB12_18:                              ;   in Loop: Header=BB12_4 Depth=1
	s_waitcnt vmcnt(0)
	v_add_u16_e32 v28, s24, v26
	v_lshl_add_u64 v[26:27], v[14:15], 0, s[18:19]
	global_store_byte v[26:27], v28, off
	s_or_b64 exec, exec, s[2:3]
	s_and_saveexec_b64 s[2:3], s[6:7]
	s_cbranch_execz .LBB12_3
.LBB12_19:                              ;   in Loop: Header=BB12_4 Depth=1
	s_waitcnt vmcnt(0)
	v_add_u16_e32 v28, s24, v29
	v_lshl_add_u64 v[26:27], v[8:9], 0, s[18:19]
	global_store_byte v[26:27], v28, off
	s_branch .LBB12_3
.LBB12_20:
	s_mov_b64 s[2:3], 0
.LBB12_21:
	s_andn2_b64 vcc, exec, s[2:3]
	s_cbranch_vccnz .LBB12_25
; %bb.22:
	v_mov_b64_e32 v[4:5], 0x10000
	v_cmp_lt_i64_e32 vcc, s[14:15], v[4:5]
	s_and_b64 s[4:5], vcc, exec
	v_mov_b32_e32 v3, 0
	s_cselect_b32 s5, s15, 0
	s_cselect_b32 s4, s14, 0x10000
	v_lshlrev_b32_e32 v2, 2, v0
	s_mov_b32 s3, 0
	v_cmp_gt_i64_e32 vcc, s[4:5], v[2:3]
	s_and_saveexec_b64 s[6:7], vcc
	s_cbranch_execz .LBB12_25
; %bb.23:
	s_load_dword s0, s[0:1], 0xc5c
	v_mov_b32_e32 v1, v3
	v_lshl_add_u64 v[2:3], s[12:13], 0, v[2:3]
	s_mov_b32 s1, s3
	s_mov_b64 s[6:7], 0
	s_waitcnt lgkmcnt(0)
	s_and_b32 s2, s0, 0xffff
	s_lshl_b32 s0, s2, 2
	s_lshr_b32 s12, s22, 16
	s_movk_i32 s13, 0xff
.LBB12_24:                              ; =>This Inner Loop Header: Depth=1
	v_lshl_add_u64 v[4:5], s[8:9], 0, v[2:3]
	global_load_dword v8, v[4:5], off
	v_lshl_add_u64 v[0:1], v[0:1], 0, s[2:3]
	v_lshlrev_b64 v[6:7], 2, v[0:1]
	v_cmp_le_i64_e32 vcc, s[4:5], v[6:7]
	v_lshl_add_u64 v[4:5], s[10:11], 0, v[2:3]
	v_lshl_add_u64 v[2:3], v[2:3], 0, s[0:1]
	s_or_b64 s[6:7], vcc, s[6:7]
	s_waitcnt vmcnt(0)
	v_add_u16_e32 v6, s12, v8
	v_lshrrev_b32_e32 v7, 8, v8
	v_add_u16_sdwa v9, s12, v8 dst_sel:DWORD dst_unused:UNUSED_PAD src0_sel:DWORD src1_sel:WORD_1
	v_add_u16_sdwa v8, s12, v8 dst_sel:BYTE_1 dst_unused:UNUSED_PAD src0_sel:DWORD src1_sel:BYTE_3
	v_add_u16_sdwa v7, s12, v7 dst_sel:BYTE_1 dst_unused:UNUSED_PAD src0_sel:DWORD src1_sel:DWORD
	v_bitop3_b16 v8, v9, v8, s13 bitop3:0xec
	v_bitop3_b16 v6, v6, v7, s13 bitop3:0xec
	v_lshlrev_b32_e32 v7, 16, v8
	v_or_b32_sdwa v6, v6, v7 dst_sel:DWORD dst_unused:UNUSED_PAD src0_sel:WORD_0 src1_sel:DWORD
	global_store_dword v[4:5], v6, off
	s_andn2_b64 exec, exec, s[6:7]
	s_cbranch_execnz .LBB12_24
.LBB12_25:
	s_endpgm
	.section	.rodata,"a",@progbits
	.p2align	6, 0x0
	.amdhsa_kernel _ZN2at6native12_GLOBAL__N_125multi_tensor_apply_kernelINS1_18TensorListMetadataILi2EEENS1_21BinaryOpScalarFunctorIhLi2ELi1ELi1EEEJSt4plusIhEhEEEvT_T0_DpT1_
		.amdhsa_group_segment_fixed_size 0
		.amdhsa_private_segment_fixed_size 0
		.amdhsa_kernarg_size 3408
		.amdhsa_user_sgpr_count 2
		.amdhsa_user_sgpr_dispatch_ptr 0
		.amdhsa_user_sgpr_queue_ptr 0
		.amdhsa_user_sgpr_kernarg_segment_ptr 1
		.amdhsa_user_sgpr_dispatch_id 0
		.amdhsa_user_sgpr_kernarg_preload_length 0
		.amdhsa_user_sgpr_kernarg_preload_offset 0
		.amdhsa_user_sgpr_private_segment_size 0
		.amdhsa_uses_dynamic_stack 0
		.amdhsa_enable_private_segment 0
		.amdhsa_system_sgpr_workgroup_id_x 1
		.amdhsa_system_sgpr_workgroup_id_y 0
		.amdhsa_system_sgpr_workgroup_id_z 0
		.amdhsa_system_sgpr_workgroup_info 0
		.amdhsa_system_vgpr_workitem_id 0
		.amdhsa_next_free_vgpr 32
		.amdhsa_next_free_sgpr 25
		.amdhsa_accum_offset 32
		.amdhsa_reserve_vcc 1
		.amdhsa_float_round_mode_32 0
		.amdhsa_float_round_mode_16_64 0
		.amdhsa_float_denorm_mode_32 3
		.amdhsa_float_denorm_mode_16_64 3
		.amdhsa_dx10_clamp 1
		.amdhsa_ieee_mode 1
		.amdhsa_fp16_overflow 0
		.amdhsa_tg_split 0
		.amdhsa_exception_fp_ieee_invalid_op 0
		.amdhsa_exception_fp_denorm_src 0
		.amdhsa_exception_fp_ieee_div_zero 0
		.amdhsa_exception_fp_ieee_overflow 0
		.amdhsa_exception_fp_ieee_underflow 0
		.amdhsa_exception_fp_ieee_inexact 0
		.amdhsa_exception_int_div_zero 0
	.end_amdhsa_kernel
	.section	.text._ZN2at6native12_GLOBAL__N_125multi_tensor_apply_kernelINS1_18TensorListMetadataILi2EEENS1_21BinaryOpScalarFunctorIhLi2ELi1ELi1EEEJSt4plusIhEhEEEvT_T0_DpT1_,"axG",@progbits,_ZN2at6native12_GLOBAL__N_125multi_tensor_apply_kernelINS1_18TensorListMetadataILi2EEENS1_21BinaryOpScalarFunctorIhLi2ELi1ELi1EEEJSt4plusIhEhEEEvT_T0_DpT1_,comdat
.Lfunc_end12:
	.size	_ZN2at6native12_GLOBAL__N_125multi_tensor_apply_kernelINS1_18TensorListMetadataILi2EEENS1_21BinaryOpScalarFunctorIhLi2ELi1ELi1EEEJSt4plusIhEhEEEvT_T0_DpT1_, .Lfunc_end12-_ZN2at6native12_GLOBAL__N_125multi_tensor_apply_kernelINS1_18TensorListMetadataILi2EEENS1_21BinaryOpScalarFunctorIhLi2ELi1ELi1EEEJSt4plusIhEhEEEvT_T0_DpT1_
                                        ; -- End function
	.set _ZN2at6native12_GLOBAL__N_125multi_tensor_apply_kernelINS1_18TensorListMetadataILi2EEENS1_21BinaryOpScalarFunctorIhLi2ELi1ELi1EEEJSt4plusIhEhEEEvT_T0_DpT1_.num_vgpr, 32
	.set _ZN2at6native12_GLOBAL__N_125multi_tensor_apply_kernelINS1_18TensorListMetadataILi2EEENS1_21BinaryOpScalarFunctorIhLi2ELi1ELi1EEEJSt4plusIhEhEEEvT_T0_DpT1_.num_agpr, 0
	.set _ZN2at6native12_GLOBAL__N_125multi_tensor_apply_kernelINS1_18TensorListMetadataILi2EEENS1_21BinaryOpScalarFunctorIhLi2ELi1ELi1EEEJSt4plusIhEhEEEvT_T0_DpT1_.numbered_sgpr, 25
	.set _ZN2at6native12_GLOBAL__N_125multi_tensor_apply_kernelINS1_18TensorListMetadataILi2EEENS1_21BinaryOpScalarFunctorIhLi2ELi1ELi1EEEJSt4plusIhEhEEEvT_T0_DpT1_.num_named_barrier, 0
	.set _ZN2at6native12_GLOBAL__N_125multi_tensor_apply_kernelINS1_18TensorListMetadataILi2EEENS1_21BinaryOpScalarFunctorIhLi2ELi1ELi1EEEJSt4plusIhEhEEEvT_T0_DpT1_.private_seg_size, 0
	.set _ZN2at6native12_GLOBAL__N_125multi_tensor_apply_kernelINS1_18TensorListMetadataILi2EEENS1_21BinaryOpScalarFunctorIhLi2ELi1ELi1EEEJSt4plusIhEhEEEvT_T0_DpT1_.uses_vcc, 1
	.set _ZN2at6native12_GLOBAL__N_125multi_tensor_apply_kernelINS1_18TensorListMetadataILi2EEENS1_21BinaryOpScalarFunctorIhLi2ELi1ELi1EEEJSt4plusIhEhEEEvT_T0_DpT1_.uses_flat_scratch, 0
	.set _ZN2at6native12_GLOBAL__N_125multi_tensor_apply_kernelINS1_18TensorListMetadataILi2EEENS1_21BinaryOpScalarFunctorIhLi2ELi1ELi1EEEJSt4plusIhEhEEEvT_T0_DpT1_.has_dyn_sized_stack, 0
	.set _ZN2at6native12_GLOBAL__N_125multi_tensor_apply_kernelINS1_18TensorListMetadataILi2EEENS1_21BinaryOpScalarFunctorIhLi2ELi1ELi1EEEJSt4plusIhEhEEEvT_T0_DpT1_.has_recursion, 0
	.set _ZN2at6native12_GLOBAL__N_125multi_tensor_apply_kernelINS1_18TensorListMetadataILi2EEENS1_21BinaryOpScalarFunctorIhLi2ELi1ELi1EEEJSt4plusIhEhEEEvT_T0_DpT1_.has_indirect_call, 0
	.section	.AMDGPU.csdata,"",@progbits
; Kernel info:
; codeLenInByte = 1068
; TotalNumSgprs: 31
; NumVgprs: 32
; NumAgprs: 0
; TotalNumVgprs: 32
; ScratchSize: 0
; MemoryBound: 0
; FloatMode: 240
; IeeeMode: 1
; LDSByteSize: 0 bytes/workgroup (compile time only)
; SGPRBlocks: 3
; VGPRBlocks: 3
; NumSGPRsForWavesPerEU: 31
; NumVGPRsForWavesPerEU: 32
; AccumOffset: 32
; Occupancy: 8
; WaveLimiterHint : 0
; COMPUTE_PGM_RSRC2:SCRATCH_EN: 0
; COMPUTE_PGM_RSRC2:USER_SGPR: 2
; COMPUTE_PGM_RSRC2:TRAP_HANDLER: 0
; COMPUTE_PGM_RSRC2:TGID_X_EN: 1
; COMPUTE_PGM_RSRC2:TGID_Y_EN: 0
; COMPUTE_PGM_RSRC2:TGID_Z_EN: 0
; COMPUTE_PGM_RSRC2:TIDIG_COMP_CNT: 0
; COMPUTE_PGM_RSRC3_GFX90A:ACCUM_OFFSET: 7
; COMPUTE_PGM_RSRC3_GFX90A:TG_SPLIT: 0
	.section	.text._ZN2at6native12_GLOBAL__N_125multi_tensor_apply_kernelINS1_18TensorListMetadataILi2EEENS1_21BinaryOpScalarFunctorIaLi2ELi1ELi1EEEJSt4plusIaEaEEEvT_T0_DpT1_,"axG",@progbits,_ZN2at6native12_GLOBAL__N_125multi_tensor_apply_kernelINS1_18TensorListMetadataILi2EEENS1_21BinaryOpScalarFunctorIaLi2ELi1ELi1EEEJSt4plusIaEaEEEvT_T0_DpT1_,comdat
	.globl	_ZN2at6native12_GLOBAL__N_125multi_tensor_apply_kernelINS1_18TensorListMetadataILi2EEENS1_21BinaryOpScalarFunctorIaLi2ELi1ELi1EEEJSt4plusIaEaEEEvT_T0_DpT1_ ; -- Begin function _ZN2at6native12_GLOBAL__N_125multi_tensor_apply_kernelINS1_18TensorListMetadataILi2EEENS1_21BinaryOpScalarFunctorIaLi2ELi1ELi1EEEJSt4plusIaEaEEEvT_T0_DpT1_
	.p2align	8
	.type	_ZN2at6native12_GLOBAL__N_125multi_tensor_apply_kernelINS1_18TensorListMetadataILi2EEENS1_21BinaryOpScalarFunctorIaLi2ELi1ELi1EEEJSt4plusIaEaEEEvT_T0_DpT1_,@function
_ZN2at6native12_GLOBAL__N_125multi_tensor_apply_kernelINS1_18TensorListMetadataILi2EEENS1_21BinaryOpScalarFunctorIaLi2ELi1ELi1EEEJSt4plusIaEaEEEvT_T0_DpT1_: ; @_ZN2at6native12_GLOBAL__N_125multi_tensor_apply_kernelINS1_18TensorListMetadataILi2EEENS1_21BinaryOpScalarFunctorIaLi2ELi1ELi1EEEJSt4plusIaEaEEEvT_T0_DpT1_
; %bb.0:
	v_mov_b32_e32 v1, s2
	global_load_ubyte v1, v1, s[0:1] offset:1536
	s_add_u32 s3, s0, s2
	s_mul_hi_u32 s4, s2, 3
	s_mul_i32 s2, s2, 3
	s_addc_u32 s5, s1, 0
	s_add_u32 s2, s3, s2
	s_addc_u32 s3, s5, s4
	s_load_dword s2, s[2:3], 0x740
	s_waitcnt lgkmcnt(0)
	s_ashr_i32 s3, s2, 31
	s_lshl_b64 s[12:13], s[2:3], 16
	s_waitcnt vmcnt(0)
	v_readfirstlane_b32 s4, v1
	s_lshl_b32 s6, s4, 3
	s_load_dwordx2 s[8:9], s[0:1], s6 offset:0x0
	s_load_dwordx2 s[4:5], s[0:1], s6 offset:0x400
	s_load_dword s22, s[0:1], 0xc48
	s_load_dwordx2 s[10:11], s[0:1], s6 offset:0x200
	s_waitcnt lgkmcnt(0)
	s_add_u32 s2, s8, s12
	s_sub_u32 s14, s4, s12
	s_subb_u32 s15, s5, s13
	s_or_b32 s3, s4, s10
	s_or_b32 s2, s3, s2
	s_and_b32 s2, s2, 3
	s_cmp_eq_u32 s2, 0
	s_mov_b64 s[2:3], -1
	s_cbranch_scc1 .LBB13_21
; %bb.1:
	v_cmp_lt_i64_e64 s[2:3], s[14:15], 1
	s_and_b64 vcc, exec, s[2:3]
	s_cbranch_vccnz .LBB13_20
; %bb.2:
	s_load_dword s2, s[0:1], 0xc5c
	v_mov_b64_e32 v[2:3], 0x10000
	v_cmp_lt_i64_e32 vcc, s[14:15], v[2:3]
	s_and_b64 s[4:5], vcc, exec
	s_cselect_b32 s5, s15, 0
	s_cselect_b32 s4, s14, 0x10000
	s_waitcnt lgkmcnt(0)
	s_and_b32 s2, s2, 0xffff
	v_cmp_lt_u64_e32 vcc, s[14:15], v[2:3]
	s_and_b64 s[6:7], vcc, exec
	s_cselect_b32 s17, s15, 0
	s_cselect_b32 s16, s14, 0x10000
	s_lshl_b32 s6, s2, 1
	s_mul_i32 s18, s2, 3
	s_lshl_b32 s23, s2, 2
	s_mov_b32 s3, 0
	s_add_u32 s20, s12, s18
	v_mov_b32_e32 v1, 0
	s_mov_b32 s19, s3
	s_addc_u32 s21, s13, 0
	v_lshl_add_u64 v[10:11], s[18:19], 0, v[0:1]
	s_add_u32 s18, s12, s6
	v_lshl_add_u64 v[18:19], s[12:13], 0, v[0:1]
	s_addc_u32 s19, s13, 0
	s_mov_b32 s7, s3
	v_lshl_add_u64 v[8:9], s[20:21], 0, v[0:1]
	v_lshl_add_u64 v[14:15], s[18:19], 0, v[0:1]
	;; [unrolled: 1-line block ×13, first 2 shown]
	s_mov_b64 s[18:19], 0
	s_lshr_b32 s24, s22, 16
	v_mov_b64_e32 v[24:25], s[4:5]
	s_branch .LBB13_4
.LBB13_3:                               ;   in Loop: Header=BB13_4 Depth=1
	s_or_b64 exec, exec, s[2:3]
	s_add_u32 s18, s18, s23
	s_addc_u32 s19, s19, 0
	v_cmp_lt_i64_e32 vcc, s[18:19], v[24:25]
	s_cbranch_vccz .LBB13_20
.LBB13_4:                               ; =>This Inner Loop Header: Depth=1
	s_waitcnt vmcnt(0)
	v_lshl_add_u64 v[26:27], v[0:1], 0, s[18:19]
	v_cmp_gt_u64_e32 vcc, s[16:17], v[26:27]
	v_mov_b32_e32 v27, 0
	s_and_saveexec_b64 s[2:3], vcc
	s_cbranch_execz .LBB13_6
; %bb.5:                                ;   in Loop: Header=BB13_4 Depth=1
	v_lshl_add_u64 v[26:27], v[2:3], 0, s[18:19]
	global_load_ubyte v27, v[26:27], off
.LBB13_6:                               ;   in Loop: Header=BB13_4 Depth=1
	s_or_b64 exec, exec, s[2:3]
	v_lshl_add_u64 v[28:29], v[22:23], 0, s[18:19]
	v_cmp_gt_u64_e64 s[2:3], s[16:17], v[28:29]
	v_mov_b32_e32 v26, 0
	v_mov_b32_e32 v28, 0
	s_and_saveexec_b64 s[4:5], s[2:3]
	s_cbranch_execz .LBB13_8
; %bb.7:                                ;   in Loop: Header=BB13_4 Depth=1
	v_lshl_add_u64 v[28:29], v[18:19], 0, s[18:19]
	global_load_ubyte v28, v[28:29], off
.LBB13_8:                               ;   in Loop: Header=BB13_4 Depth=1
	s_or_b64 exec, exec, s[4:5]
	v_lshl_add_u64 v[30:31], v[16:17], 0, s[18:19]
	v_cmp_gt_u64_e64 s[4:5], s[16:17], v[30:31]
	s_and_saveexec_b64 s[6:7], s[4:5]
	s_cbranch_execz .LBB13_10
; %bb.9:                                ;   in Loop: Header=BB13_4 Depth=1
	v_lshl_add_u64 v[30:31], v[12:13], 0, s[18:19]
	global_load_ubyte v26, v[30:31], off
.LBB13_10:                              ;   in Loop: Header=BB13_4 Depth=1
	s_or_b64 exec, exec, s[6:7]
	v_lshl_add_u64 v[30:31], v[10:11], 0, s[18:19]
	v_cmp_gt_u64_e64 s[6:7], s[16:17], v[30:31]
	v_mov_b32_e32 v29, 0
	s_and_saveexec_b64 s[20:21], s[6:7]
	s_cbranch_execnz .LBB13_15
; %bb.11:                               ;   in Loop: Header=BB13_4 Depth=1
	s_or_b64 exec, exec, s[20:21]
	s_and_saveexec_b64 s[20:21], vcc
	s_cbranch_execnz .LBB13_16
.LBB13_12:                              ;   in Loop: Header=BB13_4 Depth=1
	s_or_b64 exec, exec, s[20:21]
	s_and_saveexec_b64 s[20:21], s[2:3]
	s_cbranch_execnz .LBB13_17
.LBB13_13:                              ;   in Loop: Header=BB13_4 Depth=1
	s_or_b64 exec, exec, s[20:21]
	s_and_saveexec_b64 s[2:3], s[4:5]
	s_cbranch_execnz .LBB13_18
.LBB13_14:                              ;   in Loop: Header=BB13_4 Depth=1
	s_or_b64 exec, exec, s[2:3]
	s_and_saveexec_b64 s[2:3], s[6:7]
	s_cbranch_execz .LBB13_3
	s_branch .LBB13_19
.LBB13_15:                              ;   in Loop: Header=BB13_4 Depth=1
	v_lshl_add_u64 v[30:31], v[6:7], 0, s[18:19]
	global_load_ubyte v29, v[30:31], off
	s_or_b64 exec, exec, s[20:21]
	s_and_saveexec_b64 s[20:21], vcc
	s_cbranch_execz .LBB13_12
.LBB13_16:                              ;   in Loop: Header=BB13_4 Depth=1
	s_waitcnt vmcnt(0)
	v_add_u16_e32 v27, s24, v27
	v_lshl_add_u64 v[30:31], v[4:5], 0, s[18:19]
	global_store_byte v[30:31], v27, off
	s_or_b64 exec, exec, s[20:21]
	s_and_saveexec_b64 s[20:21], s[2:3]
	s_cbranch_execz .LBB13_13
.LBB13_17:                              ;   in Loop: Header=BB13_4 Depth=1
	s_waitcnt vmcnt(0)
	v_add_u16_e32 v27, s24, v28
	v_lshl_add_u64 v[30:31], v[20:21], 0, s[18:19]
	global_store_byte v[30:31], v27, off
	s_or_b64 exec, exec, s[20:21]
	s_and_saveexec_b64 s[2:3], s[4:5]
	s_cbranch_execz .LBB13_14
.LBB13_18:                              ;   in Loop: Header=BB13_4 Depth=1
	s_waitcnt vmcnt(0)
	v_add_u16_e32 v28, s24, v26
	v_lshl_add_u64 v[26:27], v[14:15], 0, s[18:19]
	global_store_byte v[26:27], v28, off
	s_or_b64 exec, exec, s[2:3]
	s_and_saveexec_b64 s[2:3], s[6:7]
	s_cbranch_execz .LBB13_3
.LBB13_19:                              ;   in Loop: Header=BB13_4 Depth=1
	s_waitcnt vmcnt(0)
	v_add_u16_e32 v28, s24, v29
	v_lshl_add_u64 v[26:27], v[8:9], 0, s[18:19]
	global_store_byte v[26:27], v28, off
	s_branch .LBB13_3
.LBB13_20:
	s_mov_b64 s[2:3], 0
.LBB13_21:
	s_andn2_b64 vcc, exec, s[2:3]
	s_cbranch_vccnz .LBB13_25
; %bb.22:
	v_mov_b64_e32 v[4:5], 0x10000
	v_cmp_lt_i64_e32 vcc, s[14:15], v[4:5]
	s_and_b64 s[4:5], vcc, exec
	v_mov_b32_e32 v3, 0
	s_cselect_b32 s5, s15, 0
	s_cselect_b32 s4, s14, 0x10000
	v_lshlrev_b32_e32 v2, 2, v0
	s_mov_b32 s3, 0
	v_cmp_gt_i64_e32 vcc, s[4:5], v[2:3]
	s_and_saveexec_b64 s[6:7], vcc
	s_cbranch_execz .LBB13_25
; %bb.23:
	s_load_dword s0, s[0:1], 0xc5c
	v_mov_b32_e32 v1, v3
	v_lshl_add_u64 v[2:3], s[12:13], 0, v[2:3]
	s_mov_b32 s1, s3
	s_mov_b64 s[6:7], 0
	s_waitcnt lgkmcnt(0)
	s_and_b32 s2, s0, 0xffff
	s_lshl_b32 s0, s2, 2
	s_lshr_b32 s12, s22, 16
	s_movk_i32 s13, 0xff
.LBB13_24:                              ; =>This Inner Loop Header: Depth=1
	v_lshl_add_u64 v[4:5], s[8:9], 0, v[2:3]
	global_load_dword v8, v[4:5], off
	v_lshl_add_u64 v[0:1], v[0:1], 0, s[2:3]
	v_lshlrev_b64 v[6:7], 2, v[0:1]
	v_cmp_le_i64_e32 vcc, s[4:5], v[6:7]
	v_lshl_add_u64 v[4:5], s[10:11], 0, v[2:3]
	v_lshl_add_u64 v[2:3], v[2:3], 0, s[0:1]
	s_or_b64 s[6:7], vcc, s[6:7]
	s_waitcnt vmcnt(0)
	v_add_u16_e32 v6, s12, v8
	v_lshrrev_b32_e32 v7, 8, v8
	v_add_u16_sdwa v9, s12, v8 dst_sel:DWORD dst_unused:UNUSED_PAD src0_sel:DWORD src1_sel:WORD_1
	v_add_u16_sdwa v8, s12, v8 dst_sel:BYTE_1 dst_unused:UNUSED_PAD src0_sel:DWORD src1_sel:BYTE_3
	v_add_u16_sdwa v7, s12, v7 dst_sel:BYTE_1 dst_unused:UNUSED_PAD src0_sel:DWORD src1_sel:DWORD
	v_bitop3_b16 v8, v9, v8, s13 bitop3:0xec
	v_bitop3_b16 v6, v6, v7, s13 bitop3:0xec
	v_lshlrev_b32_e32 v7, 16, v8
	v_or_b32_sdwa v6, v6, v7 dst_sel:DWORD dst_unused:UNUSED_PAD src0_sel:WORD_0 src1_sel:DWORD
	global_store_dword v[4:5], v6, off
	s_andn2_b64 exec, exec, s[6:7]
	s_cbranch_execnz .LBB13_24
.LBB13_25:
	s_endpgm
	.section	.rodata,"a",@progbits
	.p2align	6, 0x0
	.amdhsa_kernel _ZN2at6native12_GLOBAL__N_125multi_tensor_apply_kernelINS1_18TensorListMetadataILi2EEENS1_21BinaryOpScalarFunctorIaLi2ELi1ELi1EEEJSt4plusIaEaEEEvT_T0_DpT1_
		.amdhsa_group_segment_fixed_size 0
		.amdhsa_private_segment_fixed_size 0
		.amdhsa_kernarg_size 3408
		.amdhsa_user_sgpr_count 2
		.amdhsa_user_sgpr_dispatch_ptr 0
		.amdhsa_user_sgpr_queue_ptr 0
		.amdhsa_user_sgpr_kernarg_segment_ptr 1
		.amdhsa_user_sgpr_dispatch_id 0
		.amdhsa_user_sgpr_kernarg_preload_length 0
		.amdhsa_user_sgpr_kernarg_preload_offset 0
		.amdhsa_user_sgpr_private_segment_size 0
		.amdhsa_uses_dynamic_stack 0
		.amdhsa_enable_private_segment 0
		.amdhsa_system_sgpr_workgroup_id_x 1
		.amdhsa_system_sgpr_workgroup_id_y 0
		.amdhsa_system_sgpr_workgroup_id_z 0
		.amdhsa_system_sgpr_workgroup_info 0
		.amdhsa_system_vgpr_workitem_id 0
		.amdhsa_next_free_vgpr 32
		.amdhsa_next_free_sgpr 25
		.amdhsa_accum_offset 32
		.amdhsa_reserve_vcc 1
		.amdhsa_float_round_mode_32 0
		.amdhsa_float_round_mode_16_64 0
		.amdhsa_float_denorm_mode_32 3
		.amdhsa_float_denorm_mode_16_64 3
		.amdhsa_dx10_clamp 1
		.amdhsa_ieee_mode 1
		.amdhsa_fp16_overflow 0
		.amdhsa_tg_split 0
		.amdhsa_exception_fp_ieee_invalid_op 0
		.amdhsa_exception_fp_denorm_src 0
		.amdhsa_exception_fp_ieee_div_zero 0
		.amdhsa_exception_fp_ieee_overflow 0
		.amdhsa_exception_fp_ieee_underflow 0
		.amdhsa_exception_fp_ieee_inexact 0
		.amdhsa_exception_int_div_zero 0
	.end_amdhsa_kernel
	.section	.text._ZN2at6native12_GLOBAL__N_125multi_tensor_apply_kernelINS1_18TensorListMetadataILi2EEENS1_21BinaryOpScalarFunctorIaLi2ELi1ELi1EEEJSt4plusIaEaEEEvT_T0_DpT1_,"axG",@progbits,_ZN2at6native12_GLOBAL__N_125multi_tensor_apply_kernelINS1_18TensorListMetadataILi2EEENS1_21BinaryOpScalarFunctorIaLi2ELi1ELi1EEEJSt4plusIaEaEEEvT_T0_DpT1_,comdat
.Lfunc_end13:
	.size	_ZN2at6native12_GLOBAL__N_125multi_tensor_apply_kernelINS1_18TensorListMetadataILi2EEENS1_21BinaryOpScalarFunctorIaLi2ELi1ELi1EEEJSt4plusIaEaEEEvT_T0_DpT1_, .Lfunc_end13-_ZN2at6native12_GLOBAL__N_125multi_tensor_apply_kernelINS1_18TensorListMetadataILi2EEENS1_21BinaryOpScalarFunctorIaLi2ELi1ELi1EEEJSt4plusIaEaEEEvT_T0_DpT1_
                                        ; -- End function
	.set _ZN2at6native12_GLOBAL__N_125multi_tensor_apply_kernelINS1_18TensorListMetadataILi2EEENS1_21BinaryOpScalarFunctorIaLi2ELi1ELi1EEEJSt4plusIaEaEEEvT_T0_DpT1_.num_vgpr, 32
	.set _ZN2at6native12_GLOBAL__N_125multi_tensor_apply_kernelINS1_18TensorListMetadataILi2EEENS1_21BinaryOpScalarFunctorIaLi2ELi1ELi1EEEJSt4plusIaEaEEEvT_T0_DpT1_.num_agpr, 0
	.set _ZN2at6native12_GLOBAL__N_125multi_tensor_apply_kernelINS1_18TensorListMetadataILi2EEENS1_21BinaryOpScalarFunctorIaLi2ELi1ELi1EEEJSt4plusIaEaEEEvT_T0_DpT1_.numbered_sgpr, 25
	.set _ZN2at6native12_GLOBAL__N_125multi_tensor_apply_kernelINS1_18TensorListMetadataILi2EEENS1_21BinaryOpScalarFunctorIaLi2ELi1ELi1EEEJSt4plusIaEaEEEvT_T0_DpT1_.num_named_barrier, 0
	.set _ZN2at6native12_GLOBAL__N_125multi_tensor_apply_kernelINS1_18TensorListMetadataILi2EEENS1_21BinaryOpScalarFunctorIaLi2ELi1ELi1EEEJSt4plusIaEaEEEvT_T0_DpT1_.private_seg_size, 0
	.set _ZN2at6native12_GLOBAL__N_125multi_tensor_apply_kernelINS1_18TensorListMetadataILi2EEENS1_21BinaryOpScalarFunctorIaLi2ELi1ELi1EEEJSt4plusIaEaEEEvT_T0_DpT1_.uses_vcc, 1
	.set _ZN2at6native12_GLOBAL__N_125multi_tensor_apply_kernelINS1_18TensorListMetadataILi2EEENS1_21BinaryOpScalarFunctorIaLi2ELi1ELi1EEEJSt4plusIaEaEEEvT_T0_DpT1_.uses_flat_scratch, 0
	.set _ZN2at6native12_GLOBAL__N_125multi_tensor_apply_kernelINS1_18TensorListMetadataILi2EEENS1_21BinaryOpScalarFunctorIaLi2ELi1ELi1EEEJSt4plusIaEaEEEvT_T0_DpT1_.has_dyn_sized_stack, 0
	.set _ZN2at6native12_GLOBAL__N_125multi_tensor_apply_kernelINS1_18TensorListMetadataILi2EEENS1_21BinaryOpScalarFunctorIaLi2ELi1ELi1EEEJSt4plusIaEaEEEvT_T0_DpT1_.has_recursion, 0
	.set _ZN2at6native12_GLOBAL__N_125multi_tensor_apply_kernelINS1_18TensorListMetadataILi2EEENS1_21BinaryOpScalarFunctorIaLi2ELi1ELi1EEEJSt4plusIaEaEEEvT_T0_DpT1_.has_indirect_call, 0
	.section	.AMDGPU.csdata,"",@progbits
; Kernel info:
; codeLenInByte = 1068
; TotalNumSgprs: 31
; NumVgprs: 32
; NumAgprs: 0
; TotalNumVgprs: 32
; ScratchSize: 0
; MemoryBound: 0
; FloatMode: 240
; IeeeMode: 1
; LDSByteSize: 0 bytes/workgroup (compile time only)
; SGPRBlocks: 3
; VGPRBlocks: 3
; NumSGPRsForWavesPerEU: 31
; NumVGPRsForWavesPerEU: 32
; AccumOffset: 32
; Occupancy: 8
; WaveLimiterHint : 0
; COMPUTE_PGM_RSRC2:SCRATCH_EN: 0
; COMPUTE_PGM_RSRC2:USER_SGPR: 2
; COMPUTE_PGM_RSRC2:TRAP_HANDLER: 0
; COMPUTE_PGM_RSRC2:TGID_X_EN: 1
; COMPUTE_PGM_RSRC2:TGID_Y_EN: 0
; COMPUTE_PGM_RSRC2:TGID_Z_EN: 0
; COMPUTE_PGM_RSRC2:TIDIG_COMP_CNT: 0
; COMPUTE_PGM_RSRC3_GFX90A:ACCUM_OFFSET: 7
; COMPUTE_PGM_RSRC3_GFX90A:TG_SPLIT: 0
	.section	.text._ZN2at6native12_GLOBAL__N_125multi_tensor_apply_kernelINS1_18TensorListMetadataILi2EEENS1_21BinaryOpScalarFunctorIiLi2ELi1ELi1EEEJSt4plusIiEiEEEvT_T0_DpT1_,"axG",@progbits,_ZN2at6native12_GLOBAL__N_125multi_tensor_apply_kernelINS1_18TensorListMetadataILi2EEENS1_21BinaryOpScalarFunctorIiLi2ELi1ELi1EEEJSt4plusIiEiEEEvT_T0_DpT1_,comdat
	.globl	_ZN2at6native12_GLOBAL__N_125multi_tensor_apply_kernelINS1_18TensorListMetadataILi2EEENS1_21BinaryOpScalarFunctorIiLi2ELi1ELi1EEEJSt4plusIiEiEEEvT_T0_DpT1_ ; -- Begin function _ZN2at6native12_GLOBAL__N_125multi_tensor_apply_kernelINS1_18TensorListMetadataILi2EEENS1_21BinaryOpScalarFunctorIiLi2ELi1ELi1EEEJSt4plusIiEiEEEvT_T0_DpT1_
	.p2align	8
	.type	_ZN2at6native12_GLOBAL__N_125multi_tensor_apply_kernelINS1_18TensorListMetadataILi2EEENS1_21BinaryOpScalarFunctorIiLi2ELi1ELi1EEEJSt4plusIiEiEEEvT_T0_DpT1_,@function
_ZN2at6native12_GLOBAL__N_125multi_tensor_apply_kernelINS1_18TensorListMetadataILi2EEENS1_21BinaryOpScalarFunctorIiLi2ELi1ELi1EEEJSt4plusIiEiEEEvT_T0_DpT1_: ; @_ZN2at6native12_GLOBAL__N_125multi_tensor_apply_kernelINS1_18TensorListMetadataILi2EEENS1_21BinaryOpScalarFunctorIiLi2ELi1ELi1EEEJSt4plusIiEiEEEvT_T0_DpT1_
; %bb.0:
	v_mov_b32_e32 v1, s2
	global_load_ubyte v1, v1, s[0:1] offset:1536
	s_add_u32 s4, s0, s2
	s_mul_hi_u32 s7, s2, 3
	s_mul_i32 s2, s2, 3
	s_addc_u32 s8, s1, 0
	s_add_u32 s6, s4, s2
	s_addc_u32 s7, s8, s7
	s_load_dword s6, s[6:7], 0x740
	s_mov_b32 s3, 0
	s_mov_b32 s5, s3
	s_waitcnt lgkmcnt(0)
	s_ashr_i32 s7, s6, 31
	s_lshl_b64 s[12:13], s[6:7], 18
	s_lshl_b64 s[6:7], s[6:7], 16
	s_waitcnt vmcnt(0)
	v_readfirstlane_b32 s2, v1
	s_lshl_b32 s2, s2, 3
	s_load_dword s24, s[0:1], 0xc4c
	s_load_dwordx2 s[16:17], s[0:1], s2 offset:0x400
	s_load_dwordx2 s[10:11], s[0:1], s2 offset:0x0
	;; [unrolled: 1-line block ×3, first 2 shown]
	s_waitcnt lgkmcnt(0)
	s_add_u32 s2, s10, s12
	s_and_b32 s4, s8, 15
	s_and_b32 s2, s2, 15
	s_sub_u32 s14, s16, s6
	s_subb_u32 s15, s17, s7
	s_and_b32 s6, s16, 3
	s_mov_b32 s7, s3
	s_or_b64 s[4:5], s[4:5], s[6:7]
	s_or_b64 s[2:3], s[4:5], s[2:3]
	s_cmp_eq_u64 s[2:3], 0
	s_mov_b64 s[2:3], -1
	s_cbranch_scc1 .LBB14_21
; %bb.1:
	v_cmp_lt_i64_e64 s[2:3], s[14:15], 1
	s_and_b64 vcc, exec, s[2:3]
	s_cbranch_vccnz .LBB14_20
; %bb.2:
	s_load_dword s2, s[0:1], 0xc5c
	v_mov_b64_e32 v[2:3], 0x10000
	v_cmp_lt_i64_e32 vcc, s[14:15], v[2:3]
	s_and_b64 s[4:5], vcc, exec
	s_mov_b32 s3, 0
	s_cselect_b32 s5, s15, 0
	s_cselect_b32 s4, s14, 0x10000
	s_waitcnt lgkmcnt(0)
	s_and_b32 s2, s2, 0xffff
	v_cmp_lt_u64_e32 vcc, s[14:15], v[2:3]
	v_mov_b32_e32 v1, 0
	s_and_b64 s[6:7], vcc, exec
	s_mul_i32 s20, s2, 3
	s_mov_b32 s21, s3
	s_cselect_b32 s17, s15, 0
	s_cselect_b32 s16, s14, 0x10000
	v_lshlrev_b32_e32 v12, 2, v0
	v_mov_b32_e32 v13, v1
	v_lshl_add_u64 v[10:11], s[20:21], 0, v[0:1]
	s_lshl_b32 s20, s2, 3
	v_lshl_add_u64 v[18:19], v[0:1], 0, s[2:3]
	s_lshl_b32 s6, s2, 1
	s_mov_b32 s7, s3
	v_mad_u64_u32 v[8:9], s[22:23], s2, 12, v[12:13]
	v_lshl_add_u64 v[14:15], s[20:21], 0, v[12:13]
	v_lshlrev_b32_e32 v22, 2, v18
	v_mov_b32_e32 v23, v1
	s_lshl_b32 s25, s2, 2
	v_lshl_add_u64 v[2:3], s[10:11], 0, v[12:13]
	s_lshl_b32 s18, s2, 4
	s_mov_b32 s19, s3
	v_lshl_add_u64 v[4:5], s[8:9], 0, v[12:13]
	v_lshl_add_u64 v[6:7], s[10:11], 0, v[8:9]
	;; [unrolled: 1-line block ×8, first 2 shown]
	s_mov_b64 s[20:21], 0
	v_mov_b64_e32 v[24:25], s[4:5]
	s_branch .LBB14_4
.LBB14_3:                               ;   in Loop: Header=BB14_4 Depth=1
	s_or_b64 exec, exec, s[2:3]
	s_add_u32 s20, s20, s25
	s_addc_u32 s21, s21, 0
	v_cmp_lt_i64_e32 vcc, s[20:21], v[24:25]
	v_lshl_add_u64 v[2:3], v[2:3], 0, s[18:19]
	v_lshl_add_u64 v[4:5], v[4:5], 0, s[18:19]
	;; [unrolled: 1-line block ×8, first 2 shown]
	s_cbranch_vccz .LBB14_20
.LBB14_4:                               ; =>This Inner Loop Header: Depth=1
	s_waitcnt vmcnt(0)
	v_lshl_add_u64 v[26:27], v[0:1], 0, s[20:21]
	v_cmp_gt_u64_e32 vcc, s[16:17], v[26:27]
	v_mov_b32_e32 v27, 0
	s_and_saveexec_b64 s[2:3], vcc
	s_cbranch_execz .LBB14_6
; %bb.5:                                ;   in Loop: Header=BB14_4 Depth=1
	v_lshl_add_u64 v[26:27], v[2:3], 0, s[12:13]
	global_load_dword v27, v[26:27], off
.LBB14_6:                               ;   in Loop: Header=BB14_4 Depth=1
	s_or_b64 exec, exec, s[2:3]
	v_lshl_add_u64 v[28:29], v[18:19], 0, s[20:21]
	v_cmp_gt_u64_e64 s[2:3], s[16:17], v[28:29]
	v_mov_b32_e32 v26, 0
	v_mov_b32_e32 v28, 0
	s_and_saveexec_b64 s[4:5], s[2:3]
	s_cbranch_execz .LBB14_8
; %bb.7:                                ;   in Loop: Header=BB14_4 Depth=1
	v_lshl_add_u64 v[28:29], v[20:21], 0, s[12:13]
	global_load_dword v28, v[28:29], off
.LBB14_8:                               ;   in Loop: Header=BB14_4 Depth=1
	s_or_b64 exec, exec, s[4:5]
	v_lshl_add_u64 v[30:31], v[16:17], 0, s[20:21]
	v_cmp_gt_u64_e64 s[4:5], s[16:17], v[30:31]
	s_and_saveexec_b64 s[6:7], s[4:5]
	s_cbranch_execz .LBB14_10
; %bb.9:                                ;   in Loop: Header=BB14_4 Depth=1
	v_lshl_add_u64 v[30:31], v[12:13], 0, s[12:13]
	global_load_dword v26, v[30:31], off
.LBB14_10:                              ;   in Loop: Header=BB14_4 Depth=1
	s_or_b64 exec, exec, s[6:7]
	v_lshl_add_u64 v[30:31], v[10:11], 0, s[20:21]
	v_cmp_gt_u64_e64 s[6:7], s[16:17], v[30:31]
	v_mov_b32_e32 v29, 0
	s_and_saveexec_b64 s[22:23], s[6:7]
	s_cbranch_execnz .LBB14_15
; %bb.11:                               ;   in Loop: Header=BB14_4 Depth=1
	s_or_b64 exec, exec, s[22:23]
	s_and_saveexec_b64 s[22:23], vcc
	s_cbranch_execnz .LBB14_16
.LBB14_12:                              ;   in Loop: Header=BB14_4 Depth=1
	s_or_b64 exec, exec, s[22:23]
	s_and_saveexec_b64 s[22:23], s[2:3]
	s_cbranch_execnz .LBB14_17
.LBB14_13:                              ;   in Loop: Header=BB14_4 Depth=1
	s_or_b64 exec, exec, s[22:23]
	s_and_saveexec_b64 s[2:3], s[4:5]
	s_cbranch_execnz .LBB14_18
.LBB14_14:                              ;   in Loop: Header=BB14_4 Depth=1
	s_or_b64 exec, exec, s[2:3]
	s_and_saveexec_b64 s[2:3], s[6:7]
	s_cbranch_execz .LBB14_3
	s_branch .LBB14_19
.LBB14_15:                              ;   in Loop: Header=BB14_4 Depth=1
	v_lshl_add_u64 v[30:31], v[6:7], 0, s[12:13]
	global_load_dword v29, v[30:31], off
	s_or_b64 exec, exec, s[22:23]
	s_and_saveexec_b64 s[22:23], vcc
	s_cbranch_execz .LBB14_12
.LBB14_16:                              ;   in Loop: Header=BB14_4 Depth=1
	s_waitcnt vmcnt(0)
	v_add_u32_e32 v27, s24, v27
	v_lshl_add_u64 v[30:31], v[4:5], 0, s[12:13]
	global_store_dword v[30:31], v27, off
	s_or_b64 exec, exec, s[22:23]
	s_and_saveexec_b64 s[22:23], s[2:3]
	s_cbranch_execz .LBB14_13
.LBB14_17:                              ;   in Loop: Header=BB14_4 Depth=1
	s_waitcnt vmcnt(0)
	v_add_u32_e32 v27, s24, v28
	v_lshl_add_u64 v[30:31], v[22:23], 0, s[12:13]
	global_store_dword v[30:31], v27, off
	s_or_b64 exec, exec, s[22:23]
	s_and_saveexec_b64 s[2:3], s[4:5]
	s_cbranch_execz .LBB14_14
.LBB14_18:                              ;   in Loop: Header=BB14_4 Depth=1
	s_waitcnt vmcnt(0)
	v_add_u32_e32 v28, s24, v26
	v_lshl_add_u64 v[26:27], v[14:15], 0, s[12:13]
	global_store_dword v[26:27], v28, off
	s_or_b64 exec, exec, s[2:3]
	s_and_saveexec_b64 s[2:3], s[6:7]
	s_cbranch_execz .LBB14_3
.LBB14_19:                              ;   in Loop: Header=BB14_4 Depth=1
	s_waitcnt vmcnt(0)
	v_add_u32_e32 v28, s24, v29
	v_lshl_add_u64 v[26:27], v[8:9], 0, s[12:13]
	global_store_dword v[26:27], v28, off
	s_branch .LBB14_3
.LBB14_20:
	s_mov_b64 s[2:3], 0
.LBB14_21:
	s_andn2_b64 vcc, exec, s[2:3]
	s_cbranch_vccnz .LBB14_25
; %bb.22:
	v_mov_b64_e32 v[4:5], 0x10000
	v_cmp_lt_i64_e32 vcc, s[14:15], v[4:5]
	s_and_b64 s[4:5], vcc, exec
	v_mov_b32_e32 v3, 0
	s_cselect_b32 s5, s15, 0
	s_cselect_b32 s4, s14, 0x10000
	v_lshlrev_b32_e32 v2, 2, v0
	s_mov_b32 s3, 0
	v_cmp_gt_i64_e32 vcc, s[4:5], v[2:3]
	s_and_saveexec_b64 s[6:7], vcc
	s_cbranch_execz .LBB14_25
; %bb.23:
	s_load_dword s0, s[0:1], 0xc5c
	v_lshlrev_b32_e32 v2, 4, v0
	v_mov_b32_e32 v1, v3
	s_mov_b32 s14, s24
	v_lshl_add_u64 v[2:3], s[12:13], 0, v[2:3]
	s_waitcnt lgkmcnt(0)
	s_and_b32 s2, s0, 0xffff
	s_lshl_b32 s0, s2, 4
	s_add_u32 s6, s10, 8
	s_mov_b32 s1, s3
	s_addc_u32 s7, s11, 0
	s_mov_b64 s[10:11], 0
.LBB14_24:                              ; =>This Inner Loop Header: Depth=1
	v_lshl_add_u64 v[4:5], s[6:7], 0, v[2:3]
	global_load_dwordx4 v[4:7], v[4:5], off offset:-8
	v_lshl_add_u64 v[0:1], v[0:1], 0, s[2:3]
	v_lshlrev_b64 v[10:11], 2, v[0:1]
	v_cmp_le_i64_e32 vcc, s[4:5], v[10:11]
	v_lshl_add_u64 v[8:9], s[8:9], 0, v[2:3]
	v_lshl_add_u64 v[2:3], v[2:3], 0, s[0:1]
	s_or_b64 s[10:11], vcc, s[10:11]
	s_waitcnt vmcnt(0)
	v_add_u32_e32 v5, s14, v5
	v_add_u32_e32 v4, s24, v4
	;; [unrolled: 1-line block ×4, first 2 shown]
	global_store_dwordx4 v[8:9], v[4:7], off
	s_andn2_b64 exec, exec, s[10:11]
	s_cbranch_execnz .LBB14_24
.LBB14_25:
	s_endpgm
	.section	.rodata,"a",@progbits
	.p2align	6, 0x0
	.amdhsa_kernel _ZN2at6native12_GLOBAL__N_125multi_tensor_apply_kernelINS1_18TensorListMetadataILi2EEENS1_21BinaryOpScalarFunctorIiLi2ELi1ELi1EEEJSt4plusIiEiEEEvT_T0_DpT1_
		.amdhsa_group_segment_fixed_size 0
		.amdhsa_private_segment_fixed_size 0
		.amdhsa_kernarg_size 3408
		.amdhsa_user_sgpr_count 2
		.amdhsa_user_sgpr_dispatch_ptr 0
		.amdhsa_user_sgpr_queue_ptr 0
		.amdhsa_user_sgpr_kernarg_segment_ptr 1
		.amdhsa_user_sgpr_dispatch_id 0
		.amdhsa_user_sgpr_kernarg_preload_length 0
		.amdhsa_user_sgpr_kernarg_preload_offset 0
		.amdhsa_user_sgpr_private_segment_size 0
		.amdhsa_uses_dynamic_stack 0
		.amdhsa_enable_private_segment 0
		.amdhsa_system_sgpr_workgroup_id_x 1
		.amdhsa_system_sgpr_workgroup_id_y 0
		.amdhsa_system_sgpr_workgroup_id_z 0
		.amdhsa_system_sgpr_workgroup_info 0
		.amdhsa_system_vgpr_workitem_id 0
		.amdhsa_next_free_vgpr 32
		.amdhsa_next_free_sgpr 26
		.amdhsa_accum_offset 32
		.amdhsa_reserve_vcc 1
		.amdhsa_float_round_mode_32 0
		.amdhsa_float_round_mode_16_64 0
		.amdhsa_float_denorm_mode_32 3
		.amdhsa_float_denorm_mode_16_64 3
		.amdhsa_dx10_clamp 1
		.amdhsa_ieee_mode 1
		.amdhsa_fp16_overflow 0
		.amdhsa_tg_split 0
		.amdhsa_exception_fp_ieee_invalid_op 0
		.amdhsa_exception_fp_denorm_src 0
		.amdhsa_exception_fp_ieee_div_zero 0
		.amdhsa_exception_fp_ieee_overflow 0
		.amdhsa_exception_fp_ieee_underflow 0
		.amdhsa_exception_fp_ieee_inexact 0
		.amdhsa_exception_int_div_zero 0
	.end_amdhsa_kernel
	.section	.text._ZN2at6native12_GLOBAL__N_125multi_tensor_apply_kernelINS1_18TensorListMetadataILi2EEENS1_21BinaryOpScalarFunctorIiLi2ELi1ELi1EEEJSt4plusIiEiEEEvT_T0_DpT1_,"axG",@progbits,_ZN2at6native12_GLOBAL__N_125multi_tensor_apply_kernelINS1_18TensorListMetadataILi2EEENS1_21BinaryOpScalarFunctorIiLi2ELi1ELi1EEEJSt4plusIiEiEEEvT_T0_DpT1_,comdat
.Lfunc_end14:
	.size	_ZN2at6native12_GLOBAL__N_125multi_tensor_apply_kernelINS1_18TensorListMetadataILi2EEENS1_21BinaryOpScalarFunctorIiLi2ELi1ELi1EEEJSt4plusIiEiEEEvT_T0_DpT1_, .Lfunc_end14-_ZN2at6native12_GLOBAL__N_125multi_tensor_apply_kernelINS1_18TensorListMetadataILi2EEENS1_21BinaryOpScalarFunctorIiLi2ELi1ELi1EEEJSt4plusIiEiEEEvT_T0_DpT1_
                                        ; -- End function
	.set _ZN2at6native12_GLOBAL__N_125multi_tensor_apply_kernelINS1_18TensorListMetadataILi2EEENS1_21BinaryOpScalarFunctorIiLi2ELi1ELi1EEEJSt4plusIiEiEEEvT_T0_DpT1_.num_vgpr, 32
	.set _ZN2at6native12_GLOBAL__N_125multi_tensor_apply_kernelINS1_18TensorListMetadataILi2EEENS1_21BinaryOpScalarFunctorIiLi2ELi1ELi1EEEJSt4plusIiEiEEEvT_T0_DpT1_.num_agpr, 0
	.set _ZN2at6native12_GLOBAL__N_125multi_tensor_apply_kernelINS1_18TensorListMetadataILi2EEENS1_21BinaryOpScalarFunctorIiLi2ELi1ELi1EEEJSt4plusIiEiEEEvT_T0_DpT1_.numbered_sgpr, 26
	.set _ZN2at6native12_GLOBAL__N_125multi_tensor_apply_kernelINS1_18TensorListMetadataILi2EEENS1_21BinaryOpScalarFunctorIiLi2ELi1ELi1EEEJSt4plusIiEiEEEvT_T0_DpT1_.num_named_barrier, 0
	.set _ZN2at6native12_GLOBAL__N_125multi_tensor_apply_kernelINS1_18TensorListMetadataILi2EEENS1_21BinaryOpScalarFunctorIiLi2ELi1ELi1EEEJSt4plusIiEiEEEvT_T0_DpT1_.private_seg_size, 0
	.set _ZN2at6native12_GLOBAL__N_125multi_tensor_apply_kernelINS1_18TensorListMetadataILi2EEENS1_21BinaryOpScalarFunctorIiLi2ELi1ELi1EEEJSt4plusIiEiEEEvT_T0_DpT1_.uses_vcc, 1
	.set _ZN2at6native12_GLOBAL__N_125multi_tensor_apply_kernelINS1_18TensorListMetadataILi2EEENS1_21BinaryOpScalarFunctorIiLi2ELi1ELi1EEEJSt4plusIiEiEEEvT_T0_DpT1_.uses_flat_scratch, 0
	.set _ZN2at6native12_GLOBAL__N_125multi_tensor_apply_kernelINS1_18TensorListMetadataILi2EEENS1_21BinaryOpScalarFunctorIiLi2ELi1ELi1EEEJSt4plusIiEiEEEvT_T0_DpT1_.has_dyn_sized_stack, 0
	.set _ZN2at6native12_GLOBAL__N_125multi_tensor_apply_kernelINS1_18TensorListMetadataILi2EEENS1_21BinaryOpScalarFunctorIiLi2ELi1ELi1EEEJSt4plusIiEiEEEvT_T0_DpT1_.has_recursion, 0
	.set _ZN2at6native12_GLOBAL__N_125multi_tensor_apply_kernelINS1_18TensorListMetadataILi2EEENS1_21BinaryOpScalarFunctorIiLi2ELi1ELi1EEEJSt4plusIiEiEEEvT_T0_DpT1_.has_indirect_call, 0
	.section	.AMDGPU.csdata,"",@progbits
; Kernel info:
; codeLenInByte = 1112
; TotalNumSgprs: 32
; NumVgprs: 32
; NumAgprs: 0
; TotalNumVgprs: 32
; ScratchSize: 0
; MemoryBound: 0
; FloatMode: 240
; IeeeMode: 1
; LDSByteSize: 0 bytes/workgroup (compile time only)
; SGPRBlocks: 3
; VGPRBlocks: 3
; NumSGPRsForWavesPerEU: 32
; NumVGPRsForWavesPerEU: 32
; AccumOffset: 32
; Occupancy: 8
; WaveLimiterHint : 0
; COMPUTE_PGM_RSRC2:SCRATCH_EN: 0
; COMPUTE_PGM_RSRC2:USER_SGPR: 2
; COMPUTE_PGM_RSRC2:TRAP_HANDLER: 0
; COMPUTE_PGM_RSRC2:TGID_X_EN: 1
; COMPUTE_PGM_RSRC2:TGID_Y_EN: 0
; COMPUTE_PGM_RSRC2:TGID_Z_EN: 0
; COMPUTE_PGM_RSRC2:TIDIG_COMP_CNT: 0
; COMPUTE_PGM_RSRC3_GFX90A:ACCUM_OFFSET: 7
; COMPUTE_PGM_RSRC3_GFX90A:TG_SPLIT: 0
	.section	.text._ZN2at6native12_GLOBAL__N_125multi_tensor_apply_kernelINS1_18TensorListMetadataILi2EEENS1_21BinaryOpScalarFunctorIlLi2ELi1ELi1EEEJSt4plusIlElEEEvT_T0_DpT1_,"axG",@progbits,_ZN2at6native12_GLOBAL__N_125multi_tensor_apply_kernelINS1_18TensorListMetadataILi2EEENS1_21BinaryOpScalarFunctorIlLi2ELi1ELi1EEEJSt4plusIlElEEEvT_T0_DpT1_,comdat
	.globl	_ZN2at6native12_GLOBAL__N_125multi_tensor_apply_kernelINS1_18TensorListMetadataILi2EEENS1_21BinaryOpScalarFunctorIlLi2ELi1ELi1EEEJSt4plusIlElEEEvT_T0_DpT1_ ; -- Begin function _ZN2at6native12_GLOBAL__N_125multi_tensor_apply_kernelINS1_18TensorListMetadataILi2EEENS1_21BinaryOpScalarFunctorIlLi2ELi1ELi1EEEJSt4plusIlElEEEvT_T0_DpT1_
	.p2align	8
	.type	_ZN2at6native12_GLOBAL__N_125multi_tensor_apply_kernelINS1_18TensorListMetadataILi2EEENS1_21BinaryOpScalarFunctorIlLi2ELi1ELi1EEEJSt4plusIlElEEEvT_T0_DpT1_,@function
_ZN2at6native12_GLOBAL__N_125multi_tensor_apply_kernelINS1_18TensorListMetadataILi2EEENS1_21BinaryOpScalarFunctorIlLi2ELi1ELi1EEEJSt4plusIlElEEEvT_T0_DpT1_: ; @_ZN2at6native12_GLOBAL__N_125multi_tensor_apply_kernelINS1_18TensorListMetadataILi2EEENS1_21BinaryOpScalarFunctorIlLi2ELi1ELi1EEEJSt4plusIlElEEEvT_T0_DpT1_
; %bb.0:
	v_mov_b32_e32 v1, s2
	global_load_ubyte v1, v1, s[0:1] offset:1536
	s_add_u32 s4, s0, s2
	s_mul_hi_u32 s7, s2, 3
	s_mul_i32 s2, s2, 3
	s_addc_u32 s8, s1, 0
	s_add_u32 s6, s4, s2
	s_addc_u32 s7, s8, s7
	s_load_dword s6, s[6:7], 0x740
	s_mov_b32 s3, 0
	s_mov_b32 s5, s3
	s_waitcnt lgkmcnt(0)
	s_ashr_i32 s7, s6, 31
	s_lshl_b64 s[14:15], s[6:7], 19
	s_lshl_b64 s[6:7], s[6:7], 16
	s_waitcnt vmcnt(0)
	v_readfirstlane_b32 s2, v1
	s_lshl_b32 s2, s2, 3
	s_load_dwordx2 s[8:9], s[0:1], 0xc50
	s_load_dwordx2 s[18:19], s[0:1], s2 offset:0x400
	s_load_dwordx2 s[10:11], s[0:1], s2 offset:0x0
	;; [unrolled: 1-line block ×3, first 2 shown]
	s_waitcnt lgkmcnt(0)
	s_add_u32 s2, s10, s14
	s_and_b32 s4, s12, 31
	s_and_b32 s2, s2, 31
	s_sub_u32 s16, s18, s6
	s_subb_u32 s17, s19, s7
	s_and_b32 s6, s18, 3
	s_mov_b32 s7, s3
	s_or_b64 s[4:5], s[4:5], s[6:7]
	s_or_b64 s[2:3], s[4:5], s[2:3]
	s_cmp_eq_u64 s[2:3], 0
	s_mov_b64 s[2:3], -1
	s_cbranch_scc1 .LBB15_21
; %bb.1:
	v_cmp_lt_i64_e64 s[2:3], s[16:17], 1
	s_and_b64 vcc, exec, s[2:3]
	s_cbranch_vccnz .LBB15_20
; %bb.2:
	s_load_dword s2, s[0:1], 0xc64
	v_mov_b64_e32 v[2:3], 0x10000
	v_cmp_lt_i64_e32 vcc, s[16:17], v[2:3]
	s_and_b64 s[4:5], vcc, exec
	s_mov_b32 s3, 0
	s_cselect_b32 s19, s17, 0
	s_cselect_b32 s18, s16, 0x10000
	s_waitcnt lgkmcnt(0)
	s_and_b32 s2, s2, 0xffff
	v_cmp_lt_u64_e32 vcc, s[16:17], v[2:3]
	v_mov_b32_e32 v1, 0
	s_and_b64 s[4:5], vcc, exec
	s_mul_i32 s6, s2, 3
	s_mov_b32 s7, s3
	s_cselect_b32 s21, s17, 0
	s_cselect_b32 s20, s16, 0x10000
	v_lshlrev_b32_e32 v12, 3, v0
	v_mov_b32_e32 v13, v1
	v_lshl_add_u64 v[10:11], s[6:7], 0, v[0:1]
	s_lshl_b32 s6, s2, 4
	v_lshl_add_u64 v[18:19], v[0:1], 0, s[2:3]
	s_lshl_b32 s4, s2, 1
	s_mov_b32 s5, s3
	v_mad_u64_u32 v[8:9], s[24:25], s2, 24, v[12:13]
	v_lshl_add_u64 v[14:15], s[6:7], 0, v[12:13]
	v_lshlrev_b32_e32 v22, 3, v18
	v_mov_b32_e32 v23, v1
	s_lshl_b32 s28, s2, 2
	v_lshl_add_u64 v[2:3], s[10:11], 0, v[12:13]
	s_lshl_b32 s22, s2, 5
	s_mov_b32 s23, s3
	v_lshl_add_u64 v[4:5], s[12:13], 0, v[12:13]
	v_lshl_add_u64 v[6:7], s[10:11], 0, v[8:9]
	;; [unrolled: 1-line block ×8, first 2 shown]
	s_mov_b64 s[24:25], 0
	s_branch .LBB15_4
.LBB15_3:                               ;   in Loop: Header=BB15_4 Depth=1
	s_or_b64 exec, exec, s[2:3]
	s_add_u32 s24, s24, s28
	s_addc_u32 s25, s25, 0
	s_waitcnt vmcnt(0)
	v_mov_b64_e32 v[24:25], s[18:19]
	v_cmp_lt_i64_e32 vcc, s[24:25], v[24:25]
	v_lshl_add_u64 v[2:3], v[2:3], 0, s[22:23]
	v_lshl_add_u64 v[4:5], v[4:5], 0, s[22:23]
	;; [unrolled: 1-line block ×8, first 2 shown]
	s_cbranch_vccz .LBB15_20
.LBB15_4:                               ; =>This Inner Loop Header: Depth=1
	v_lshl_add_u64 v[24:25], v[0:1], 0, s[24:25]
	v_cmp_gt_u64_e32 vcc, s[20:21], v[24:25]
	v_mov_b64_e32 v[24:25], 0
	v_mov_b64_e32 v[28:29], 0
	s_and_saveexec_b64 s[2:3], vcc
	s_cbranch_execz .LBB15_6
; %bb.5:                                ;   in Loop: Header=BB15_4 Depth=1
	v_lshl_add_u64 v[26:27], v[2:3], 0, s[14:15]
	global_load_dwordx2 v[28:29], v[26:27], off
.LBB15_6:                               ;   in Loop: Header=BB15_4 Depth=1
	s_or_b64 exec, exec, s[2:3]
	v_lshl_add_u64 v[26:27], v[18:19], 0, s[24:25]
	v_cmp_gt_u64_e64 s[2:3], s[20:21], v[26:27]
	s_and_saveexec_b64 s[4:5], s[2:3]
	s_cbranch_execz .LBB15_8
; %bb.7:                                ;   in Loop: Header=BB15_4 Depth=1
	v_lshl_add_u64 v[24:25], v[20:21], 0, s[14:15]
	global_load_dwordx2 v[24:25], v[24:25], off
.LBB15_8:                               ;   in Loop: Header=BB15_4 Depth=1
	s_or_b64 exec, exec, s[4:5]
	v_lshl_add_u64 v[26:27], v[16:17], 0, s[24:25]
	v_cmp_gt_u64_e64 s[4:5], s[20:21], v[26:27]
	v_mov_b64_e32 v[26:27], 0
	v_mov_b64_e32 v[30:31], 0
	s_and_saveexec_b64 s[6:7], s[4:5]
	s_cbranch_execz .LBB15_10
; %bb.9:                                ;   in Loop: Header=BB15_4 Depth=1
	v_lshl_add_u64 v[30:31], v[12:13], 0, s[14:15]
	global_load_dwordx2 v[30:31], v[30:31], off
.LBB15_10:                              ;   in Loop: Header=BB15_4 Depth=1
	s_or_b64 exec, exec, s[6:7]
	v_lshl_add_u64 v[32:33], v[10:11], 0, s[24:25]
	v_cmp_gt_u64_e64 s[6:7], s[20:21], v[32:33]
	s_and_saveexec_b64 s[26:27], s[6:7]
	s_cbranch_execnz .LBB15_15
; %bb.11:                               ;   in Loop: Header=BB15_4 Depth=1
	s_or_b64 exec, exec, s[26:27]
	s_and_saveexec_b64 s[26:27], vcc
	s_cbranch_execnz .LBB15_16
.LBB15_12:                              ;   in Loop: Header=BB15_4 Depth=1
	s_or_b64 exec, exec, s[26:27]
	s_and_saveexec_b64 s[26:27], s[2:3]
	s_cbranch_execnz .LBB15_17
.LBB15_13:                              ;   in Loop: Header=BB15_4 Depth=1
	s_or_b64 exec, exec, s[26:27]
	s_and_saveexec_b64 s[2:3], s[4:5]
	s_cbranch_execnz .LBB15_18
.LBB15_14:                              ;   in Loop: Header=BB15_4 Depth=1
	s_or_b64 exec, exec, s[2:3]
	s_and_saveexec_b64 s[2:3], s[6:7]
	s_cbranch_execz .LBB15_3
	s_branch .LBB15_19
.LBB15_15:                              ;   in Loop: Header=BB15_4 Depth=1
	v_lshl_add_u64 v[26:27], v[6:7], 0, s[14:15]
	global_load_dwordx2 v[26:27], v[26:27], off
	s_or_b64 exec, exec, s[26:27]
	s_and_saveexec_b64 s[26:27], vcc
	s_cbranch_execz .LBB15_12
.LBB15_16:                              ;   in Loop: Header=BB15_4 Depth=1
	s_waitcnt vmcnt(0)
	v_lshl_add_u64 v[28:29], v[28:29], 0, s[8:9]
	v_lshl_add_u64 v[32:33], v[4:5], 0, s[14:15]
	global_store_dwordx2 v[32:33], v[28:29], off
	s_or_b64 exec, exec, s[26:27]
	s_and_saveexec_b64 s[26:27], s[2:3]
	s_cbranch_execz .LBB15_13
.LBB15_17:                              ;   in Loop: Header=BB15_4 Depth=1
	s_waitcnt vmcnt(0)
	v_lshl_add_u64 v[24:25], v[24:25], 0, s[8:9]
	v_lshl_add_u64 v[28:29], v[22:23], 0, s[14:15]
	global_store_dwordx2 v[28:29], v[24:25], off
	s_or_b64 exec, exec, s[26:27]
	s_and_saveexec_b64 s[2:3], s[4:5]
	s_cbranch_execz .LBB15_14
.LBB15_18:                              ;   in Loop: Header=BB15_4 Depth=1
	s_waitcnt vmcnt(0)
	v_lshl_add_u64 v[24:25], v[30:31], 0, s[8:9]
	v_lshl_add_u64 v[28:29], v[14:15], 0, s[14:15]
	global_store_dwordx2 v[28:29], v[24:25], off
	s_or_b64 exec, exec, s[2:3]
	s_and_saveexec_b64 s[2:3], s[6:7]
	s_cbranch_execz .LBB15_3
.LBB15_19:                              ;   in Loop: Header=BB15_4 Depth=1
	s_waitcnt vmcnt(0)
	v_lshl_add_u64 v[24:25], v[26:27], 0, s[8:9]
	v_lshl_add_u64 v[26:27], v[8:9], 0, s[14:15]
	global_store_dwordx2 v[26:27], v[24:25], off
	s_branch .LBB15_3
.LBB15_20:
	s_mov_b64 s[2:3], 0
.LBB15_21:
	s_andn2_b64 vcc, exec, s[2:3]
	s_cbranch_vccnz .LBB15_25
; %bb.22:
	v_mov_b64_e32 v[4:5], 0x10000
	v_cmp_lt_i64_e32 vcc, s[16:17], v[4:5]
	s_and_b64 s[4:5], vcc, exec
	v_mov_b32_e32 v3, 0
	s_cselect_b32 s5, s17, 0
	s_cselect_b32 s4, s16, 0x10000
	v_lshlrev_b32_e32 v2, 2, v0
	s_mov_b32 s3, 0
	v_cmp_gt_i64_e32 vcc, s[4:5], v[2:3]
	s_and_saveexec_b64 s[6:7], vcc
	s_cbranch_execz .LBB15_25
; %bb.23:
	s_load_dword s0, s[0:1], 0xc64
	v_lshlrev_b32_e32 v2, 5, v0
	v_mov_b32_e32 v1, v3
	s_mov_b32 s1, s3
	v_lshl_add_u64 v[2:3], s[14:15], 0, v[2:3]
	s_waitcnt lgkmcnt(0)
	s_and_b32 s2, s0, 0xffff
	s_lshl_b32 s0, s2, 5
	s_mov_b64 s[6:7], 0
.LBB15_24:                              ; =>This Inner Loop Header: Depth=1
	v_lshl_add_u64 v[12:13], s[10:11], 0, v[2:3]
	global_load_dwordx4 v[4:7], v[12:13], off
	global_load_dwordx4 v[8:11], v[12:13], off offset:16
	v_lshl_add_u64 v[0:1], v[0:1], 0, s[2:3]
	v_lshlrev_b64 v[14:15], 2, v[0:1]
	v_cmp_le_i64_e32 vcc, s[4:5], v[14:15]
	v_lshl_add_u64 v[12:13], s[12:13], 0, v[2:3]
	v_lshl_add_u64 v[2:3], v[2:3], 0, s[0:1]
	s_or_b64 s[6:7], vcc, s[6:7]
	s_waitcnt vmcnt(1)
	v_lshl_add_u64 v[4:5], v[4:5], 0, s[8:9]
	v_lshl_add_u64 v[6:7], v[6:7], 0, s[8:9]
	s_waitcnt vmcnt(0)
	v_lshl_add_u64 v[8:9], v[8:9], 0, s[8:9]
	v_lshl_add_u64 v[10:11], v[10:11], 0, s[8:9]
	global_store_dwordx4 v[12:13], v[4:7], off
	global_store_dwordx4 v[12:13], v[8:11], off offset:16
	s_andn2_b64 exec, exec, s[6:7]
	s_cbranch_execnz .LBB15_24
.LBB15_25:
	s_endpgm
	.section	.rodata,"a",@progbits
	.p2align	6, 0x0
	.amdhsa_kernel _ZN2at6native12_GLOBAL__N_125multi_tensor_apply_kernelINS1_18TensorListMetadataILi2EEENS1_21BinaryOpScalarFunctorIlLi2ELi1ELi1EEEJSt4plusIlElEEEvT_T0_DpT1_
		.amdhsa_group_segment_fixed_size 0
		.amdhsa_private_segment_fixed_size 0
		.amdhsa_kernarg_size 3416
		.amdhsa_user_sgpr_count 2
		.amdhsa_user_sgpr_dispatch_ptr 0
		.amdhsa_user_sgpr_queue_ptr 0
		.amdhsa_user_sgpr_kernarg_segment_ptr 1
		.amdhsa_user_sgpr_dispatch_id 0
		.amdhsa_user_sgpr_kernarg_preload_length 0
		.amdhsa_user_sgpr_kernarg_preload_offset 0
		.amdhsa_user_sgpr_private_segment_size 0
		.amdhsa_uses_dynamic_stack 0
		.amdhsa_enable_private_segment 0
		.amdhsa_system_sgpr_workgroup_id_x 1
		.amdhsa_system_sgpr_workgroup_id_y 0
		.amdhsa_system_sgpr_workgroup_id_z 0
		.amdhsa_system_sgpr_workgroup_info 0
		.amdhsa_system_vgpr_workitem_id 0
		.amdhsa_next_free_vgpr 34
		.amdhsa_next_free_sgpr 29
		.amdhsa_accum_offset 36
		.amdhsa_reserve_vcc 1
		.amdhsa_float_round_mode_32 0
		.amdhsa_float_round_mode_16_64 0
		.amdhsa_float_denorm_mode_32 3
		.amdhsa_float_denorm_mode_16_64 3
		.amdhsa_dx10_clamp 1
		.amdhsa_ieee_mode 1
		.amdhsa_fp16_overflow 0
		.amdhsa_tg_split 0
		.amdhsa_exception_fp_ieee_invalid_op 0
		.amdhsa_exception_fp_denorm_src 0
		.amdhsa_exception_fp_ieee_div_zero 0
		.amdhsa_exception_fp_ieee_overflow 0
		.amdhsa_exception_fp_ieee_underflow 0
		.amdhsa_exception_fp_ieee_inexact 0
		.amdhsa_exception_int_div_zero 0
	.end_amdhsa_kernel
	.section	.text._ZN2at6native12_GLOBAL__N_125multi_tensor_apply_kernelINS1_18TensorListMetadataILi2EEENS1_21BinaryOpScalarFunctorIlLi2ELi1ELi1EEEJSt4plusIlElEEEvT_T0_DpT1_,"axG",@progbits,_ZN2at6native12_GLOBAL__N_125multi_tensor_apply_kernelINS1_18TensorListMetadataILi2EEENS1_21BinaryOpScalarFunctorIlLi2ELi1ELi1EEEJSt4plusIlElEEEvT_T0_DpT1_,comdat
.Lfunc_end15:
	.size	_ZN2at6native12_GLOBAL__N_125multi_tensor_apply_kernelINS1_18TensorListMetadataILi2EEENS1_21BinaryOpScalarFunctorIlLi2ELi1ELi1EEEJSt4plusIlElEEEvT_T0_DpT1_, .Lfunc_end15-_ZN2at6native12_GLOBAL__N_125multi_tensor_apply_kernelINS1_18TensorListMetadataILi2EEENS1_21BinaryOpScalarFunctorIlLi2ELi1ELi1EEEJSt4plusIlElEEEvT_T0_DpT1_
                                        ; -- End function
	.set _ZN2at6native12_GLOBAL__N_125multi_tensor_apply_kernelINS1_18TensorListMetadataILi2EEENS1_21BinaryOpScalarFunctorIlLi2ELi1ELi1EEEJSt4plusIlElEEEvT_T0_DpT1_.num_vgpr, 34
	.set _ZN2at6native12_GLOBAL__N_125multi_tensor_apply_kernelINS1_18TensorListMetadataILi2EEENS1_21BinaryOpScalarFunctorIlLi2ELi1ELi1EEEJSt4plusIlElEEEvT_T0_DpT1_.num_agpr, 0
	.set _ZN2at6native12_GLOBAL__N_125multi_tensor_apply_kernelINS1_18TensorListMetadataILi2EEENS1_21BinaryOpScalarFunctorIlLi2ELi1ELi1EEEJSt4plusIlElEEEvT_T0_DpT1_.numbered_sgpr, 29
	.set _ZN2at6native12_GLOBAL__N_125multi_tensor_apply_kernelINS1_18TensorListMetadataILi2EEENS1_21BinaryOpScalarFunctorIlLi2ELi1ELi1EEEJSt4plusIlElEEEvT_T0_DpT1_.num_named_barrier, 0
	.set _ZN2at6native12_GLOBAL__N_125multi_tensor_apply_kernelINS1_18TensorListMetadataILi2EEENS1_21BinaryOpScalarFunctorIlLi2ELi1ELi1EEEJSt4plusIlElEEEvT_T0_DpT1_.private_seg_size, 0
	.set _ZN2at6native12_GLOBAL__N_125multi_tensor_apply_kernelINS1_18TensorListMetadataILi2EEENS1_21BinaryOpScalarFunctorIlLi2ELi1ELi1EEEJSt4plusIlElEEEvT_T0_DpT1_.uses_vcc, 1
	.set _ZN2at6native12_GLOBAL__N_125multi_tensor_apply_kernelINS1_18TensorListMetadataILi2EEENS1_21BinaryOpScalarFunctorIlLi2ELi1ELi1EEEJSt4plusIlElEEEvT_T0_DpT1_.uses_flat_scratch, 0
	.set _ZN2at6native12_GLOBAL__N_125multi_tensor_apply_kernelINS1_18TensorListMetadataILi2EEENS1_21BinaryOpScalarFunctorIlLi2ELi1ELi1EEEJSt4plusIlElEEEvT_T0_DpT1_.has_dyn_sized_stack, 0
	.set _ZN2at6native12_GLOBAL__N_125multi_tensor_apply_kernelINS1_18TensorListMetadataILi2EEENS1_21BinaryOpScalarFunctorIlLi2ELi1ELi1EEEJSt4plusIlElEEEvT_T0_DpT1_.has_recursion, 0
	.set _ZN2at6native12_GLOBAL__N_125multi_tensor_apply_kernelINS1_18TensorListMetadataILi2EEENS1_21BinaryOpScalarFunctorIlLi2ELi1ELi1EEEJSt4plusIlElEEEvT_T0_DpT1_.has_indirect_call, 0
	.section	.AMDGPU.csdata,"",@progbits
; Kernel info:
; codeLenInByte = 1152
; TotalNumSgprs: 35
; NumVgprs: 34
; NumAgprs: 0
; TotalNumVgprs: 34
; ScratchSize: 0
; MemoryBound: 0
; FloatMode: 240
; IeeeMode: 1
; LDSByteSize: 0 bytes/workgroup (compile time only)
; SGPRBlocks: 4
; VGPRBlocks: 4
; NumSGPRsForWavesPerEU: 35
; NumVGPRsForWavesPerEU: 34
; AccumOffset: 36
; Occupancy: 8
; WaveLimiterHint : 0
; COMPUTE_PGM_RSRC2:SCRATCH_EN: 0
; COMPUTE_PGM_RSRC2:USER_SGPR: 2
; COMPUTE_PGM_RSRC2:TRAP_HANDLER: 0
; COMPUTE_PGM_RSRC2:TGID_X_EN: 1
; COMPUTE_PGM_RSRC2:TGID_Y_EN: 0
; COMPUTE_PGM_RSRC2:TGID_Z_EN: 0
; COMPUTE_PGM_RSRC2:TIDIG_COMP_CNT: 0
; COMPUTE_PGM_RSRC3_GFX90A:ACCUM_OFFSET: 8
; COMPUTE_PGM_RSRC3_GFX90A:TG_SPLIT: 0
	.section	.text._ZN2at6native12_GLOBAL__N_125multi_tensor_apply_kernelINS1_18TensorListMetadataILi2EEENS1_21BinaryOpScalarFunctorIsLi2ELi1ELi1EEEJSt4plusIsEsEEEvT_T0_DpT1_,"axG",@progbits,_ZN2at6native12_GLOBAL__N_125multi_tensor_apply_kernelINS1_18TensorListMetadataILi2EEENS1_21BinaryOpScalarFunctorIsLi2ELi1ELi1EEEJSt4plusIsEsEEEvT_T0_DpT1_,comdat
	.globl	_ZN2at6native12_GLOBAL__N_125multi_tensor_apply_kernelINS1_18TensorListMetadataILi2EEENS1_21BinaryOpScalarFunctorIsLi2ELi1ELi1EEEJSt4plusIsEsEEEvT_T0_DpT1_ ; -- Begin function _ZN2at6native12_GLOBAL__N_125multi_tensor_apply_kernelINS1_18TensorListMetadataILi2EEENS1_21BinaryOpScalarFunctorIsLi2ELi1ELi1EEEJSt4plusIsEsEEEvT_T0_DpT1_
	.p2align	8
	.type	_ZN2at6native12_GLOBAL__N_125multi_tensor_apply_kernelINS1_18TensorListMetadataILi2EEENS1_21BinaryOpScalarFunctorIsLi2ELi1ELi1EEEJSt4plusIsEsEEEvT_T0_DpT1_,@function
_ZN2at6native12_GLOBAL__N_125multi_tensor_apply_kernelINS1_18TensorListMetadataILi2EEENS1_21BinaryOpScalarFunctorIsLi2ELi1ELi1EEEJSt4plusIsEsEEEvT_T0_DpT1_: ; @_ZN2at6native12_GLOBAL__N_125multi_tensor_apply_kernelINS1_18TensorListMetadataILi2EEENS1_21BinaryOpScalarFunctorIsLi2ELi1ELi1EEEJSt4plusIsEsEEEvT_T0_DpT1_
; %bb.0:
	v_mov_b32_e32 v1, s2
	global_load_ubyte v1, v1, s[0:1] offset:1536
	s_load_dword s4, s[0:1], 0xc48
	s_mul_hi_u32 s7, s2, 3
	s_mul_i32 s6, s2, 3
	s_mov_b32 s3, 0
	s_mov_b32 s5, s3
	s_waitcnt lgkmcnt(0)
	s_lshr_b32 s26, s4, 16
	s_add_u32 s2, s0, s2
	s_addc_u32 s4, s1, 0
	s_add_u32 s6, s2, s6
	s_addc_u32 s7, s4, s7
	s_load_dword s6, s[6:7], 0x740
	s_waitcnt lgkmcnt(0)
	s_ashr_i32 s7, s6, 31
	s_lshl_b64 s[12:13], s[6:7], 17
	s_lshl_b64 s[6:7], s[6:7], 16
	s_waitcnt vmcnt(0)
	v_readfirstlane_b32 s2, v1
	s_lshl_b32 s2, s2, 3
	s_load_dwordx2 s[16:17], s[0:1], s2 offset:0x400
	s_load_dwordx2 s[8:9], s[0:1], s2 offset:0x0
	;; [unrolled: 1-line block ×3, first 2 shown]
	s_waitcnt lgkmcnt(0)
	s_add_u32 s2, s8, s12
	s_and_b32 s4, s10, 7
	s_and_b32 s2, s2, 7
	s_sub_u32 s14, s16, s6
	s_subb_u32 s15, s17, s7
	s_and_b32 s6, s16, 3
	s_mov_b32 s7, s3
	s_or_b64 s[4:5], s[4:5], s[6:7]
	s_or_b64 s[2:3], s[4:5], s[2:3]
	s_cmp_eq_u64 s[2:3], 0
	s_mov_b64 s[2:3], -1
	s_cbranch_scc1 .LBB16_21
; %bb.1:
	v_cmp_lt_i64_e64 s[2:3], s[14:15], 1
	s_and_b64 vcc, exec, s[2:3]
	s_cbranch_vccnz .LBB16_20
; %bb.2:
	s_load_dword s2, s[0:1], 0xc5c
	v_mov_b64_e32 v[2:3], 0x10000
	v_cmp_lt_i64_e32 vcc, s[14:15], v[2:3]
	s_and_b64 s[4:5], vcc, exec
	s_cselect_b32 s5, s15, 0
	s_cselect_b32 s4, s14, 0x10000
	s_waitcnt lgkmcnt(0)
	s_and_b32 s2, s2, 0xffff
	v_cmp_lt_u64_e32 vcc, s[14:15], v[2:3]
	s_mov_b32 s3, 0
	v_mov_b32_e32 v1, 0
	s_and_b64 s[6:7], vcc, exec
	s_cselect_b32 s17, s15, 0
	s_cselect_b32 s16, s14, 0x10000
	s_lshl_b32 s18, s2, 2
	s_mov_b32 s19, s3
	v_lshlrev_b32_e32 v12, 1, v0
	v_mov_b32_e32 v13, v1
	v_lshl_add_u64 v[18:19], v[0:1], 0, s[2:3]
	s_lshl_b32 s6, s2, 1
	s_mov_b32 s7, s3
	s_mul_i32 s22, s2, 3
	s_mov_b32 s23, s3
	v_mad_u64_u32 v[8:9], s[24:25], s2, 6, v[12:13]
	v_lshl_add_u64 v[14:15], s[18:19], 0, v[12:13]
	v_lshlrev_b32_e32 v22, 1, v18
	v_mov_b32_e32 v23, v1
	v_lshl_add_u64 v[2:3], s[8:9], 0, v[12:13]
	s_lshl_b32 s20, s2, 3
	s_mov_b32 s21, s3
	v_lshl_add_u64 v[4:5], s[10:11], 0, v[12:13]
	v_lshl_add_u64 v[6:7], s[8:9], 0, v[8:9]
	;; [unrolled: 1-line block ×9, first 2 shown]
	s_mov_b64 s[22:23], 0
	v_mov_b64_e32 v[24:25], s[4:5]
	s_branch .LBB16_4
.LBB16_3:                               ;   in Loop: Header=BB16_4 Depth=1
	s_or_b64 exec, exec, s[2:3]
	s_add_u32 s22, s22, s18
	s_addc_u32 s23, s23, 0
	v_cmp_lt_i64_e32 vcc, s[22:23], v[24:25]
	v_lshl_add_u64 v[2:3], v[2:3], 0, s[20:21]
	v_lshl_add_u64 v[4:5], v[4:5], 0, s[20:21]
	;; [unrolled: 1-line block ×8, first 2 shown]
	s_cbranch_vccz .LBB16_20
.LBB16_4:                               ; =>This Inner Loop Header: Depth=1
	s_waitcnt vmcnt(0)
	v_lshl_add_u64 v[26:27], v[0:1], 0, s[22:23]
	v_cmp_gt_u64_e32 vcc, s[16:17], v[26:27]
	v_mov_b32_e32 v27, 0
	s_and_saveexec_b64 s[2:3], vcc
	s_cbranch_execz .LBB16_6
; %bb.5:                                ;   in Loop: Header=BB16_4 Depth=1
	v_lshl_add_u64 v[26:27], v[2:3], 0, s[12:13]
	global_load_ushort v27, v[26:27], off
.LBB16_6:                               ;   in Loop: Header=BB16_4 Depth=1
	s_or_b64 exec, exec, s[2:3]
	v_lshl_add_u64 v[28:29], v[18:19], 0, s[22:23]
	v_cmp_gt_u64_e64 s[2:3], s[16:17], v[28:29]
	v_mov_b32_e32 v26, 0
	v_mov_b32_e32 v28, 0
	s_and_saveexec_b64 s[4:5], s[2:3]
	s_cbranch_execz .LBB16_8
; %bb.7:                                ;   in Loop: Header=BB16_4 Depth=1
	v_lshl_add_u64 v[28:29], v[20:21], 0, s[12:13]
	global_load_ushort v28, v[28:29], off
.LBB16_8:                               ;   in Loop: Header=BB16_4 Depth=1
	s_or_b64 exec, exec, s[4:5]
	v_lshl_add_u64 v[30:31], v[16:17], 0, s[22:23]
	v_cmp_gt_u64_e64 s[4:5], s[16:17], v[30:31]
	s_and_saveexec_b64 s[6:7], s[4:5]
	s_cbranch_execz .LBB16_10
; %bb.9:                                ;   in Loop: Header=BB16_4 Depth=1
	v_lshl_add_u64 v[30:31], v[12:13], 0, s[12:13]
	global_load_ushort v26, v[30:31], off
.LBB16_10:                              ;   in Loop: Header=BB16_4 Depth=1
	s_or_b64 exec, exec, s[6:7]
	v_lshl_add_u64 v[30:31], v[10:11], 0, s[22:23]
	v_cmp_gt_u64_e64 s[6:7], s[16:17], v[30:31]
	v_mov_b32_e32 v29, 0
	s_and_saveexec_b64 s[24:25], s[6:7]
	s_cbranch_execnz .LBB16_15
; %bb.11:                               ;   in Loop: Header=BB16_4 Depth=1
	s_or_b64 exec, exec, s[24:25]
	s_and_saveexec_b64 s[24:25], vcc
	s_cbranch_execnz .LBB16_16
.LBB16_12:                              ;   in Loop: Header=BB16_4 Depth=1
	s_or_b64 exec, exec, s[24:25]
	s_and_saveexec_b64 s[24:25], s[2:3]
	s_cbranch_execnz .LBB16_17
.LBB16_13:                              ;   in Loop: Header=BB16_4 Depth=1
	s_or_b64 exec, exec, s[24:25]
	s_and_saveexec_b64 s[2:3], s[4:5]
	s_cbranch_execnz .LBB16_18
.LBB16_14:                              ;   in Loop: Header=BB16_4 Depth=1
	s_or_b64 exec, exec, s[2:3]
	s_and_saveexec_b64 s[2:3], s[6:7]
	s_cbranch_execz .LBB16_3
	s_branch .LBB16_19
.LBB16_15:                              ;   in Loop: Header=BB16_4 Depth=1
	v_lshl_add_u64 v[30:31], v[6:7], 0, s[12:13]
	global_load_ushort v29, v[30:31], off
	s_or_b64 exec, exec, s[24:25]
	s_and_saveexec_b64 s[24:25], vcc
	s_cbranch_execz .LBB16_12
.LBB16_16:                              ;   in Loop: Header=BB16_4 Depth=1
	s_waitcnt vmcnt(0)
	v_add_u16_e32 v27, s26, v27
	v_lshl_add_u64 v[30:31], v[4:5], 0, s[12:13]
	global_store_short v[30:31], v27, off
	s_or_b64 exec, exec, s[24:25]
	s_and_saveexec_b64 s[24:25], s[2:3]
	s_cbranch_execz .LBB16_13
.LBB16_17:                              ;   in Loop: Header=BB16_4 Depth=1
	s_waitcnt vmcnt(0)
	v_add_u16_e32 v27, s26, v28
	v_lshl_add_u64 v[30:31], v[22:23], 0, s[12:13]
	global_store_short v[30:31], v27, off
	s_or_b64 exec, exec, s[24:25]
	s_and_saveexec_b64 s[2:3], s[4:5]
	s_cbranch_execz .LBB16_14
.LBB16_18:                              ;   in Loop: Header=BB16_4 Depth=1
	s_waitcnt vmcnt(0)
	v_add_u16_e32 v28, s26, v26
	v_lshl_add_u64 v[26:27], v[14:15], 0, s[12:13]
	global_store_short v[26:27], v28, off
	s_or_b64 exec, exec, s[2:3]
	s_and_saveexec_b64 s[2:3], s[6:7]
	s_cbranch_execz .LBB16_3
.LBB16_19:                              ;   in Loop: Header=BB16_4 Depth=1
	s_waitcnt vmcnt(0)
	v_add_u16_e32 v28, s26, v29
	v_lshl_add_u64 v[26:27], v[8:9], 0, s[12:13]
	global_store_short v[26:27], v28, off
	s_branch .LBB16_3
.LBB16_20:
	s_mov_b64 s[2:3], 0
.LBB16_21:
	s_andn2_b64 vcc, exec, s[2:3]
	s_cbranch_vccnz .LBB16_25
; %bb.22:
	v_mov_b64_e32 v[4:5], 0x10000
	v_cmp_lt_i64_e32 vcc, s[14:15], v[4:5]
	s_and_b64 s[4:5], vcc, exec
	v_mov_b32_e32 v3, 0
	s_cselect_b32 s5, s15, 0
	s_cselect_b32 s4, s14, 0x10000
	v_lshlrev_b32_e32 v2, 2, v0
	s_mov_b32 s3, 0
	v_cmp_gt_i64_e32 vcc, s[4:5], v[2:3]
	s_and_saveexec_b64 s[6:7], vcc
	s_cbranch_execz .LBB16_25
; %bb.23:
	s_load_dword s0, s[0:1], 0xc5c
	v_lshlrev_b32_e32 v2, 3, v0
	v_mov_b32_e32 v1, v3
	s_mov_b32 s1, s3
	v_lshl_add_u64 v[2:3], s[12:13], 0, v[2:3]
	s_waitcnt lgkmcnt(0)
	s_and_b32 s2, s0, 0xffff
	s_lshl_b32 s0, s2, 3
	s_mov_b64 s[6:7], 0
	s_mov_b32 s12, 0x5040100
.LBB16_24:                              ; =>This Inner Loop Header: Depth=1
	v_lshl_add_u64 v[4:5], s[8:9], 0, v[2:3]
	global_load_dwordx2 v[4:5], v[4:5], off
	v_lshl_add_u64 v[0:1], v[0:1], 0, s[2:3]
	v_lshlrev_b64 v[8:9], 2, v[0:1]
	v_cmp_le_i64_e32 vcc, s[4:5], v[8:9]
	v_lshl_add_u64 v[6:7], s[10:11], 0, v[2:3]
	v_lshl_add_u64 v[2:3], v[2:3], 0, s[0:1]
	s_or_b64 s[6:7], vcc, s[6:7]
	s_waitcnt vmcnt(0)
	v_add_u16_e32 v8, s26, v4
	v_add_u16_sdwa v4, s26, v4 dst_sel:DWORD dst_unused:UNUSED_PAD src0_sel:DWORD src1_sel:WORD_1
	v_add_u16_e32 v9, s26, v5
	v_add_u16_sdwa v5, s26, v5 dst_sel:DWORD dst_unused:UNUSED_PAD src0_sel:DWORD src1_sel:WORD_1
	v_perm_b32 v5, v5, v9, s12
	v_perm_b32 v4, v4, v8, s12
	global_store_dwordx2 v[6:7], v[4:5], off
	s_andn2_b64 exec, exec, s[6:7]
	s_cbranch_execnz .LBB16_24
.LBB16_25:
	s_endpgm
	.section	.rodata,"a",@progbits
	.p2align	6, 0x0
	.amdhsa_kernel _ZN2at6native12_GLOBAL__N_125multi_tensor_apply_kernelINS1_18TensorListMetadataILi2EEENS1_21BinaryOpScalarFunctorIsLi2ELi1ELi1EEEJSt4plusIsEsEEEvT_T0_DpT1_
		.amdhsa_group_segment_fixed_size 0
		.amdhsa_private_segment_fixed_size 0
		.amdhsa_kernarg_size 3408
		.amdhsa_user_sgpr_count 2
		.amdhsa_user_sgpr_dispatch_ptr 0
		.amdhsa_user_sgpr_queue_ptr 0
		.amdhsa_user_sgpr_kernarg_segment_ptr 1
		.amdhsa_user_sgpr_dispatch_id 0
		.amdhsa_user_sgpr_kernarg_preload_length 0
		.amdhsa_user_sgpr_kernarg_preload_offset 0
		.amdhsa_user_sgpr_private_segment_size 0
		.amdhsa_uses_dynamic_stack 0
		.amdhsa_enable_private_segment 0
		.amdhsa_system_sgpr_workgroup_id_x 1
		.amdhsa_system_sgpr_workgroup_id_y 0
		.amdhsa_system_sgpr_workgroup_id_z 0
		.amdhsa_system_sgpr_workgroup_info 0
		.amdhsa_system_vgpr_workitem_id 0
		.amdhsa_next_free_vgpr 32
		.amdhsa_next_free_sgpr 27
		.amdhsa_accum_offset 32
		.amdhsa_reserve_vcc 1
		.amdhsa_float_round_mode_32 0
		.amdhsa_float_round_mode_16_64 0
		.amdhsa_float_denorm_mode_32 3
		.amdhsa_float_denorm_mode_16_64 3
		.amdhsa_dx10_clamp 1
		.amdhsa_ieee_mode 1
		.amdhsa_fp16_overflow 0
		.amdhsa_tg_split 0
		.amdhsa_exception_fp_ieee_invalid_op 0
		.amdhsa_exception_fp_denorm_src 0
		.amdhsa_exception_fp_ieee_div_zero 0
		.amdhsa_exception_fp_ieee_overflow 0
		.amdhsa_exception_fp_ieee_underflow 0
		.amdhsa_exception_fp_ieee_inexact 0
		.amdhsa_exception_int_div_zero 0
	.end_amdhsa_kernel
	.section	.text._ZN2at6native12_GLOBAL__N_125multi_tensor_apply_kernelINS1_18TensorListMetadataILi2EEENS1_21BinaryOpScalarFunctorIsLi2ELi1ELi1EEEJSt4plusIsEsEEEvT_T0_DpT1_,"axG",@progbits,_ZN2at6native12_GLOBAL__N_125multi_tensor_apply_kernelINS1_18TensorListMetadataILi2EEENS1_21BinaryOpScalarFunctorIsLi2ELi1ELi1EEEJSt4plusIsEsEEEvT_T0_DpT1_,comdat
.Lfunc_end16:
	.size	_ZN2at6native12_GLOBAL__N_125multi_tensor_apply_kernelINS1_18TensorListMetadataILi2EEENS1_21BinaryOpScalarFunctorIsLi2ELi1ELi1EEEJSt4plusIsEsEEEvT_T0_DpT1_, .Lfunc_end16-_ZN2at6native12_GLOBAL__N_125multi_tensor_apply_kernelINS1_18TensorListMetadataILi2EEENS1_21BinaryOpScalarFunctorIsLi2ELi1ELi1EEEJSt4plusIsEsEEEvT_T0_DpT1_
                                        ; -- End function
	.set _ZN2at6native12_GLOBAL__N_125multi_tensor_apply_kernelINS1_18TensorListMetadataILi2EEENS1_21BinaryOpScalarFunctorIsLi2ELi1ELi1EEEJSt4plusIsEsEEEvT_T0_DpT1_.num_vgpr, 32
	.set _ZN2at6native12_GLOBAL__N_125multi_tensor_apply_kernelINS1_18TensorListMetadataILi2EEENS1_21BinaryOpScalarFunctorIsLi2ELi1ELi1EEEJSt4plusIsEsEEEvT_T0_DpT1_.num_agpr, 0
	.set _ZN2at6native12_GLOBAL__N_125multi_tensor_apply_kernelINS1_18TensorListMetadataILi2EEENS1_21BinaryOpScalarFunctorIsLi2ELi1ELi1EEEJSt4plusIsEsEEEvT_T0_DpT1_.numbered_sgpr, 27
	.set _ZN2at6native12_GLOBAL__N_125multi_tensor_apply_kernelINS1_18TensorListMetadataILi2EEENS1_21BinaryOpScalarFunctorIsLi2ELi1ELi1EEEJSt4plusIsEsEEEvT_T0_DpT1_.num_named_barrier, 0
	.set _ZN2at6native12_GLOBAL__N_125multi_tensor_apply_kernelINS1_18TensorListMetadataILi2EEENS1_21BinaryOpScalarFunctorIsLi2ELi1ELi1EEEJSt4plusIsEsEEEvT_T0_DpT1_.private_seg_size, 0
	.set _ZN2at6native12_GLOBAL__N_125multi_tensor_apply_kernelINS1_18TensorListMetadataILi2EEENS1_21BinaryOpScalarFunctorIsLi2ELi1ELi1EEEJSt4plusIsEsEEEvT_T0_DpT1_.uses_vcc, 1
	.set _ZN2at6native12_GLOBAL__N_125multi_tensor_apply_kernelINS1_18TensorListMetadataILi2EEENS1_21BinaryOpScalarFunctorIsLi2ELi1ELi1EEEJSt4plusIsEsEEEvT_T0_DpT1_.uses_flat_scratch, 0
	.set _ZN2at6native12_GLOBAL__N_125multi_tensor_apply_kernelINS1_18TensorListMetadataILi2EEENS1_21BinaryOpScalarFunctorIsLi2ELi1ELi1EEEJSt4plusIsEsEEEvT_T0_DpT1_.has_dyn_sized_stack, 0
	.set _ZN2at6native12_GLOBAL__N_125multi_tensor_apply_kernelINS1_18TensorListMetadataILi2EEENS1_21BinaryOpScalarFunctorIsLi2ELi1ELi1EEEJSt4plusIsEsEEEvT_T0_DpT1_.has_recursion, 0
	.set _ZN2at6native12_GLOBAL__N_125multi_tensor_apply_kernelINS1_18TensorListMetadataILi2EEENS1_21BinaryOpScalarFunctorIsLi2ELi1ELi1EEEJSt4plusIsEsEEEvT_T0_DpT1_.has_indirect_call, 0
	.section	.AMDGPU.csdata,"",@progbits
; Kernel info:
; codeLenInByte = 1140
; TotalNumSgprs: 33
; NumVgprs: 32
; NumAgprs: 0
; TotalNumVgprs: 32
; ScratchSize: 0
; MemoryBound: 0
; FloatMode: 240
; IeeeMode: 1
; LDSByteSize: 0 bytes/workgroup (compile time only)
; SGPRBlocks: 4
; VGPRBlocks: 3
; NumSGPRsForWavesPerEU: 33
; NumVGPRsForWavesPerEU: 32
; AccumOffset: 32
; Occupancy: 8
; WaveLimiterHint : 0
; COMPUTE_PGM_RSRC2:SCRATCH_EN: 0
; COMPUTE_PGM_RSRC2:USER_SGPR: 2
; COMPUTE_PGM_RSRC2:TRAP_HANDLER: 0
; COMPUTE_PGM_RSRC2:TGID_X_EN: 1
; COMPUTE_PGM_RSRC2:TGID_Y_EN: 0
; COMPUTE_PGM_RSRC2:TGID_Z_EN: 0
; COMPUTE_PGM_RSRC2:TIDIG_COMP_CNT: 0
; COMPUTE_PGM_RSRC3_GFX90A:ACCUM_OFFSET: 7
; COMPUTE_PGM_RSRC3_GFX90A:TG_SPLIT: 0
	.section	.text._ZN2at6native12_GLOBAL__N_125multi_tensor_apply_kernelINS1_18TensorListMetadataILi2EEENS1_21BinaryOpScalarFunctorIdLi2ELi1ELi1EEEJSt4plusIdEdEEEvT_T0_DpT1_,"axG",@progbits,_ZN2at6native12_GLOBAL__N_125multi_tensor_apply_kernelINS1_18TensorListMetadataILi2EEENS1_21BinaryOpScalarFunctorIdLi2ELi1ELi1EEEJSt4plusIdEdEEEvT_T0_DpT1_,comdat
	.globl	_ZN2at6native12_GLOBAL__N_125multi_tensor_apply_kernelINS1_18TensorListMetadataILi2EEENS1_21BinaryOpScalarFunctorIdLi2ELi1ELi1EEEJSt4plusIdEdEEEvT_T0_DpT1_ ; -- Begin function _ZN2at6native12_GLOBAL__N_125multi_tensor_apply_kernelINS1_18TensorListMetadataILi2EEENS1_21BinaryOpScalarFunctorIdLi2ELi1ELi1EEEJSt4plusIdEdEEEvT_T0_DpT1_
	.p2align	8
	.type	_ZN2at6native12_GLOBAL__N_125multi_tensor_apply_kernelINS1_18TensorListMetadataILi2EEENS1_21BinaryOpScalarFunctorIdLi2ELi1ELi1EEEJSt4plusIdEdEEEvT_T0_DpT1_,@function
_ZN2at6native12_GLOBAL__N_125multi_tensor_apply_kernelINS1_18TensorListMetadataILi2EEENS1_21BinaryOpScalarFunctorIdLi2ELi1ELi1EEEJSt4plusIdEdEEEvT_T0_DpT1_: ; @_ZN2at6native12_GLOBAL__N_125multi_tensor_apply_kernelINS1_18TensorListMetadataILi2EEENS1_21BinaryOpScalarFunctorIdLi2ELi1ELi1EEEJSt4plusIdEdEEEvT_T0_DpT1_
; %bb.0:
	v_mov_b32_e32 v1, s2
	global_load_ubyte v1, v1, s[0:1] offset:1536
	s_add_u32 s4, s0, s2
	s_mul_hi_u32 s7, s2, 3
	s_mul_i32 s2, s2, 3
	s_addc_u32 s8, s1, 0
	s_add_u32 s6, s4, s2
	s_addc_u32 s7, s8, s7
	s_load_dword s6, s[6:7], 0x740
	s_mov_b32 s3, 0
	s_mov_b32 s5, s3
	s_waitcnt lgkmcnt(0)
	s_ashr_i32 s7, s6, 31
	s_lshl_b64 s[14:15], s[6:7], 19
	s_lshl_b64 s[6:7], s[6:7], 16
	s_waitcnt vmcnt(0)
	v_readfirstlane_b32 s2, v1
	s_lshl_b32 s2, s2, 3
	s_load_dwordx2 s[8:9], s[0:1], 0xc50
	s_load_dwordx2 s[18:19], s[0:1], s2 offset:0x400
	s_load_dwordx2 s[10:11], s[0:1], s2 offset:0x0
	;; [unrolled: 1-line block ×3, first 2 shown]
	s_waitcnt lgkmcnt(0)
	s_add_u32 s2, s10, s14
	s_and_b32 s4, s12, 31
	s_and_b32 s2, s2, 31
	s_sub_u32 s16, s18, s6
	s_subb_u32 s17, s19, s7
	s_and_b32 s6, s18, 3
	s_mov_b32 s7, s3
	s_or_b64 s[4:5], s[4:5], s[6:7]
	s_or_b64 s[2:3], s[4:5], s[2:3]
	s_cmp_eq_u64 s[2:3], 0
	s_mov_b64 s[2:3], -1
	s_cbranch_scc1 .LBB17_21
; %bb.1:
	v_cmp_lt_i64_e64 s[2:3], s[16:17], 1
	s_and_b64 vcc, exec, s[2:3]
	s_cbranch_vccnz .LBB17_20
; %bb.2:
	s_load_dword s2, s[0:1], 0xc64
	v_mov_b64_e32 v[2:3], 0x10000
	v_cmp_lt_i64_e32 vcc, s[16:17], v[2:3]
	s_and_b64 s[4:5], vcc, exec
	s_mov_b32 s3, 0
	s_cselect_b32 s19, s17, 0
	s_cselect_b32 s18, s16, 0x10000
	s_waitcnt lgkmcnt(0)
	s_and_b32 s2, s2, 0xffff
	v_cmp_lt_u64_e32 vcc, s[16:17], v[2:3]
	v_mov_b32_e32 v1, 0
	s_and_b64 s[4:5], vcc, exec
	s_mul_i32 s6, s2, 3
	s_mov_b32 s7, s3
	s_cselect_b32 s21, s17, 0
	s_cselect_b32 s20, s16, 0x10000
	v_lshlrev_b32_e32 v12, 3, v0
	v_mov_b32_e32 v13, v1
	v_lshl_add_u64 v[10:11], s[6:7], 0, v[0:1]
	s_lshl_b32 s6, s2, 4
	v_lshl_add_u64 v[18:19], v[0:1], 0, s[2:3]
	s_lshl_b32 s4, s2, 1
	s_mov_b32 s5, s3
	v_mad_u64_u32 v[8:9], s[24:25], s2, 24, v[12:13]
	v_lshl_add_u64 v[14:15], s[6:7], 0, v[12:13]
	v_lshlrev_b32_e32 v22, 3, v18
	v_mov_b32_e32 v23, v1
	s_lshl_b32 s28, s2, 2
	v_lshl_add_u64 v[2:3], s[10:11], 0, v[12:13]
	s_lshl_b32 s22, s2, 5
	s_mov_b32 s23, s3
	v_lshl_add_u64 v[4:5], s[12:13], 0, v[12:13]
	v_lshl_add_u64 v[6:7], s[10:11], 0, v[8:9]
	;; [unrolled: 1-line block ×8, first 2 shown]
	s_mov_b64 s[24:25], 0
	s_branch .LBB17_4
.LBB17_3:                               ;   in Loop: Header=BB17_4 Depth=1
	s_or_b64 exec, exec, s[2:3]
	s_add_u32 s24, s24, s28
	s_addc_u32 s25, s25, 0
	s_waitcnt vmcnt(0)
	v_mov_b64_e32 v[24:25], s[18:19]
	v_cmp_lt_i64_e32 vcc, s[24:25], v[24:25]
	v_lshl_add_u64 v[2:3], v[2:3], 0, s[22:23]
	v_lshl_add_u64 v[4:5], v[4:5], 0, s[22:23]
	;; [unrolled: 1-line block ×8, first 2 shown]
	s_cbranch_vccz .LBB17_20
.LBB17_4:                               ; =>This Inner Loop Header: Depth=1
	v_lshl_add_u64 v[24:25], v[0:1], 0, s[24:25]
	v_cmp_gt_u64_e32 vcc, s[20:21], v[24:25]
	v_mov_b64_e32 v[24:25], 0
	v_mov_b64_e32 v[28:29], 0
	s_and_saveexec_b64 s[2:3], vcc
	s_cbranch_execz .LBB17_6
; %bb.5:                                ;   in Loop: Header=BB17_4 Depth=1
	v_lshl_add_u64 v[26:27], v[2:3], 0, s[14:15]
	global_load_dwordx2 v[28:29], v[26:27], off
.LBB17_6:                               ;   in Loop: Header=BB17_4 Depth=1
	s_or_b64 exec, exec, s[2:3]
	v_lshl_add_u64 v[26:27], v[18:19], 0, s[24:25]
	v_cmp_gt_u64_e64 s[2:3], s[20:21], v[26:27]
	s_and_saveexec_b64 s[4:5], s[2:3]
	s_cbranch_execz .LBB17_8
; %bb.7:                                ;   in Loop: Header=BB17_4 Depth=1
	v_lshl_add_u64 v[24:25], v[20:21], 0, s[14:15]
	global_load_dwordx2 v[24:25], v[24:25], off
.LBB17_8:                               ;   in Loop: Header=BB17_4 Depth=1
	s_or_b64 exec, exec, s[4:5]
	v_lshl_add_u64 v[26:27], v[16:17], 0, s[24:25]
	v_cmp_gt_u64_e64 s[4:5], s[20:21], v[26:27]
	v_mov_b64_e32 v[26:27], 0
	v_mov_b64_e32 v[30:31], 0
	s_and_saveexec_b64 s[6:7], s[4:5]
	s_cbranch_execz .LBB17_10
; %bb.9:                                ;   in Loop: Header=BB17_4 Depth=1
	v_lshl_add_u64 v[30:31], v[12:13], 0, s[14:15]
	global_load_dwordx2 v[30:31], v[30:31], off
.LBB17_10:                              ;   in Loop: Header=BB17_4 Depth=1
	s_or_b64 exec, exec, s[6:7]
	v_lshl_add_u64 v[32:33], v[10:11], 0, s[24:25]
	v_cmp_gt_u64_e64 s[6:7], s[20:21], v[32:33]
	s_and_saveexec_b64 s[26:27], s[6:7]
	s_cbranch_execnz .LBB17_15
; %bb.11:                               ;   in Loop: Header=BB17_4 Depth=1
	s_or_b64 exec, exec, s[26:27]
	s_and_saveexec_b64 s[26:27], vcc
	s_cbranch_execnz .LBB17_16
.LBB17_12:                              ;   in Loop: Header=BB17_4 Depth=1
	s_or_b64 exec, exec, s[26:27]
	s_and_saveexec_b64 s[26:27], s[2:3]
	s_cbranch_execnz .LBB17_17
.LBB17_13:                              ;   in Loop: Header=BB17_4 Depth=1
	s_or_b64 exec, exec, s[26:27]
	s_and_saveexec_b64 s[2:3], s[4:5]
	s_cbranch_execnz .LBB17_18
.LBB17_14:                              ;   in Loop: Header=BB17_4 Depth=1
	s_or_b64 exec, exec, s[2:3]
	s_and_saveexec_b64 s[2:3], s[6:7]
	s_cbranch_execz .LBB17_3
	s_branch .LBB17_19
.LBB17_15:                              ;   in Loop: Header=BB17_4 Depth=1
	v_lshl_add_u64 v[26:27], v[6:7], 0, s[14:15]
	global_load_dwordx2 v[26:27], v[26:27], off
	s_or_b64 exec, exec, s[26:27]
	s_and_saveexec_b64 s[26:27], vcc
	s_cbranch_execz .LBB17_12
.LBB17_16:                              ;   in Loop: Header=BB17_4 Depth=1
	s_waitcnt vmcnt(0)
	v_add_f64 v[28:29], s[8:9], v[28:29]
	v_lshl_add_u64 v[32:33], v[4:5], 0, s[14:15]
	global_store_dwordx2 v[32:33], v[28:29], off
	s_or_b64 exec, exec, s[26:27]
	s_and_saveexec_b64 s[26:27], s[2:3]
	s_cbranch_execz .LBB17_13
.LBB17_17:                              ;   in Loop: Header=BB17_4 Depth=1
	s_waitcnt vmcnt(0)
	v_add_f64 v[24:25], s[8:9], v[24:25]
	v_lshl_add_u64 v[28:29], v[22:23], 0, s[14:15]
	global_store_dwordx2 v[28:29], v[24:25], off
	s_or_b64 exec, exec, s[26:27]
	s_and_saveexec_b64 s[2:3], s[4:5]
	s_cbranch_execz .LBB17_14
.LBB17_18:                              ;   in Loop: Header=BB17_4 Depth=1
	s_waitcnt vmcnt(0)
	v_add_f64 v[24:25], s[8:9], v[30:31]
	v_lshl_add_u64 v[28:29], v[14:15], 0, s[14:15]
	global_store_dwordx2 v[28:29], v[24:25], off
	s_or_b64 exec, exec, s[2:3]
	s_and_saveexec_b64 s[2:3], s[6:7]
	s_cbranch_execz .LBB17_3
.LBB17_19:                              ;   in Loop: Header=BB17_4 Depth=1
	s_waitcnt vmcnt(0)
	v_add_f64 v[24:25], s[8:9], v[26:27]
	v_lshl_add_u64 v[26:27], v[8:9], 0, s[14:15]
	global_store_dwordx2 v[26:27], v[24:25], off
	s_branch .LBB17_3
.LBB17_20:
	s_mov_b64 s[2:3], 0
.LBB17_21:
	s_andn2_b64 vcc, exec, s[2:3]
	s_cbranch_vccnz .LBB17_25
; %bb.22:
	v_mov_b64_e32 v[4:5], 0x10000
	v_cmp_lt_i64_e32 vcc, s[16:17], v[4:5]
	s_and_b64 s[4:5], vcc, exec
	v_mov_b32_e32 v3, 0
	s_cselect_b32 s5, s17, 0
	s_cselect_b32 s4, s16, 0x10000
	v_lshlrev_b32_e32 v2, 2, v0
	s_mov_b32 s3, 0
	v_cmp_gt_i64_e32 vcc, s[4:5], v[2:3]
	s_and_saveexec_b64 s[6:7], vcc
	s_cbranch_execz .LBB17_25
; %bb.23:
	s_load_dword s0, s[0:1], 0xc64
	v_lshlrev_b32_e32 v2, 5, v0
	v_mov_b32_e32 v1, v3
	s_mov_b32 s1, s3
	v_lshl_add_u64 v[2:3], s[14:15], 0, v[2:3]
	s_waitcnt lgkmcnt(0)
	s_and_b32 s2, s0, 0xffff
	s_lshl_b32 s0, s2, 5
	s_mov_b64 s[6:7], 0
.LBB17_24:                              ; =>This Inner Loop Header: Depth=1
	v_lshl_add_u64 v[12:13], s[10:11], 0, v[2:3]
	global_load_dwordx4 v[4:7], v[12:13], off
	global_load_dwordx4 v[8:11], v[12:13], off offset:16
	v_lshl_add_u64 v[0:1], v[0:1], 0, s[2:3]
	v_lshlrev_b64 v[14:15], 2, v[0:1]
	v_cmp_le_i64_e32 vcc, s[4:5], v[14:15]
	v_lshl_add_u64 v[12:13], s[12:13], 0, v[2:3]
	v_lshl_add_u64 v[2:3], v[2:3], 0, s[0:1]
	s_or_b64 s[6:7], vcc, s[6:7]
	s_waitcnt vmcnt(1)
	v_add_f64 v[4:5], s[8:9], v[4:5]
	v_add_f64 v[6:7], s[8:9], v[6:7]
	s_waitcnt vmcnt(0)
	v_add_f64 v[8:9], s[8:9], v[8:9]
	v_add_f64 v[10:11], s[8:9], v[10:11]
	global_store_dwordx4 v[12:13], v[4:7], off
	global_store_dwordx4 v[12:13], v[8:11], off offset:16
	s_andn2_b64 exec, exec, s[6:7]
	s_cbranch_execnz .LBB17_24
.LBB17_25:
	s_endpgm
	.section	.rodata,"a",@progbits
	.p2align	6, 0x0
	.amdhsa_kernel _ZN2at6native12_GLOBAL__N_125multi_tensor_apply_kernelINS1_18TensorListMetadataILi2EEENS1_21BinaryOpScalarFunctorIdLi2ELi1ELi1EEEJSt4plusIdEdEEEvT_T0_DpT1_
		.amdhsa_group_segment_fixed_size 0
		.amdhsa_private_segment_fixed_size 0
		.amdhsa_kernarg_size 3416
		.amdhsa_user_sgpr_count 2
		.amdhsa_user_sgpr_dispatch_ptr 0
		.amdhsa_user_sgpr_queue_ptr 0
		.amdhsa_user_sgpr_kernarg_segment_ptr 1
		.amdhsa_user_sgpr_dispatch_id 0
		.amdhsa_user_sgpr_kernarg_preload_length 0
		.amdhsa_user_sgpr_kernarg_preload_offset 0
		.amdhsa_user_sgpr_private_segment_size 0
		.amdhsa_uses_dynamic_stack 0
		.amdhsa_enable_private_segment 0
		.amdhsa_system_sgpr_workgroup_id_x 1
		.amdhsa_system_sgpr_workgroup_id_y 0
		.amdhsa_system_sgpr_workgroup_id_z 0
		.amdhsa_system_sgpr_workgroup_info 0
		.amdhsa_system_vgpr_workitem_id 0
		.amdhsa_next_free_vgpr 34
		.amdhsa_next_free_sgpr 29
		.amdhsa_accum_offset 36
		.amdhsa_reserve_vcc 1
		.amdhsa_float_round_mode_32 0
		.amdhsa_float_round_mode_16_64 0
		.amdhsa_float_denorm_mode_32 3
		.amdhsa_float_denorm_mode_16_64 3
		.amdhsa_dx10_clamp 1
		.amdhsa_ieee_mode 1
		.amdhsa_fp16_overflow 0
		.amdhsa_tg_split 0
		.amdhsa_exception_fp_ieee_invalid_op 0
		.amdhsa_exception_fp_denorm_src 0
		.amdhsa_exception_fp_ieee_div_zero 0
		.amdhsa_exception_fp_ieee_overflow 0
		.amdhsa_exception_fp_ieee_underflow 0
		.amdhsa_exception_fp_ieee_inexact 0
		.amdhsa_exception_int_div_zero 0
	.end_amdhsa_kernel
	.section	.text._ZN2at6native12_GLOBAL__N_125multi_tensor_apply_kernelINS1_18TensorListMetadataILi2EEENS1_21BinaryOpScalarFunctorIdLi2ELi1ELi1EEEJSt4plusIdEdEEEvT_T0_DpT1_,"axG",@progbits,_ZN2at6native12_GLOBAL__N_125multi_tensor_apply_kernelINS1_18TensorListMetadataILi2EEENS1_21BinaryOpScalarFunctorIdLi2ELi1ELi1EEEJSt4plusIdEdEEEvT_T0_DpT1_,comdat
.Lfunc_end17:
	.size	_ZN2at6native12_GLOBAL__N_125multi_tensor_apply_kernelINS1_18TensorListMetadataILi2EEENS1_21BinaryOpScalarFunctorIdLi2ELi1ELi1EEEJSt4plusIdEdEEEvT_T0_DpT1_, .Lfunc_end17-_ZN2at6native12_GLOBAL__N_125multi_tensor_apply_kernelINS1_18TensorListMetadataILi2EEENS1_21BinaryOpScalarFunctorIdLi2ELi1ELi1EEEJSt4plusIdEdEEEvT_T0_DpT1_
                                        ; -- End function
	.set _ZN2at6native12_GLOBAL__N_125multi_tensor_apply_kernelINS1_18TensorListMetadataILi2EEENS1_21BinaryOpScalarFunctorIdLi2ELi1ELi1EEEJSt4plusIdEdEEEvT_T0_DpT1_.num_vgpr, 34
	.set _ZN2at6native12_GLOBAL__N_125multi_tensor_apply_kernelINS1_18TensorListMetadataILi2EEENS1_21BinaryOpScalarFunctorIdLi2ELi1ELi1EEEJSt4plusIdEdEEEvT_T0_DpT1_.num_agpr, 0
	.set _ZN2at6native12_GLOBAL__N_125multi_tensor_apply_kernelINS1_18TensorListMetadataILi2EEENS1_21BinaryOpScalarFunctorIdLi2ELi1ELi1EEEJSt4plusIdEdEEEvT_T0_DpT1_.numbered_sgpr, 29
	.set _ZN2at6native12_GLOBAL__N_125multi_tensor_apply_kernelINS1_18TensorListMetadataILi2EEENS1_21BinaryOpScalarFunctorIdLi2ELi1ELi1EEEJSt4plusIdEdEEEvT_T0_DpT1_.num_named_barrier, 0
	.set _ZN2at6native12_GLOBAL__N_125multi_tensor_apply_kernelINS1_18TensorListMetadataILi2EEENS1_21BinaryOpScalarFunctorIdLi2ELi1ELi1EEEJSt4plusIdEdEEEvT_T0_DpT1_.private_seg_size, 0
	.set _ZN2at6native12_GLOBAL__N_125multi_tensor_apply_kernelINS1_18TensorListMetadataILi2EEENS1_21BinaryOpScalarFunctorIdLi2ELi1ELi1EEEJSt4plusIdEdEEEvT_T0_DpT1_.uses_vcc, 1
	.set _ZN2at6native12_GLOBAL__N_125multi_tensor_apply_kernelINS1_18TensorListMetadataILi2EEENS1_21BinaryOpScalarFunctorIdLi2ELi1ELi1EEEJSt4plusIdEdEEEvT_T0_DpT1_.uses_flat_scratch, 0
	.set _ZN2at6native12_GLOBAL__N_125multi_tensor_apply_kernelINS1_18TensorListMetadataILi2EEENS1_21BinaryOpScalarFunctorIdLi2ELi1ELi1EEEJSt4plusIdEdEEEvT_T0_DpT1_.has_dyn_sized_stack, 0
	.set _ZN2at6native12_GLOBAL__N_125multi_tensor_apply_kernelINS1_18TensorListMetadataILi2EEENS1_21BinaryOpScalarFunctorIdLi2ELi1ELi1EEEJSt4plusIdEdEEEvT_T0_DpT1_.has_recursion, 0
	.set _ZN2at6native12_GLOBAL__N_125multi_tensor_apply_kernelINS1_18TensorListMetadataILi2EEENS1_21BinaryOpScalarFunctorIdLi2ELi1ELi1EEEJSt4plusIdEdEEEvT_T0_DpT1_.has_indirect_call, 0
	.section	.AMDGPU.csdata,"",@progbits
; Kernel info:
; codeLenInByte = 1152
; TotalNumSgprs: 35
; NumVgprs: 34
; NumAgprs: 0
; TotalNumVgprs: 34
; ScratchSize: 0
; MemoryBound: 0
; FloatMode: 240
; IeeeMode: 1
; LDSByteSize: 0 bytes/workgroup (compile time only)
; SGPRBlocks: 4
; VGPRBlocks: 4
; NumSGPRsForWavesPerEU: 35
; NumVGPRsForWavesPerEU: 34
; AccumOffset: 36
; Occupancy: 8
; WaveLimiterHint : 0
; COMPUTE_PGM_RSRC2:SCRATCH_EN: 0
; COMPUTE_PGM_RSRC2:USER_SGPR: 2
; COMPUTE_PGM_RSRC2:TRAP_HANDLER: 0
; COMPUTE_PGM_RSRC2:TGID_X_EN: 1
; COMPUTE_PGM_RSRC2:TGID_Y_EN: 0
; COMPUTE_PGM_RSRC2:TGID_Z_EN: 0
; COMPUTE_PGM_RSRC2:TIDIG_COMP_CNT: 0
; COMPUTE_PGM_RSRC3_GFX90A:ACCUM_OFFSET: 8
; COMPUTE_PGM_RSRC3_GFX90A:TG_SPLIT: 0
	.section	.text._ZN2at6native12_GLOBAL__N_125multi_tensor_apply_kernelINS1_18TensorListMetadataILi2EEENS1_21BinaryOpScalarFunctorIfLi2ELi1ELi1EEEJSt4plusIfEfEEEvT_T0_DpT1_,"axG",@progbits,_ZN2at6native12_GLOBAL__N_125multi_tensor_apply_kernelINS1_18TensorListMetadataILi2EEENS1_21BinaryOpScalarFunctorIfLi2ELi1ELi1EEEJSt4plusIfEfEEEvT_T0_DpT1_,comdat
	.globl	_ZN2at6native12_GLOBAL__N_125multi_tensor_apply_kernelINS1_18TensorListMetadataILi2EEENS1_21BinaryOpScalarFunctorIfLi2ELi1ELi1EEEJSt4plusIfEfEEEvT_T0_DpT1_ ; -- Begin function _ZN2at6native12_GLOBAL__N_125multi_tensor_apply_kernelINS1_18TensorListMetadataILi2EEENS1_21BinaryOpScalarFunctorIfLi2ELi1ELi1EEEJSt4plusIfEfEEEvT_T0_DpT1_
	.p2align	8
	.type	_ZN2at6native12_GLOBAL__N_125multi_tensor_apply_kernelINS1_18TensorListMetadataILi2EEENS1_21BinaryOpScalarFunctorIfLi2ELi1ELi1EEEJSt4plusIfEfEEEvT_T0_DpT1_,@function
_ZN2at6native12_GLOBAL__N_125multi_tensor_apply_kernelINS1_18TensorListMetadataILi2EEENS1_21BinaryOpScalarFunctorIfLi2ELi1ELi1EEEJSt4plusIfEfEEEvT_T0_DpT1_: ; @_ZN2at6native12_GLOBAL__N_125multi_tensor_apply_kernelINS1_18TensorListMetadataILi2EEENS1_21BinaryOpScalarFunctorIfLi2ELi1ELi1EEEJSt4plusIfEfEEEvT_T0_DpT1_
; %bb.0:
	v_mov_b32_e32 v1, s2
	global_load_ubyte v1, v1, s[0:1] offset:1536
	s_add_u32 s4, s0, s2
	s_mul_hi_u32 s7, s2, 3
	s_mul_i32 s2, s2, 3
	s_addc_u32 s8, s1, 0
	s_add_u32 s6, s4, s2
	s_addc_u32 s7, s8, s7
	s_load_dword s6, s[6:7], 0x740
	s_mov_b32 s3, 0
	s_mov_b32 s5, s3
	s_waitcnt lgkmcnt(0)
	s_ashr_i32 s7, s6, 31
	s_lshl_b64 s[14:15], s[6:7], 18
	s_lshl_b64 s[6:7], s[6:7], 16
	s_waitcnt vmcnt(0)
	v_readfirstlane_b32 s2, v1
	s_lshl_b32 s2, s2, 3
	s_load_dword s8, s[0:1], 0xc4c
	s_load_dwordx2 s[18:19], s[0:1], s2 offset:0x400
	s_load_dwordx2 s[12:13], s[0:1], s2 offset:0x0
	s_load_dwordx2 s[10:11], s[0:1], s2 offset:0x200
	s_waitcnt lgkmcnt(0)
	s_add_u32 s2, s12, s14
	s_and_b32 s4, s10, 15
	s_and_b32 s2, s2, 15
	s_sub_u32 s16, s18, s6
	s_subb_u32 s17, s19, s7
	s_and_b32 s6, s18, 3
	s_mov_b32 s7, s3
	s_or_b64 s[4:5], s[4:5], s[6:7]
	s_or_b64 s[2:3], s[4:5], s[2:3]
	s_cmp_eq_u64 s[2:3], 0
	s_mov_b64 s[2:3], -1
	s_cbranch_scc1 .LBB18_21
; %bb.1:
	v_cmp_lt_i64_e64 s[2:3], s[16:17], 1
	s_and_b64 vcc, exec, s[2:3]
	s_cbranch_vccnz .LBB18_20
; %bb.2:
	s_load_dword s2, s[0:1], 0xc5c
	v_mov_b64_e32 v[2:3], 0x10000
	v_cmp_lt_i64_e32 vcc, s[16:17], v[2:3]
	s_and_b64 s[4:5], vcc, exec
	s_mov_b32 s3, 0
	s_cselect_b32 s5, s17, 0
	s_cselect_b32 s4, s16, 0x10000
	s_waitcnt lgkmcnt(0)
	s_and_b32 s2, s2, 0xffff
	v_cmp_lt_u64_e32 vcc, s[16:17], v[2:3]
	v_mov_b32_e32 v1, 0
	s_and_b64 s[6:7], vcc, exec
	s_mul_i32 s22, s2, 3
	s_mov_b32 s23, s3
	s_cselect_b32 s19, s17, 0
	s_cselect_b32 s18, s16, 0x10000
	v_lshlrev_b32_e32 v12, 2, v0
	v_mov_b32_e32 v13, v1
	v_lshl_add_u64 v[10:11], s[22:23], 0, v[0:1]
	s_lshl_b32 s22, s2, 3
	v_lshl_add_u64 v[18:19], v[0:1], 0, s[2:3]
	s_lshl_b32 s6, s2, 1
	s_mov_b32 s7, s3
	v_mad_u64_u32 v[8:9], s[24:25], s2, 12, v[12:13]
	v_lshl_add_u64 v[14:15], s[22:23], 0, v[12:13]
	v_lshlrev_b32_e32 v22, 2, v18
	v_mov_b32_e32 v23, v1
	s_lshl_b32 s9, s2, 2
	v_lshl_add_u64 v[2:3], s[12:13], 0, v[12:13]
	s_lshl_b32 s20, s2, 4
	s_mov_b32 s21, s3
	v_lshl_add_u64 v[4:5], s[10:11], 0, v[12:13]
	v_lshl_add_u64 v[6:7], s[12:13], 0, v[8:9]
	;; [unrolled: 1-line block ×8, first 2 shown]
	s_mov_b64 s[22:23], 0
	v_mov_b64_e32 v[24:25], s[4:5]
	s_branch .LBB18_4
.LBB18_3:                               ;   in Loop: Header=BB18_4 Depth=1
	s_or_b64 exec, exec, s[2:3]
	s_add_u32 s22, s22, s9
	s_addc_u32 s23, s23, 0
	v_cmp_lt_i64_e32 vcc, s[22:23], v[24:25]
	v_lshl_add_u64 v[2:3], v[2:3], 0, s[20:21]
	v_lshl_add_u64 v[4:5], v[4:5], 0, s[20:21]
	;; [unrolled: 1-line block ×8, first 2 shown]
	s_cbranch_vccz .LBB18_20
.LBB18_4:                               ; =>This Inner Loop Header: Depth=1
	s_waitcnt vmcnt(0)
	v_lshl_add_u64 v[26:27], v[0:1], 0, s[22:23]
	v_cmp_gt_u64_e32 vcc, s[18:19], v[26:27]
	v_mov_b32_e32 v27, 0
	s_and_saveexec_b64 s[2:3], vcc
	s_cbranch_execz .LBB18_6
; %bb.5:                                ;   in Loop: Header=BB18_4 Depth=1
	v_lshl_add_u64 v[26:27], v[2:3], 0, s[14:15]
	global_load_dword v27, v[26:27], off
.LBB18_6:                               ;   in Loop: Header=BB18_4 Depth=1
	s_or_b64 exec, exec, s[2:3]
	v_lshl_add_u64 v[28:29], v[18:19], 0, s[22:23]
	v_cmp_gt_u64_e64 s[2:3], s[18:19], v[28:29]
	v_mov_b32_e32 v26, 0
	v_mov_b32_e32 v28, 0
	s_and_saveexec_b64 s[4:5], s[2:3]
	s_cbranch_execz .LBB18_8
; %bb.7:                                ;   in Loop: Header=BB18_4 Depth=1
	v_lshl_add_u64 v[28:29], v[20:21], 0, s[14:15]
	global_load_dword v28, v[28:29], off
.LBB18_8:                               ;   in Loop: Header=BB18_4 Depth=1
	s_or_b64 exec, exec, s[4:5]
	v_lshl_add_u64 v[30:31], v[16:17], 0, s[22:23]
	v_cmp_gt_u64_e64 s[4:5], s[18:19], v[30:31]
	s_and_saveexec_b64 s[6:7], s[4:5]
	s_cbranch_execz .LBB18_10
; %bb.9:                                ;   in Loop: Header=BB18_4 Depth=1
	v_lshl_add_u64 v[30:31], v[12:13], 0, s[14:15]
	global_load_dword v26, v[30:31], off
.LBB18_10:                              ;   in Loop: Header=BB18_4 Depth=1
	s_or_b64 exec, exec, s[6:7]
	v_lshl_add_u64 v[30:31], v[10:11], 0, s[22:23]
	v_cmp_gt_u64_e64 s[6:7], s[18:19], v[30:31]
	v_mov_b32_e32 v29, 0
	s_and_saveexec_b64 s[24:25], s[6:7]
	s_cbranch_execnz .LBB18_15
; %bb.11:                               ;   in Loop: Header=BB18_4 Depth=1
	s_or_b64 exec, exec, s[24:25]
	s_and_saveexec_b64 s[24:25], vcc
	s_cbranch_execnz .LBB18_16
.LBB18_12:                              ;   in Loop: Header=BB18_4 Depth=1
	s_or_b64 exec, exec, s[24:25]
	s_and_saveexec_b64 s[24:25], s[2:3]
	s_cbranch_execnz .LBB18_17
.LBB18_13:                              ;   in Loop: Header=BB18_4 Depth=1
	s_or_b64 exec, exec, s[24:25]
	s_and_saveexec_b64 s[2:3], s[4:5]
	s_cbranch_execnz .LBB18_18
.LBB18_14:                              ;   in Loop: Header=BB18_4 Depth=1
	s_or_b64 exec, exec, s[2:3]
	s_and_saveexec_b64 s[2:3], s[6:7]
	s_cbranch_execz .LBB18_3
	s_branch .LBB18_19
.LBB18_15:                              ;   in Loop: Header=BB18_4 Depth=1
	v_lshl_add_u64 v[30:31], v[6:7], 0, s[14:15]
	global_load_dword v29, v[30:31], off
	s_or_b64 exec, exec, s[24:25]
	s_and_saveexec_b64 s[24:25], vcc
	s_cbranch_execz .LBB18_12
.LBB18_16:                              ;   in Loop: Header=BB18_4 Depth=1
	s_waitcnt vmcnt(0)
	v_add_f32_e32 v27, s8, v27
	v_lshl_add_u64 v[30:31], v[4:5], 0, s[14:15]
	global_store_dword v[30:31], v27, off
	s_or_b64 exec, exec, s[24:25]
	s_and_saveexec_b64 s[24:25], s[2:3]
	s_cbranch_execz .LBB18_13
.LBB18_17:                              ;   in Loop: Header=BB18_4 Depth=1
	s_waitcnt vmcnt(0)
	v_add_f32_e32 v27, s8, v28
	v_lshl_add_u64 v[30:31], v[22:23], 0, s[14:15]
	global_store_dword v[30:31], v27, off
	s_or_b64 exec, exec, s[24:25]
	s_and_saveexec_b64 s[2:3], s[4:5]
	s_cbranch_execz .LBB18_14
.LBB18_18:                              ;   in Loop: Header=BB18_4 Depth=1
	s_waitcnt vmcnt(0)
	v_add_f32_e32 v28, s8, v26
	v_lshl_add_u64 v[26:27], v[14:15], 0, s[14:15]
	global_store_dword v[26:27], v28, off
	s_or_b64 exec, exec, s[2:3]
	s_and_saveexec_b64 s[2:3], s[6:7]
	s_cbranch_execz .LBB18_3
.LBB18_19:                              ;   in Loop: Header=BB18_4 Depth=1
	s_waitcnt vmcnt(0)
	v_add_f32_e32 v28, s8, v29
	v_lshl_add_u64 v[26:27], v[8:9], 0, s[14:15]
	global_store_dword v[26:27], v28, off
	s_branch .LBB18_3
.LBB18_20:
	s_mov_b64 s[2:3], 0
.LBB18_21:
	s_andn2_b64 vcc, exec, s[2:3]
	s_cbranch_vccnz .LBB18_25
; %bb.22:
	v_mov_b64_e32 v[4:5], 0x10000
	v_cmp_lt_i64_e32 vcc, s[16:17], v[4:5]
	s_and_b64 s[4:5], vcc, exec
	v_mov_b32_e32 v3, 0
	s_cselect_b32 s5, s17, 0
	s_cselect_b32 s4, s16, 0x10000
	v_lshlrev_b32_e32 v2, 2, v0
	s_mov_b32 s3, 0
	v_cmp_gt_i64_e32 vcc, s[4:5], v[2:3]
	s_and_saveexec_b64 s[6:7], vcc
	s_cbranch_execz .LBB18_25
; %bb.23:
	s_load_dword s0, s[0:1], 0xc5c
	v_lshlrev_b32_e32 v2, 4, v0
	v_mov_b32_e32 v1, v3
	s_mov_b32 s9, s8
	v_lshl_add_u64 v[2:3], s[14:15], 0, v[2:3]
	s_waitcnt lgkmcnt(0)
	s_and_b32 s2, s0, 0xffff
	s_lshl_b32 s0, s2, 4
	s_add_u32 s6, s12, 8
	s_mov_b32 s1, s3
	s_addc_u32 s7, s13, 0
	s_mov_b64 s[12:13], 0
.LBB18_24:                              ; =>This Inner Loop Header: Depth=1
	v_lshl_add_u64 v[4:5], s[6:7], 0, v[2:3]
	global_load_dwordx4 v[4:7], v[4:5], off offset:-8
	v_lshl_add_u64 v[0:1], v[0:1], 0, s[2:3]
	v_lshlrev_b64 v[10:11], 2, v[0:1]
	v_cmp_le_i64_e32 vcc, s[4:5], v[10:11]
	v_lshl_add_u64 v[8:9], s[10:11], 0, v[2:3]
	v_lshl_add_u64 v[2:3], v[2:3], 0, s[0:1]
	s_or_b64 s[12:13], vcc, s[12:13]
	s_waitcnt vmcnt(0)
	v_pk_add_f32 v[4:5], s[8:9], v[4:5]
	v_pk_add_f32 v[6:7], s[8:9], v[6:7]
	global_store_dwordx4 v[8:9], v[4:7], off
	s_andn2_b64 exec, exec, s[12:13]
	s_cbranch_execnz .LBB18_24
.LBB18_25:
	s_endpgm
	.section	.rodata,"a",@progbits
	.p2align	6, 0x0
	.amdhsa_kernel _ZN2at6native12_GLOBAL__N_125multi_tensor_apply_kernelINS1_18TensorListMetadataILi2EEENS1_21BinaryOpScalarFunctorIfLi2ELi1ELi1EEEJSt4plusIfEfEEEvT_T0_DpT1_
		.amdhsa_group_segment_fixed_size 0
		.amdhsa_private_segment_fixed_size 0
		.amdhsa_kernarg_size 3408
		.amdhsa_user_sgpr_count 2
		.amdhsa_user_sgpr_dispatch_ptr 0
		.amdhsa_user_sgpr_queue_ptr 0
		.amdhsa_user_sgpr_kernarg_segment_ptr 1
		.amdhsa_user_sgpr_dispatch_id 0
		.amdhsa_user_sgpr_kernarg_preload_length 0
		.amdhsa_user_sgpr_kernarg_preload_offset 0
		.amdhsa_user_sgpr_private_segment_size 0
		.amdhsa_uses_dynamic_stack 0
		.amdhsa_enable_private_segment 0
		.amdhsa_system_sgpr_workgroup_id_x 1
		.amdhsa_system_sgpr_workgroup_id_y 0
		.amdhsa_system_sgpr_workgroup_id_z 0
		.amdhsa_system_sgpr_workgroup_info 0
		.amdhsa_system_vgpr_workitem_id 0
		.amdhsa_next_free_vgpr 32
		.amdhsa_next_free_sgpr 26
		.amdhsa_accum_offset 32
		.amdhsa_reserve_vcc 1
		.amdhsa_float_round_mode_32 0
		.amdhsa_float_round_mode_16_64 0
		.amdhsa_float_denorm_mode_32 3
		.amdhsa_float_denorm_mode_16_64 3
		.amdhsa_dx10_clamp 1
		.amdhsa_ieee_mode 1
		.amdhsa_fp16_overflow 0
		.amdhsa_tg_split 0
		.amdhsa_exception_fp_ieee_invalid_op 0
		.amdhsa_exception_fp_denorm_src 0
		.amdhsa_exception_fp_ieee_div_zero 0
		.amdhsa_exception_fp_ieee_overflow 0
		.amdhsa_exception_fp_ieee_underflow 0
		.amdhsa_exception_fp_ieee_inexact 0
		.amdhsa_exception_int_div_zero 0
	.end_amdhsa_kernel
	.section	.text._ZN2at6native12_GLOBAL__N_125multi_tensor_apply_kernelINS1_18TensorListMetadataILi2EEENS1_21BinaryOpScalarFunctorIfLi2ELi1ELi1EEEJSt4plusIfEfEEEvT_T0_DpT1_,"axG",@progbits,_ZN2at6native12_GLOBAL__N_125multi_tensor_apply_kernelINS1_18TensorListMetadataILi2EEENS1_21BinaryOpScalarFunctorIfLi2ELi1ELi1EEEJSt4plusIfEfEEEvT_T0_DpT1_,comdat
.Lfunc_end18:
	.size	_ZN2at6native12_GLOBAL__N_125multi_tensor_apply_kernelINS1_18TensorListMetadataILi2EEENS1_21BinaryOpScalarFunctorIfLi2ELi1ELi1EEEJSt4plusIfEfEEEvT_T0_DpT1_, .Lfunc_end18-_ZN2at6native12_GLOBAL__N_125multi_tensor_apply_kernelINS1_18TensorListMetadataILi2EEENS1_21BinaryOpScalarFunctorIfLi2ELi1ELi1EEEJSt4plusIfEfEEEvT_T0_DpT1_
                                        ; -- End function
	.set _ZN2at6native12_GLOBAL__N_125multi_tensor_apply_kernelINS1_18TensorListMetadataILi2EEENS1_21BinaryOpScalarFunctorIfLi2ELi1ELi1EEEJSt4plusIfEfEEEvT_T0_DpT1_.num_vgpr, 32
	.set _ZN2at6native12_GLOBAL__N_125multi_tensor_apply_kernelINS1_18TensorListMetadataILi2EEENS1_21BinaryOpScalarFunctorIfLi2ELi1ELi1EEEJSt4plusIfEfEEEvT_T0_DpT1_.num_agpr, 0
	.set _ZN2at6native12_GLOBAL__N_125multi_tensor_apply_kernelINS1_18TensorListMetadataILi2EEENS1_21BinaryOpScalarFunctorIfLi2ELi1ELi1EEEJSt4plusIfEfEEEvT_T0_DpT1_.numbered_sgpr, 26
	.set _ZN2at6native12_GLOBAL__N_125multi_tensor_apply_kernelINS1_18TensorListMetadataILi2EEENS1_21BinaryOpScalarFunctorIfLi2ELi1ELi1EEEJSt4plusIfEfEEEvT_T0_DpT1_.num_named_barrier, 0
	.set _ZN2at6native12_GLOBAL__N_125multi_tensor_apply_kernelINS1_18TensorListMetadataILi2EEENS1_21BinaryOpScalarFunctorIfLi2ELi1ELi1EEEJSt4plusIfEfEEEvT_T0_DpT1_.private_seg_size, 0
	.set _ZN2at6native12_GLOBAL__N_125multi_tensor_apply_kernelINS1_18TensorListMetadataILi2EEENS1_21BinaryOpScalarFunctorIfLi2ELi1ELi1EEEJSt4plusIfEfEEEvT_T0_DpT1_.uses_vcc, 1
	.set _ZN2at6native12_GLOBAL__N_125multi_tensor_apply_kernelINS1_18TensorListMetadataILi2EEENS1_21BinaryOpScalarFunctorIfLi2ELi1ELi1EEEJSt4plusIfEfEEEvT_T0_DpT1_.uses_flat_scratch, 0
	.set _ZN2at6native12_GLOBAL__N_125multi_tensor_apply_kernelINS1_18TensorListMetadataILi2EEENS1_21BinaryOpScalarFunctorIfLi2ELi1ELi1EEEJSt4plusIfEfEEEvT_T0_DpT1_.has_dyn_sized_stack, 0
	.set _ZN2at6native12_GLOBAL__N_125multi_tensor_apply_kernelINS1_18TensorListMetadataILi2EEENS1_21BinaryOpScalarFunctorIfLi2ELi1ELi1EEEJSt4plusIfEfEEEvT_T0_DpT1_.has_recursion, 0
	.set _ZN2at6native12_GLOBAL__N_125multi_tensor_apply_kernelINS1_18TensorListMetadataILi2EEENS1_21BinaryOpScalarFunctorIfLi2ELi1ELi1EEEJSt4plusIfEfEEEvT_T0_DpT1_.has_indirect_call, 0
	.section	.AMDGPU.csdata,"",@progbits
; Kernel info:
; codeLenInByte = 1112
; TotalNumSgprs: 32
; NumVgprs: 32
; NumAgprs: 0
; TotalNumVgprs: 32
; ScratchSize: 0
; MemoryBound: 0
; FloatMode: 240
; IeeeMode: 1
; LDSByteSize: 0 bytes/workgroup (compile time only)
; SGPRBlocks: 3
; VGPRBlocks: 3
; NumSGPRsForWavesPerEU: 32
; NumVGPRsForWavesPerEU: 32
; AccumOffset: 32
; Occupancy: 8
; WaveLimiterHint : 0
; COMPUTE_PGM_RSRC2:SCRATCH_EN: 0
; COMPUTE_PGM_RSRC2:USER_SGPR: 2
; COMPUTE_PGM_RSRC2:TRAP_HANDLER: 0
; COMPUTE_PGM_RSRC2:TGID_X_EN: 1
; COMPUTE_PGM_RSRC2:TGID_Y_EN: 0
; COMPUTE_PGM_RSRC2:TGID_Z_EN: 0
; COMPUTE_PGM_RSRC2:TIDIG_COMP_CNT: 0
; COMPUTE_PGM_RSRC3_GFX90A:ACCUM_OFFSET: 7
; COMPUTE_PGM_RSRC3_GFX90A:TG_SPLIT: 0
	.section	.text._ZN2at6native12_GLOBAL__N_125multi_tensor_apply_kernelINS1_18TensorListMetadataILi2EEENS1_21BinaryOpScalarFunctorIN3c107complexIdEELi2ELi1ELi1EEEJSt4plusIS8_ES8_EEEvT_T0_DpT1_,"axG",@progbits,_ZN2at6native12_GLOBAL__N_125multi_tensor_apply_kernelINS1_18TensorListMetadataILi2EEENS1_21BinaryOpScalarFunctorIN3c107complexIdEELi2ELi1ELi1EEEJSt4plusIS8_ES8_EEEvT_T0_DpT1_,comdat
	.globl	_ZN2at6native12_GLOBAL__N_125multi_tensor_apply_kernelINS1_18TensorListMetadataILi2EEENS1_21BinaryOpScalarFunctorIN3c107complexIdEELi2ELi1ELi1EEEJSt4plusIS8_ES8_EEEvT_T0_DpT1_ ; -- Begin function _ZN2at6native12_GLOBAL__N_125multi_tensor_apply_kernelINS1_18TensorListMetadataILi2EEENS1_21BinaryOpScalarFunctorIN3c107complexIdEELi2ELi1ELi1EEEJSt4plusIS8_ES8_EEEvT_T0_DpT1_
	.p2align	8
	.type	_ZN2at6native12_GLOBAL__N_125multi_tensor_apply_kernelINS1_18TensorListMetadataILi2EEENS1_21BinaryOpScalarFunctorIN3c107complexIdEELi2ELi1ELi1EEEJSt4plusIS8_ES8_EEEvT_T0_DpT1_,@function
_ZN2at6native12_GLOBAL__N_125multi_tensor_apply_kernelINS1_18TensorListMetadataILi2EEENS1_21BinaryOpScalarFunctorIN3c107complexIdEELi2ELi1ELi1EEEJSt4plusIS8_ES8_EEEvT_T0_DpT1_: ; @_ZN2at6native12_GLOBAL__N_125multi_tensor_apply_kernelINS1_18TensorListMetadataILi2EEENS1_21BinaryOpScalarFunctorIN3c107complexIdEELi2ELi1ELi1EEEJSt4plusIS8_ES8_EEEvT_T0_DpT1_
; %bb.0:
	v_mov_b32_e32 v1, s2
	global_load_ubyte v1, v1, s[0:1] offset:1536
	s_add_u32 s4, s0, s2
	s_mul_hi_u32 s5, s2, 3
	s_mul_i32 s2, s2, 3
	s_addc_u32 s6, s1, 0
	s_add_u32 s4, s4, s2
	s_addc_u32 s5, s6, s5
	s_load_dwordx4 s[8:11], s[0:1], 0xc50
	s_load_dword s6, s[4:5], 0x740
	s_mov_b32 s3, 0
	s_mov_b32 s5, s3
	s_waitcnt lgkmcnt(0)
	s_ashr_i32 s7, s6, 31
	s_lshl_b64 s[16:17], s[6:7], 20
	s_waitcnt vmcnt(0)
	v_readfirstlane_b32 s2, v1
	s_lshl_b32 s2, s2, 3
	s_load_dwordx2 s[12:13], s[0:1], s2 offset:0x0
	s_load_dwordx2 s[18:19], s[0:1], s2 offset:0x400
	;; [unrolled: 1-line block ×3, first 2 shown]
	s_waitcnt lgkmcnt(0)
	s_add_u32 s12, s12, s16
	s_addc_u32 s13, s13, s17
	s_and_b32 s2, s12, 63
	s_add_u32 s14, s14, s16
	s_addc_u32 s15, s15, s17
	s_and_b32 s4, s14, 63
	s_lshl_b64 s[6:7], s[6:7], 16
	s_sub_u32 s16, s18, s6
	s_subb_u32 s17, s19, s7
	s_and_b32 s6, s18, 3
	s_mov_b32 s7, s3
	s_or_b64 s[4:5], s[4:5], s[6:7]
	s_or_b64 s[2:3], s[4:5], s[2:3]
	s_cmp_eq_u64 s[2:3], 0
	s_mov_b64 s[2:3], -1
	s_cbranch_scc1 .LBB19_21
; %bb.1:
	v_cmp_lt_i64_e64 s[2:3], s[16:17], 1
	s_and_b64 vcc, exec, s[2:3]
	s_cbranch_vccnz .LBB19_20
; %bb.2:
	s_load_dword s4, s[0:1], 0xc6c
	v_mov_b64_e32 v[2:3], 0x10000
	v_cmp_lt_i64_e32 vcc, s[16:17], v[2:3]
	s_and_b64 s[2:3], vcc, exec
	s_cselect_b32 s21, s17, 0
	s_cselect_b32 s20, s16, 0x10000
	s_waitcnt lgkmcnt(0)
	s_and_b32 s18, s4, 0xffff
	v_cmp_lt_u64_e32 vcc, s[16:17], v[2:3]
	s_mov_b32 s19, 0
	s_and_b64 s[2:3], vcc, exec
	v_mov_b32_e32 v1, 0
	s_cselect_b32 s23, s17, 0
	s_cselect_b32 s22, s16, 0x10000
	s_lshl_b32 s24, s18, 1
	s_mov_b32 s25, s19
	s_mul_i32 s26, s18, 3
	s_mov_b32 s27, s19
	s_lshl_b32 s33, s18, 2
	s_mov_b64 s[28:29], 0
	s_branch .LBB19_4
.LBB19_3:                               ;   in Loop: Header=BB19_4 Depth=1
	s_or_b64 exec, exec, s[2:3]
	s_add_u32 s28, s28, s33
	s_addc_u32 s29, s29, 0
	s_waitcnt vmcnt(0)
	v_mov_b64_e32 v[2:3], s[20:21]
	v_cmp_lt_i64_e32 vcc, s[28:29], v[2:3]
	s_cbranch_vccz .LBB19_20
.LBB19_4:                               ; =>This Inner Loop Header: Depth=1
	v_lshl_add_u64 v[18:19], s[28:29], 0, v[0:1]
	v_cmp_gt_u64_e32 vcc, s[22:23], v[18:19]
	v_mov_b64_e32 v[4:5], 0
	v_mov_b64_e32 v[8:9], 0
	;; [unrolled: 1-line block ×3, first 2 shown]
	s_and_saveexec_b64 s[2:3], vcc
	s_cbranch_execz .LBB19_6
; %bb.5:                                ;   in Loop: Header=BB19_4 Depth=1
	v_lshl_add_u64 v[2:3], v[18:19], 4, s[12:13]
	global_load_dwordx4 v[6:9], v[2:3], off
.LBB19_6:                               ;   in Loop: Header=BB19_4 Depth=1
	s_or_b64 exec, exec, s[2:3]
	v_lshl_add_u64 v[20:21], v[18:19], 0, s[18:19]
	v_cmp_gt_u64_e64 s[2:3], s[22:23], v[20:21]
	v_mov_b64_e32 v[2:3], 0
	s_and_saveexec_b64 s[4:5], s[2:3]
	s_cbranch_execz .LBB19_8
; %bb.7:                                ;   in Loop: Header=BB19_4 Depth=1
	v_lshl_add_u64 v[2:3], v[20:21], 4, s[12:13]
	global_load_dwordx4 v[2:5], v[2:3], off
.LBB19_8:                               ;   in Loop: Header=BB19_4 Depth=1
	s_or_b64 exec, exec, s[4:5]
	v_lshl_add_u64 v[22:23], v[18:19], 0, s[24:25]
	v_cmp_gt_u64_e64 s[4:5], s[22:23], v[22:23]
	v_mov_b64_e32 v[12:13], 0
	v_mov_b64_e32 v[16:17], 0
	;; [unrolled: 1-line block ×3, first 2 shown]
	s_and_saveexec_b64 s[6:7], s[4:5]
	s_cbranch_execz .LBB19_10
; %bb.9:                                ;   in Loop: Header=BB19_4 Depth=1
	v_lshl_add_u64 v[10:11], v[22:23], 4, s[12:13]
	global_load_dwordx4 v[14:17], v[10:11], off
.LBB19_10:                              ;   in Loop: Header=BB19_4 Depth=1
	s_or_b64 exec, exec, s[6:7]
	v_lshl_add_u64 v[24:25], v[18:19], 0, s[26:27]
	v_cmp_gt_u64_e64 s[6:7], s[22:23], v[24:25]
	v_mov_b64_e32 v[10:11], 0
	s_and_saveexec_b64 s[30:31], s[6:7]
	s_cbranch_execnz .LBB19_15
; %bb.11:                               ;   in Loop: Header=BB19_4 Depth=1
	s_or_b64 exec, exec, s[30:31]
	s_and_saveexec_b64 s[30:31], vcc
	s_cbranch_execnz .LBB19_16
.LBB19_12:                              ;   in Loop: Header=BB19_4 Depth=1
	s_or_b64 exec, exec, s[30:31]
	s_and_saveexec_b64 s[30:31], s[2:3]
	s_cbranch_execnz .LBB19_17
.LBB19_13:                              ;   in Loop: Header=BB19_4 Depth=1
	s_or_b64 exec, exec, s[30:31]
	s_and_saveexec_b64 s[2:3], s[4:5]
	s_cbranch_execnz .LBB19_18
.LBB19_14:                              ;   in Loop: Header=BB19_4 Depth=1
	s_or_b64 exec, exec, s[2:3]
	s_and_saveexec_b64 s[2:3], s[6:7]
	s_cbranch_execz .LBB19_3
	s_branch .LBB19_19
.LBB19_15:                              ;   in Loop: Header=BB19_4 Depth=1
	v_lshl_add_u64 v[10:11], v[24:25], 4, s[12:13]
	global_load_dwordx4 v[10:13], v[10:11], off
	s_or_b64 exec, exec, s[30:31]
	s_and_saveexec_b64 s[30:31], vcc
	s_cbranch_execz .LBB19_12
.LBB19_16:                              ;   in Loop: Header=BB19_4 Depth=1
	v_lshl_add_u64 v[18:19], v[18:19], 4, s[14:15]
	s_waitcnt vmcnt(0)
	v_add_f64 v[6:7], s[8:9], v[6:7]
	v_add_f64 v[8:9], s[10:11], v[8:9]
	global_store_dwordx4 v[18:19], v[6:9], off
	s_or_b64 exec, exec, s[30:31]
	s_and_saveexec_b64 s[30:31], s[2:3]
	s_cbranch_execz .LBB19_13
.LBB19_17:                              ;   in Loop: Header=BB19_4 Depth=1
	s_waitcnt vmcnt(0)
	v_add_f64 v[2:3], s[8:9], v[2:3]
	v_add_f64 v[4:5], s[10:11], v[4:5]
	v_lshl_add_u64 v[6:7], v[20:21], 4, s[14:15]
	global_store_dwordx4 v[6:7], v[2:5], off
	s_or_b64 exec, exec, s[30:31]
	s_and_saveexec_b64 s[2:3], s[4:5]
	s_cbranch_execz .LBB19_14
.LBB19_18:                              ;   in Loop: Header=BB19_4 Depth=1
	s_waitcnt vmcnt(0)
	v_add_f64 v[2:3], s[8:9], v[14:15]
	v_add_f64 v[4:5], s[10:11], v[16:17]
	v_lshl_add_u64 v[6:7], v[22:23], 4, s[14:15]
	global_store_dwordx4 v[6:7], v[2:5], off
	s_or_b64 exec, exec, s[2:3]
	s_and_saveexec_b64 s[2:3], s[6:7]
	s_cbranch_execz .LBB19_3
.LBB19_19:                              ;   in Loop: Header=BB19_4 Depth=1
	s_waitcnt vmcnt(0)
	v_add_f64 v[2:3], s[8:9], v[10:11]
	v_add_f64 v[4:5], s[10:11], v[12:13]
	v_lshl_add_u64 v[6:7], v[24:25], 4, s[14:15]
	global_store_dwordx4 v[6:7], v[2:5], off
	s_branch .LBB19_3
.LBB19_20:
	s_mov_b64 s[2:3], 0
.LBB19_21:
	s_andn2_b64 vcc, exec, s[2:3]
	s_cbranch_vccnz .LBB19_25
; %bb.22:
	v_mov_b64_e32 v[4:5], 0x10000
	v_cmp_lt_i64_e32 vcc, s[16:17], v[4:5]
	s_and_b64 s[4:5], vcc, exec
	v_mov_b32_e32 v3, 0
	s_cselect_b32 s5, s17, 0
	s_cselect_b32 s4, s16, 0x10000
	v_lshlrev_b32_e32 v2, 2, v0
	s_mov_b32 s3, 0
	v_cmp_gt_i64_e32 vcc, s[4:5], v[2:3]
	s_and_saveexec_b64 s[6:7], vcc
	s_cbranch_execz .LBB19_25
; %bb.23:
	s_load_dword s0, s[0:1], 0xc6c
	v_mov_b32_e32 v1, v3
	v_lshlrev_b32_e32 v2, 6, v0
	s_waitcnt lgkmcnt(0)
	s_and_b32 s2, s0, 0xffff
	s_lshl_b32 s6, s2, 6
	s_mov_b64 s[0:1], 0
.LBB19_24:                              ; =>This Inner Loop Header: Depth=1
	v_lshl_add_u64 v[20:21], s[12:13], 0, v[2:3]
	global_load_dwordx4 v[4:7], v[20:21], off
	global_load_dwordx4 v[8:11], v[20:21], off offset:16
	global_load_dwordx4 v[12:15], v[20:21], off offset:32
	;; [unrolled: 1-line block ×3, first 2 shown]
	v_lshl_add_u64 v[20:21], s[14:15], 0, v[2:3]
	s_add_u32 s14, s14, s6
	v_lshl_add_u64 v[0:1], v[0:1], 0, s[2:3]
	s_addc_u32 s15, s15, 0
	v_lshlrev_b64 v[22:23], 2, v[0:1]
	s_add_u32 s12, s12, s6
	v_cmp_le_i64_e32 vcc, s[4:5], v[22:23]
	s_addc_u32 s13, s13, 0
	s_or_b64 s[0:1], vcc, s[0:1]
	s_waitcnt vmcnt(3)
	v_add_f64 v[4:5], s[8:9], v[4:5]
	v_add_f64 v[6:7], s[10:11], v[6:7]
	s_waitcnt vmcnt(2)
	v_add_f64 v[8:9], s[8:9], v[8:9]
	v_add_f64 v[10:11], s[10:11], v[10:11]
	;; [unrolled: 3-line block ×4, first 2 shown]
	global_store_dwordx4 v[20:21], v[4:7], off
	global_store_dwordx4 v[20:21], v[8:11], off offset:16
	global_store_dwordx4 v[20:21], v[12:15], off offset:32
	;; [unrolled: 1-line block ×3, first 2 shown]
	s_andn2_b64 exec, exec, s[0:1]
	s_cbranch_execnz .LBB19_24
.LBB19_25:
	s_endpgm
	.section	.rodata,"a",@progbits
	.p2align	6, 0x0
	.amdhsa_kernel _ZN2at6native12_GLOBAL__N_125multi_tensor_apply_kernelINS1_18TensorListMetadataILi2EEENS1_21BinaryOpScalarFunctorIN3c107complexIdEELi2ELi1ELi1EEEJSt4plusIS8_ES8_EEEvT_T0_DpT1_
		.amdhsa_group_segment_fixed_size 0
		.amdhsa_private_segment_fixed_size 0
		.amdhsa_kernarg_size 3424
		.amdhsa_user_sgpr_count 2
		.amdhsa_user_sgpr_dispatch_ptr 0
		.amdhsa_user_sgpr_queue_ptr 0
		.amdhsa_user_sgpr_kernarg_segment_ptr 1
		.amdhsa_user_sgpr_dispatch_id 0
		.amdhsa_user_sgpr_kernarg_preload_length 0
		.amdhsa_user_sgpr_kernarg_preload_offset 0
		.amdhsa_user_sgpr_private_segment_size 0
		.amdhsa_uses_dynamic_stack 0
		.amdhsa_enable_private_segment 0
		.amdhsa_system_sgpr_workgroup_id_x 1
		.amdhsa_system_sgpr_workgroup_id_y 0
		.amdhsa_system_sgpr_workgroup_id_z 0
		.amdhsa_system_sgpr_workgroup_info 0
		.amdhsa_system_vgpr_workitem_id 0
		.amdhsa_next_free_vgpr 26
		.amdhsa_next_free_sgpr 34
		.amdhsa_accum_offset 28
		.amdhsa_reserve_vcc 1
		.amdhsa_float_round_mode_32 0
		.amdhsa_float_round_mode_16_64 0
		.amdhsa_float_denorm_mode_32 3
		.amdhsa_float_denorm_mode_16_64 3
		.amdhsa_dx10_clamp 1
		.amdhsa_ieee_mode 1
		.amdhsa_fp16_overflow 0
		.amdhsa_tg_split 0
		.amdhsa_exception_fp_ieee_invalid_op 0
		.amdhsa_exception_fp_denorm_src 0
		.amdhsa_exception_fp_ieee_div_zero 0
		.amdhsa_exception_fp_ieee_overflow 0
		.amdhsa_exception_fp_ieee_underflow 0
		.amdhsa_exception_fp_ieee_inexact 0
		.amdhsa_exception_int_div_zero 0
	.end_amdhsa_kernel
	.section	.text._ZN2at6native12_GLOBAL__N_125multi_tensor_apply_kernelINS1_18TensorListMetadataILi2EEENS1_21BinaryOpScalarFunctorIN3c107complexIdEELi2ELi1ELi1EEEJSt4plusIS8_ES8_EEEvT_T0_DpT1_,"axG",@progbits,_ZN2at6native12_GLOBAL__N_125multi_tensor_apply_kernelINS1_18TensorListMetadataILi2EEENS1_21BinaryOpScalarFunctorIN3c107complexIdEELi2ELi1ELi1EEEJSt4plusIS8_ES8_EEEvT_T0_DpT1_,comdat
.Lfunc_end19:
	.size	_ZN2at6native12_GLOBAL__N_125multi_tensor_apply_kernelINS1_18TensorListMetadataILi2EEENS1_21BinaryOpScalarFunctorIN3c107complexIdEELi2ELi1ELi1EEEJSt4plusIS8_ES8_EEEvT_T0_DpT1_, .Lfunc_end19-_ZN2at6native12_GLOBAL__N_125multi_tensor_apply_kernelINS1_18TensorListMetadataILi2EEENS1_21BinaryOpScalarFunctorIN3c107complexIdEELi2ELi1ELi1EEEJSt4plusIS8_ES8_EEEvT_T0_DpT1_
                                        ; -- End function
	.set _ZN2at6native12_GLOBAL__N_125multi_tensor_apply_kernelINS1_18TensorListMetadataILi2EEENS1_21BinaryOpScalarFunctorIN3c107complexIdEELi2ELi1ELi1EEEJSt4plusIS8_ES8_EEEvT_T0_DpT1_.num_vgpr, 26
	.set _ZN2at6native12_GLOBAL__N_125multi_tensor_apply_kernelINS1_18TensorListMetadataILi2EEENS1_21BinaryOpScalarFunctorIN3c107complexIdEELi2ELi1ELi1EEEJSt4plusIS8_ES8_EEEvT_T0_DpT1_.num_agpr, 0
	.set _ZN2at6native12_GLOBAL__N_125multi_tensor_apply_kernelINS1_18TensorListMetadataILi2EEENS1_21BinaryOpScalarFunctorIN3c107complexIdEELi2ELi1ELi1EEEJSt4plusIS8_ES8_EEEvT_T0_DpT1_.numbered_sgpr, 34
	.set _ZN2at6native12_GLOBAL__N_125multi_tensor_apply_kernelINS1_18TensorListMetadataILi2EEENS1_21BinaryOpScalarFunctorIN3c107complexIdEELi2ELi1ELi1EEEJSt4plusIS8_ES8_EEEvT_T0_DpT1_.num_named_barrier, 0
	.set _ZN2at6native12_GLOBAL__N_125multi_tensor_apply_kernelINS1_18TensorListMetadataILi2EEENS1_21BinaryOpScalarFunctorIN3c107complexIdEELi2ELi1ELi1EEEJSt4plusIS8_ES8_EEEvT_T0_DpT1_.private_seg_size, 0
	.set _ZN2at6native12_GLOBAL__N_125multi_tensor_apply_kernelINS1_18TensorListMetadataILi2EEENS1_21BinaryOpScalarFunctorIN3c107complexIdEELi2ELi1ELi1EEEJSt4plusIS8_ES8_EEEvT_T0_DpT1_.uses_vcc, 1
	.set _ZN2at6native12_GLOBAL__N_125multi_tensor_apply_kernelINS1_18TensorListMetadataILi2EEENS1_21BinaryOpScalarFunctorIN3c107complexIdEELi2ELi1ELi1EEEJSt4plusIS8_ES8_EEEvT_T0_DpT1_.uses_flat_scratch, 0
	.set _ZN2at6native12_GLOBAL__N_125multi_tensor_apply_kernelINS1_18TensorListMetadataILi2EEENS1_21BinaryOpScalarFunctorIN3c107complexIdEELi2ELi1ELi1EEEJSt4plusIS8_ES8_EEEvT_T0_DpT1_.has_dyn_sized_stack, 0
	.set _ZN2at6native12_GLOBAL__N_125multi_tensor_apply_kernelINS1_18TensorListMetadataILi2EEENS1_21BinaryOpScalarFunctorIN3c107complexIdEELi2ELi1ELi1EEEJSt4plusIS8_ES8_EEEvT_T0_DpT1_.has_recursion, 0
	.set _ZN2at6native12_GLOBAL__N_125multi_tensor_apply_kernelINS1_18TensorListMetadataILi2EEENS1_21BinaryOpScalarFunctorIN3c107complexIdEELi2ELi1ELi1EEEJSt4plusIS8_ES8_EEEvT_T0_DpT1_.has_indirect_call, 0
	.section	.AMDGPU.csdata,"",@progbits
; Kernel info:
; codeLenInByte = 1084
; TotalNumSgprs: 40
; NumVgprs: 26
; NumAgprs: 0
; TotalNumVgprs: 26
; ScratchSize: 0
; MemoryBound: 1
; FloatMode: 240
; IeeeMode: 1
; LDSByteSize: 0 bytes/workgroup (compile time only)
; SGPRBlocks: 4
; VGPRBlocks: 3
; NumSGPRsForWavesPerEU: 40
; NumVGPRsForWavesPerEU: 26
; AccumOffset: 28
; Occupancy: 8
; WaveLimiterHint : 0
; COMPUTE_PGM_RSRC2:SCRATCH_EN: 0
; COMPUTE_PGM_RSRC2:USER_SGPR: 2
; COMPUTE_PGM_RSRC2:TRAP_HANDLER: 0
; COMPUTE_PGM_RSRC2:TGID_X_EN: 1
; COMPUTE_PGM_RSRC2:TGID_Y_EN: 0
; COMPUTE_PGM_RSRC2:TGID_Z_EN: 0
; COMPUTE_PGM_RSRC2:TIDIG_COMP_CNT: 0
; COMPUTE_PGM_RSRC3_GFX90A:ACCUM_OFFSET: 6
; COMPUTE_PGM_RSRC3_GFX90A:TG_SPLIT: 0
	.section	.text._ZN2at6native12_GLOBAL__N_125multi_tensor_apply_kernelINS1_18TensorListMetadataILi2EEENS1_21BinaryOpScalarFunctorIN3c107complexIfEELi2ELi1ELi1EEEJSt4plusIS8_ES8_EEEvT_T0_DpT1_,"axG",@progbits,_ZN2at6native12_GLOBAL__N_125multi_tensor_apply_kernelINS1_18TensorListMetadataILi2EEENS1_21BinaryOpScalarFunctorIN3c107complexIfEELi2ELi1ELi1EEEJSt4plusIS8_ES8_EEEvT_T0_DpT1_,comdat
	.globl	_ZN2at6native12_GLOBAL__N_125multi_tensor_apply_kernelINS1_18TensorListMetadataILi2EEENS1_21BinaryOpScalarFunctorIN3c107complexIfEELi2ELi1ELi1EEEJSt4plusIS8_ES8_EEEvT_T0_DpT1_ ; -- Begin function _ZN2at6native12_GLOBAL__N_125multi_tensor_apply_kernelINS1_18TensorListMetadataILi2EEENS1_21BinaryOpScalarFunctorIN3c107complexIfEELi2ELi1ELi1EEEJSt4plusIS8_ES8_EEEvT_T0_DpT1_
	.p2align	8
	.type	_ZN2at6native12_GLOBAL__N_125multi_tensor_apply_kernelINS1_18TensorListMetadataILi2EEENS1_21BinaryOpScalarFunctorIN3c107complexIfEELi2ELi1ELi1EEEJSt4plusIS8_ES8_EEEvT_T0_DpT1_,@function
_ZN2at6native12_GLOBAL__N_125multi_tensor_apply_kernelINS1_18TensorListMetadataILi2EEENS1_21BinaryOpScalarFunctorIN3c107complexIfEELi2ELi1ELi1EEEJSt4plusIS8_ES8_EEEvT_T0_DpT1_: ; @_ZN2at6native12_GLOBAL__N_125multi_tensor_apply_kernelINS1_18TensorListMetadataILi2EEENS1_21BinaryOpScalarFunctorIN3c107complexIfEELi2ELi1ELi1EEEJSt4plusIS8_ES8_EEEvT_T0_DpT1_
; %bb.0:
	v_mov_b32_e32 v1, s2
	global_load_ubyte v1, v1, s[0:1] offset:1536
	s_add_u32 s3, s0, s2
	s_mul_hi_u32 s4, s2, 3
	s_mul_i32 s2, s2, 3
	s_addc_u32 s5, s1, 0
	s_add_u32 s2, s3, s2
	s_addc_u32 s3, s5, s4
	s_load_dword s6, s[2:3], 0x740
	s_mov_b32 s19, 0
	s_mov_b32 s21, s19
	s_waitcnt lgkmcnt(0)
	s_ashr_i32 s7, s6, 31
	s_lshl_b64 s[16:17], s[6:7], 19
	s_waitcnt vmcnt(0)
	v_readfirstlane_b32 s2, v1
	s_lshl_b32 s10, s2, 3
	s_load_dwordx2 s[2:3], s[0:1], s10 offset:0x0
	s_load_dwordx2 s[8:9], s[0:1], 0xc50
	s_load_dwordx2 s[22:23], s[0:1], s10 offset:0x400
	s_load_dwordx2 s[4:5], s[0:1], s10 offset:0x200
	s_waitcnt lgkmcnt(0)
	s_add_u32 s10, s2, s16
	s_addc_u32 s11, s3, s17
	s_and_b32 s18, s10, 31
	s_add_u32 s12, s4, s16
	s_addc_u32 s13, s5, s17
	s_and_b32 s20, s12, 31
	s_lshl_b64 s[6:7], s[6:7], 16
	s_sub_u32 s14, s22, s6
	s_subb_u32 s15, s23, s7
	s_and_b32 s6, s22, 3
	s_mov_b32 s7, s19
	s_or_b64 s[6:7], s[20:21], s[6:7]
	s_or_b64 s[6:7], s[6:7], s[18:19]
	s_cmp_eq_u64 s[6:7], 0
	s_mov_b64 s[6:7], -1
	s_cbranch_scc1 .LBB20_19
; %bb.1:
	v_cmp_lt_i64_e64 s[6:7], s[14:15], 1
	s_and_b64 vcc, exec, s[6:7]
	s_cbranch_vccnz .LBB20_18
; %bb.2:
	s_load_dword s6, s[0:1], 0xc64
	v_mov_b64_e32 v[2:3], 0x10000
	v_cmp_lt_i64_e32 vcc, s[14:15], v[2:3]
	s_and_b64 s[20:21], vcc, exec
	s_mov_b32 s7, 0
	s_cselect_b32 s21, s15, 0
	s_cselect_b32 s20, s14, 0x10000
	s_waitcnt lgkmcnt(0)
	s_and_b32 s6, s6, 0xffff
	v_cmp_lt_u64_e32 vcc, s[14:15], v[2:3]
	v_mov_b32_e32 v1, 0
	s_and_b64 s[22:23], vcc, exec
	s_mul_i32 s28, s6, 3
	s_mov_b32 s29, s7
	s_cselect_b32 s23, s15, 0
	s_cselect_b32 s22, s14, 0x10000
	v_lshlrev_b32_e32 v12, 3, v0
	v_mov_b32_e32 v13, v1
	v_lshl_add_u64 v[10:11], s[28:29], 0, v[0:1]
	s_lshl_b32 s28, s6, 4
	v_lshl_add_u64 v[18:19], v[0:1], 0, s[6:7]
	s_mov_b64 s[18:19], src_private_base
	s_lshl_b32 s26, s6, 1
	s_mov_b32 s27, s7
	v_mad_u64_u32 v[8:9], s[30:31], s6, 24, v[12:13]
	v_lshl_add_u64 v[14:15], s[28:29], 0, v[12:13]
	v_lshlrev_b32_e32 v22, 3, v18
	v_mov_b32_e32 v23, v1
	s_lshl_b32 s18, s6, 2
	v_lshl_add_u64 v[2:3], s[2:3], 0, v[12:13]
	s_lshl_b32 s24, s6, 5
	s_mov_b32 s25, s7
	v_lshl_add_u64 v[4:5], s[4:5], 0, v[12:13]
	v_lshl_add_u64 v[6:7], s[2:3], 0, v[8:9]
	;; [unrolled: 1-line block ×8, first 2 shown]
	s_mov_b64 s[26:27], 0
	v_mov_b32_e32 v34, v1
	v_mov_b32_e32 v35, v1
	;; [unrolled: 1-line block ×3, first 2 shown]
	s_branch .LBB20_4
.LBB20_3:                               ;   in Loop: Header=BB20_4 Depth=1
	s_or_b64 exec, exec, s[2:3]
	s_add_u32 s26, s26, s18
	s_addc_u32 s27, s27, 0
	v_mov_b64_e32 v[24:25], s[20:21]
	v_cmp_ge_i64_e32 vcc, s[26:27], v[24:25]
	v_lshl_add_u64 v[2:3], v[2:3], 0, s[24:25]
	v_lshl_add_u64 v[4:5], v[4:5], 0, s[24:25]
	;; [unrolled: 1-line block ×8, first 2 shown]
	s_cbranch_vccnz .LBB20_18
.LBB20_4:                               ; =>This Inner Loop Header: Depth=1
	v_lshl_add_u64 v[24:25], v[0:1], 0, s[26:27]
	v_cmp_gt_u64_e32 vcc, s[22:23], v[24:25]
	v_mov_b32_e32 v24, 0
	v_mov_b32_e32 v25, 0
	s_and_saveexec_b64 s[2:3], vcc
	s_cbranch_execz .LBB20_6
; %bb.5:                                ;   in Loop: Header=BB20_4 Depth=1
	v_lshl_add_u64 v[24:25], v[2:3], 0, s[16:17]
	global_load_dwordx2 v[24:25], v[24:25], off
.LBB20_6:                               ;   in Loop: Header=BB20_4 Depth=1
	s_or_b64 exec, exec, s[2:3]
	v_lshl_add_u64 v[26:27], v[18:19], 0, s[26:27]
	v_cmp_gt_u64_e64 s[2:3], s[22:23], v[26:27]
	v_mov_b32_e32 v26, 0
	v_mov_b32_e32 v27, 0
	s_and_saveexec_b64 s[4:5], s[2:3]
	s_cbranch_execz .LBB20_8
; %bb.7:                                ;   in Loop: Header=BB20_4 Depth=1
	v_lshl_add_u64 v[26:27], v[20:21], 0, s[16:17]
	global_load_dwordx2 v[26:27], v[26:27], off
.LBB20_8:                               ;   in Loop: Header=BB20_4 Depth=1
	s_or_b64 exec, exec, s[4:5]
	v_lshl_add_u64 v[28:29], v[16:17], 0, s[26:27]
	v_cmp_gt_u64_e64 s[4:5], s[22:23], v[28:29]
	v_mov_b64_e32 v[28:29], 0
	s_and_saveexec_b64 s[6:7], s[4:5]
	s_cbranch_execz .LBB20_10
; %bb.9:                                ;   in Loop: Header=BB20_4 Depth=1
	v_lshl_add_u64 v[28:29], v[12:13], 0, s[16:17]
	global_load_dwordx2 v[28:29], v[28:29], off
.LBB20_10:                              ;   in Loop: Header=BB20_4 Depth=1
	s_or_b64 exec, exec, s[6:7]
	v_lshl_add_u64 v[30:31], v[10:11], 0, s[26:27]
	v_lshl_add_u64 v[36:37], v[6:7], 0, s[16:17]
	v_mov_b32_e32 v33, s19
	v_cmp_gt_u64_e64 s[6:7], s[22:23], v[30:31]
	scratch_store_dwordx2 off, v[34:35], off
	s_nop 0
	v_cndmask_b32_e64 v31, v33, v37, s[6:7]
	v_cndmask_b32_e64 v30, v32, v36, s[6:7]
	flat_load_dwordx2 v[30:31], v[30:31]
	s_waitcnt vmcnt(0) lgkmcnt(0)
	v_pk_add_f32 v[30:31], s[8:9], v[30:31]
	scratch_store_dwordx2 off, v[30:31], off
	s_and_saveexec_b64 s[28:29], vcc
	s_cbranch_execnz .LBB20_14
; %bb.11:                               ;   in Loop: Header=BB20_4 Depth=1
	s_or_b64 exec, exec, s[28:29]
	s_and_saveexec_b64 s[28:29], s[2:3]
	s_cbranch_execnz .LBB20_15
.LBB20_12:                              ;   in Loop: Header=BB20_4 Depth=1
	s_or_b64 exec, exec, s[28:29]
	s_and_saveexec_b64 s[2:3], s[4:5]
	s_cbranch_execnz .LBB20_16
.LBB20_13:                              ;   in Loop: Header=BB20_4 Depth=1
	s_or_b64 exec, exec, s[2:3]
	s_and_saveexec_b64 s[2:3], s[6:7]
	s_cbranch_execz .LBB20_3
	s_branch .LBB20_17
.LBB20_14:                              ;   in Loop: Header=BB20_4 Depth=1
	v_lshl_add_u64 v[36:37], v[4:5], 0, s[16:17]
	v_pk_add_f32 v[24:25], v[24:25], s[8:9]
	global_store_dwordx2 v[36:37], v[24:25], off
	s_or_b64 exec, exec, s[28:29]
	s_and_saveexec_b64 s[28:29], s[2:3]
	s_cbranch_execz .LBB20_12
.LBB20_15:                              ;   in Loop: Header=BB20_4 Depth=1
	v_pk_add_f32 v[24:25], v[26:27], s[8:9]
	v_lshl_add_u64 v[26:27], v[22:23], 0, s[16:17]
	global_store_dwordx2 v[26:27], v[24:25], off
	s_or_b64 exec, exec, s[28:29]
	s_and_saveexec_b64 s[2:3], s[4:5]
	s_cbranch_execz .LBB20_13
.LBB20_16:                              ;   in Loop: Header=BB20_4 Depth=1
	v_pk_add_f32 v[24:25], s[8:9], v[28:29]
	v_lshl_add_u64 v[26:27], v[14:15], 0, s[16:17]
	global_store_dwordx2 v[26:27], v[24:25], off
	s_or_b64 exec, exec, s[2:3]
	s_and_saveexec_b64 s[2:3], s[6:7]
	s_cbranch_execz .LBB20_3
.LBB20_17:                              ;   in Loop: Header=BB20_4 Depth=1
	v_lshl_add_u64 v[24:25], v[8:9], 0, s[16:17]
	global_store_dwordx2 v[24:25], v[30:31], off
	s_branch .LBB20_3
.LBB20_18:
	s_mov_b64 s[6:7], 0
.LBB20_19:
	s_andn2_b64 vcc, exec, s[6:7]
	s_cbranch_vccnz .LBB20_24
; %bb.20:
	v_mov_b64_e32 v[2:3], 0x10000
	v_cmp_lt_i64_e32 vcc, s[14:15], v[2:3]
	s_and_b64 s[4:5], vcc, exec
	v_mov_b32_e32 v7, 0
	s_cselect_b32 s5, s15, 0
	s_cselect_b32 s4, s14, 0x10000
	v_lshlrev_b32_e32 v6, 2, v0
	s_mov_b32 s3, 0
	v_cmp_gt_i64_e32 vcc, s[4:5], v[6:7]
	s_and_saveexec_b64 s[6:7], vcc
	s_cbranch_execz .LBB20_24
; %bb.21:
	s_load_dword s0, s[0:1], 0xc64
	v_mov_b32_e32 v1, v7
	v_lshlrev_b32_e32 v6, 5, v0
	s_waitcnt lgkmcnt(0)
	s_and_b32 s2, s0, 0xffff
	s_lshl_b32 s6, s2, 5
	s_mov_b64 s[0:1], 0
.LBB20_22:                              ; =>This Inner Loop Header: Depth=1
	v_lshl_add_u64 v[12:13], s[10:11], 0, v[6:7]
	global_load_dwordx4 v[2:5], v[12:13], off offset:16
	global_load_dwordx4 v[8:11], v[12:13], off
	v_lshl_add_u64 v[12:13], s[12:13], 0, v[6:7]
	s_add_u32 s12, s12, s6
	v_lshl_add_u64 v[0:1], v[0:1], 0, s[2:3]
	s_addc_u32 s13, s13, 0
	v_lshlrev_b64 v[14:15], 2, v[0:1]
	s_add_u32 s10, s10, s6
	v_cmp_le_i64_e32 vcc, s[4:5], v[14:15]
	s_addc_u32 s11, s11, 0
	s_or_b64 s[0:1], vcc, s[0:1]
	s_waitcnt vmcnt(1)
	v_pk_add_f32 v[4:5], s[8:9], v[4:5]
	s_waitcnt vmcnt(0)
	v_pk_add_f32 v[8:9], v[8:9], s[8:9]
	v_pk_add_f32 v[10:11], v[10:11], s[8:9]
	;; [unrolled: 1-line block ×3, first 2 shown]
	global_store_dwordx4 v[12:13], v[8:11], off
	global_store_dwordx4 v[12:13], v[2:5], off offset:16
	s_andn2_b64 exec, exec, s[0:1]
	s_cbranch_execnz .LBB20_22
; %bb.23:
	s_or_b64 exec, exec, s[0:1]
	scratch_store_dwordx2 off, v[4:5], off
.LBB20_24:
	s_endpgm
	.section	.rodata,"a",@progbits
	.p2align	6, 0x0
	.amdhsa_kernel _ZN2at6native12_GLOBAL__N_125multi_tensor_apply_kernelINS1_18TensorListMetadataILi2EEENS1_21BinaryOpScalarFunctorIN3c107complexIfEELi2ELi1ELi1EEEJSt4plusIS8_ES8_EEEvT_T0_DpT1_
		.amdhsa_group_segment_fixed_size 0
		.amdhsa_private_segment_fixed_size 16
		.amdhsa_kernarg_size 3416
		.amdhsa_user_sgpr_count 2
		.amdhsa_user_sgpr_dispatch_ptr 0
		.amdhsa_user_sgpr_queue_ptr 0
		.amdhsa_user_sgpr_kernarg_segment_ptr 1
		.amdhsa_user_sgpr_dispatch_id 0
		.amdhsa_user_sgpr_kernarg_preload_length 0
		.amdhsa_user_sgpr_kernarg_preload_offset 0
		.amdhsa_user_sgpr_private_segment_size 0
		.amdhsa_uses_dynamic_stack 0
		.amdhsa_enable_private_segment 1
		.amdhsa_system_sgpr_workgroup_id_x 1
		.amdhsa_system_sgpr_workgroup_id_y 0
		.amdhsa_system_sgpr_workgroup_id_z 0
		.amdhsa_system_sgpr_workgroup_info 0
		.amdhsa_system_vgpr_workitem_id 0
		.amdhsa_next_free_vgpr 38
		.amdhsa_next_free_sgpr 32
		.amdhsa_accum_offset 40
		.amdhsa_reserve_vcc 1
		.amdhsa_float_round_mode_32 0
		.amdhsa_float_round_mode_16_64 0
		.amdhsa_float_denorm_mode_32 3
		.amdhsa_float_denorm_mode_16_64 3
		.amdhsa_dx10_clamp 1
		.amdhsa_ieee_mode 1
		.amdhsa_fp16_overflow 0
		.amdhsa_tg_split 0
		.amdhsa_exception_fp_ieee_invalid_op 0
		.amdhsa_exception_fp_denorm_src 0
		.amdhsa_exception_fp_ieee_div_zero 0
		.amdhsa_exception_fp_ieee_overflow 0
		.amdhsa_exception_fp_ieee_underflow 0
		.amdhsa_exception_fp_ieee_inexact 0
		.amdhsa_exception_int_div_zero 0
	.end_amdhsa_kernel
	.section	.text._ZN2at6native12_GLOBAL__N_125multi_tensor_apply_kernelINS1_18TensorListMetadataILi2EEENS1_21BinaryOpScalarFunctorIN3c107complexIfEELi2ELi1ELi1EEEJSt4plusIS8_ES8_EEEvT_T0_DpT1_,"axG",@progbits,_ZN2at6native12_GLOBAL__N_125multi_tensor_apply_kernelINS1_18TensorListMetadataILi2EEENS1_21BinaryOpScalarFunctorIN3c107complexIfEELi2ELi1ELi1EEEJSt4plusIS8_ES8_EEEvT_T0_DpT1_,comdat
.Lfunc_end20:
	.size	_ZN2at6native12_GLOBAL__N_125multi_tensor_apply_kernelINS1_18TensorListMetadataILi2EEENS1_21BinaryOpScalarFunctorIN3c107complexIfEELi2ELi1ELi1EEEJSt4plusIS8_ES8_EEEvT_T0_DpT1_, .Lfunc_end20-_ZN2at6native12_GLOBAL__N_125multi_tensor_apply_kernelINS1_18TensorListMetadataILi2EEENS1_21BinaryOpScalarFunctorIN3c107complexIfEELi2ELi1ELi1EEEJSt4plusIS8_ES8_EEEvT_T0_DpT1_
                                        ; -- End function
	.set _ZN2at6native12_GLOBAL__N_125multi_tensor_apply_kernelINS1_18TensorListMetadataILi2EEENS1_21BinaryOpScalarFunctorIN3c107complexIfEELi2ELi1ELi1EEEJSt4plusIS8_ES8_EEEvT_T0_DpT1_.num_vgpr, 38
	.set _ZN2at6native12_GLOBAL__N_125multi_tensor_apply_kernelINS1_18TensorListMetadataILi2EEENS1_21BinaryOpScalarFunctorIN3c107complexIfEELi2ELi1ELi1EEEJSt4plusIS8_ES8_EEEvT_T0_DpT1_.num_agpr, 0
	.set _ZN2at6native12_GLOBAL__N_125multi_tensor_apply_kernelINS1_18TensorListMetadataILi2EEENS1_21BinaryOpScalarFunctorIN3c107complexIfEELi2ELi1ELi1EEEJSt4plusIS8_ES8_EEEvT_T0_DpT1_.numbered_sgpr, 32
	.set _ZN2at6native12_GLOBAL__N_125multi_tensor_apply_kernelINS1_18TensorListMetadataILi2EEENS1_21BinaryOpScalarFunctorIN3c107complexIfEELi2ELi1ELi1EEEJSt4plusIS8_ES8_EEEvT_T0_DpT1_.num_named_barrier, 0
	.set _ZN2at6native12_GLOBAL__N_125multi_tensor_apply_kernelINS1_18TensorListMetadataILi2EEENS1_21BinaryOpScalarFunctorIN3c107complexIfEELi2ELi1ELi1EEEJSt4plusIS8_ES8_EEEvT_T0_DpT1_.private_seg_size, 16
	.set _ZN2at6native12_GLOBAL__N_125multi_tensor_apply_kernelINS1_18TensorListMetadataILi2EEENS1_21BinaryOpScalarFunctorIN3c107complexIfEELi2ELi1ELi1EEEJSt4plusIS8_ES8_EEEvT_T0_DpT1_.uses_vcc, 1
	.set _ZN2at6native12_GLOBAL__N_125multi_tensor_apply_kernelINS1_18TensorListMetadataILi2EEENS1_21BinaryOpScalarFunctorIN3c107complexIfEELi2ELi1ELi1EEEJSt4plusIS8_ES8_EEEvT_T0_DpT1_.uses_flat_scratch, 0
	.set _ZN2at6native12_GLOBAL__N_125multi_tensor_apply_kernelINS1_18TensorListMetadataILi2EEENS1_21BinaryOpScalarFunctorIN3c107complexIfEELi2ELi1ELi1EEEJSt4plusIS8_ES8_EEEvT_T0_DpT1_.has_dyn_sized_stack, 0
	.set _ZN2at6native12_GLOBAL__N_125multi_tensor_apply_kernelINS1_18TensorListMetadataILi2EEENS1_21BinaryOpScalarFunctorIN3c107complexIfEELi2ELi1ELi1EEEJSt4plusIS8_ES8_EEEvT_T0_DpT1_.has_recursion, 0
	.set _ZN2at6native12_GLOBAL__N_125multi_tensor_apply_kernelINS1_18TensorListMetadataILi2EEENS1_21BinaryOpScalarFunctorIN3c107complexIfEELi2ELi1ELi1EEEJSt4plusIS8_ES8_EEEvT_T0_DpT1_.has_indirect_call, 0
	.section	.AMDGPU.csdata,"",@progbits
; Kernel info:
; codeLenInByte = 1192
; TotalNumSgprs: 38
; NumVgprs: 38
; NumAgprs: 0
; TotalNumVgprs: 38
; ScratchSize: 16
; MemoryBound: 0
; FloatMode: 240
; IeeeMode: 1
; LDSByteSize: 0 bytes/workgroup (compile time only)
; SGPRBlocks: 4
; VGPRBlocks: 4
; NumSGPRsForWavesPerEU: 38
; NumVGPRsForWavesPerEU: 38
; AccumOffset: 40
; Occupancy: 8
; WaveLimiterHint : 0
; COMPUTE_PGM_RSRC2:SCRATCH_EN: 1
; COMPUTE_PGM_RSRC2:USER_SGPR: 2
; COMPUTE_PGM_RSRC2:TRAP_HANDLER: 0
; COMPUTE_PGM_RSRC2:TGID_X_EN: 1
; COMPUTE_PGM_RSRC2:TGID_Y_EN: 0
; COMPUTE_PGM_RSRC2:TGID_Z_EN: 0
; COMPUTE_PGM_RSRC2:TIDIG_COMP_CNT: 0
; COMPUTE_PGM_RSRC3_GFX90A:ACCUM_OFFSET: 9
; COMPUTE_PGM_RSRC3_GFX90A:TG_SPLIT: 0
	.section	.text._ZN2at6native12_GLOBAL__N_125multi_tensor_apply_kernelINS1_18TensorListMetadataILi2EEENS1_21BinaryOpScalarFunctorIbLi2ELi1ELi1EEEJSt4plusIbEbEEEvT_T0_DpT1_,"axG",@progbits,_ZN2at6native12_GLOBAL__N_125multi_tensor_apply_kernelINS1_18TensorListMetadataILi2EEENS1_21BinaryOpScalarFunctorIbLi2ELi1ELi1EEEJSt4plusIbEbEEEvT_T0_DpT1_,comdat
	.globl	_ZN2at6native12_GLOBAL__N_125multi_tensor_apply_kernelINS1_18TensorListMetadataILi2EEENS1_21BinaryOpScalarFunctorIbLi2ELi1ELi1EEEJSt4plusIbEbEEEvT_T0_DpT1_ ; -- Begin function _ZN2at6native12_GLOBAL__N_125multi_tensor_apply_kernelINS1_18TensorListMetadataILi2EEENS1_21BinaryOpScalarFunctorIbLi2ELi1ELi1EEEJSt4plusIbEbEEEvT_T0_DpT1_
	.p2align	8
	.type	_ZN2at6native12_GLOBAL__N_125multi_tensor_apply_kernelINS1_18TensorListMetadataILi2EEENS1_21BinaryOpScalarFunctorIbLi2ELi1ELi1EEEJSt4plusIbEbEEEvT_T0_DpT1_,@function
_ZN2at6native12_GLOBAL__N_125multi_tensor_apply_kernelINS1_18TensorListMetadataILi2EEENS1_21BinaryOpScalarFunctorIbLi2ELi1ELi1EEEJSt4plusIbEbEEEvT_T0_DpT1_: ; @_ZN2at6native12_GLOBAL__N_125multi_tensor_apply_kernelINS1_18TensorListMetadataILi2EEENS1_21BinaryOpScalarFunctorIbLi2ELi1ELi1EEEJSt4plusIbEbEEEvT_T0_DpT1_
; %bb.0:
	v_mov_b32_e32 v1, s2
	global_load_ubyte v1, v1, s[0:1] offset:1536
	s_add_u32 s3, s0, s2
	s_mul_hi_u32 s4, s2, 3
	s_mul_i32 s2, s2, 3
	s_addc_u32 s5, s1, 0
	s_add_u32 s2, s3, s2
	s_addc_u32 s3, s5, s4
	s_load_dword s2, s[2:3], 0x740
	s_waitcnt lgkmcnt(0)
	s_ashr_i32 s3, s2, 31
	s_lshl_b64 s[12:13], s[2:3], 16
	s_waitcnt vmcnt(0)
	v_readfirstlane_b32 s4, v1
	s_lshl_b32 s6, s4, 3
	s_load_dwordx2 s[8:9], s[0:1], s6 offset:0x0
	s_load_dwordx2 s[4:5], s[0:1], s6 offset:0x400
	s_load_dword s2, s[0:1], 0xc48
	s_load_dwordx2 s[10:11], s[0:1], s6 offset:0x200
	s_waitcnt lgkmcnt(0)
	s_add_u32 s3, s8, s12
	s_sub_u32 s14, s4, s12
	s_subb_u32 s15, s5, s13
	s_bfe_u32 s22, s2, 0x10010
	s_or_b32 s2, s4, s10
	s_or_b32 s2, s2, s3
	s_and_b32 s2, s2, 3
	s_cmp_eq_u32 s2, 0
	s_mov_b64 s[2:3], -1
	s_cbranch_scc1 .LBB21_21
; %bb.1:
	v_cmp_lt_i64_e64 s[2:3], s[14:15], 1
	s_and_b64 vcc, exec, s[2:3]
	s_cbranch_vccnz .LBB21_20
; %bb.2:
	s_load_dword s2, s[0:1], 0xc5c
	v_mov_b64_e32 v[2:3], 0x10000
	v_cmp_lt_i64_e32 vcc, s[14:15], v[2:3]
	s_and_b64 s[4:5], vcc, exec
	s_cselect_b32 s5, s15, 0
	s_cselect_b32 s4, s14, 0x10000
	s_waitcnt lgkmcnt(0)
	s_and_b32 s2, s2, 0xffff
	v_cmp_lt_u64_e32 vcc, s[14:15], v[2:3]
	s_and_b64 s[6:7], vcc, exec
	s_cselect_b32 s17, s15, 0
	s_cselect_b32 s16, s14, 0x10000
	s_lshl_b32 s6, s2, 1
	s_mul_i32 s18, s2, 3
	s_lshl_b32 s23, s2, 2
	s_mov_b32 s3, 0
	s_add_u32 s20, s12, s18
	v_mov_b32_e32 v1, 0
	s_mov_b32 s19, s3
	s_addc_u32 s21, s13, 0
	v_lshl_add_u64 v[10:11], s[18:19], 0, v[0:1]
	s_add_u32 s18, s12, s6
	v_lshl_add_u64 v[18:19], s[12:13], 0, v[0:1]
	s_addc_u32 s19, s13, 0
	s_mov_b32 s7, s3
	v_lshl_add_u64 v[8:9], s[20:21], 0, v[0:1]
	v_lshl_add_u64 v[14:15], s[18:19], 0, v[0:1]
	;; [unrolled: 1-line block ×13, first 2 shown]
	s_mov_b64 s[18:19], 0
	v_mov_b64_e32 v[24:25], s[4:5]
	s_branch .LBB21_4
.LBB21_3:                               ;   in Loop: Header=BB21_4 Depth=1
	s_or_b64 exec, exec, s[2:3]
	s_add_u32 s18, s18, s23
	s_addc_u32 s19, s19, 0
	v_cmp_lt_i64_e32 vcc, s[18:19], v[24:25]
	s_cbranch_vccz .LBB21_20
.LBB21_4:                               ; =>This Inner Loop Header: Depth=1
	s_waitcnt vmcnt(0)
	v_lshl_add_u64 v[26:27], v[0:1], 0, s[18:19]
	v_cmp_gt_u64_e32 vcc, s[16:17], v[26:27]
	v_mov_b32_e32 v27, 0
	s_and_saveexec_b64 s[2:3], vcc
	s_cbranch_execz .LBB21_6
; %bb.5:                                ;   in Loop: Header=BB21_4 Depth=1
	v_lshl_add_u64 v[26:27], v[2:3], 0, s[18:19]
	global_load_ubyte v27, v[26:27], off
.LBB21_6:                               ;   in Loop: Header=BB21_4 Depth=1
	s_or_b64 exec, exec, s[2:3]
	v_lshl_add_u64 v[28:29], v[22:23], 0, s[18:19]
	v_cmp_gt_u64_e64 s[2:3], s[16:17], v[28:29]
	v_mov_b32_e32 v26, 0
	v_mov_b32_e32 v28, 0
	s_and_saveexec_b64 s[4:5], s[2:3]
	s_cbranch_execz .LBB21_8
; %bb.7:                                ;   in Loop: Header=BB21_4 Depth=1
	v_lshl_add_u64 v[28:29], v[18:19], 0, s[18:19]
	global_load_ubyte v28, v[28:29], off
.LBB21_8:                               ;   in Loop: Header=BB21_4 Depth=1
	s_or_b64 exec, exec, s[4:5]
	v_lshl_add_u64 v[30:31], v[16:17], 0, s[18:19]
	v_cmp_gt_u64_e64 s[4:5], s[16:17], v[30:31]
	s_and_saveexec_b64 s[6:7], s[4:5]
	s_cbranch_execz .LBB21_10
; %bb.9:                                ;   in Loop: Header=BB21_4 Depth=1
	v_lshl_add_u64 v[30:31], v[12:13], 0, s[18:19]
	global_load_ubyte v26, v[30:31], off
.LBB21_10:                              ;   in Loop: Header=BB21_4 Depth=1
	s_or_b64 exec, exec, s[6:7]
	v_lshl_add_u64 v[30:31], v[10:11], 0, s[18:19]
	v_cmp_gt_u64_e64 s[6:7], s[16:17], v[30:31]
	v_mov_b32_e32 v29, 0
	s_and_saveexec_b64 s[20:21], s[6:7]
	s_cbranch_execnz .LBB21_15
; %bb.11:                               ;   in Loop: Header=BB21_4 Depth=1
	s_or_b64 exec, exec, s[20:21]
	s_and_saveexec_b64 s[20:21], vcc
	s_cbranch_execnz .LBB21_16
.LBB21_12:                              ;   in Loop: Header=BB21_4 Depth=1
	s_or_b64 exec, exec, s[20:21]
	s_and_saveexec_b64 s[20:21], s[2:3]
	s_cbranch_execnz .LBB21_17
.LBB21_13:                              ;   in Loop: Header=BB21_4 Depth=1
	s_or_b64 exec, exec, s[20:21]
	s_and_saveexec_b64 s[2:3], s[4:5]
	s_cbranch_execnz .LBB21_18
.LBB21_14:                              ;   in Loop: Header=BB21_4 Depth=1
	s_or_b64 exec, exec, s[2:3]
	s_and_saveexec_b64 s[2:3], s[6:7]
	s_cbranch_execz .LBB21_3
	s_branch .LBB21_19
.LBB21_15:                              ;   in Loop: Header=BB21_4 Depth=1
	v_lshl_add_u64 v[30:31], v[6:7], 0, s[18:19]
	global_load_ubyte v29, v[30:31], off
	s_or_b64 exec, exec, s[20:21]
	s_and_saveexec_b64 s[20:21], vcc
	s_cbranch_execz .LBB21_12
.LBB21_16:                              ;   in Loop: Header=BB21_4 Depth=1
	s_waitcnt vmcnt(0)
	v_or_b32_e32 v27, s22, v27
	v_lshl_add_u64 v[30:31], v[4:5], 0, s[18:19]
	global_store_byte v[30:31], v27, off
	s_or_b64 exec, exec, s[20:21]
	s_and_saveexec_b64 s[20:21], s[2:3]
	s_cbranch_execz .LBB21_13
.LBB21_17:                              ;   in Loop: Header=BB21_4 Depth=1
	s_waitcnt vmcnt(0)
	v_or_b32_e32 v27, s22, v28
	v_lshl_add_u64 v[30:31], v[20:21], 0, s[18:19]
	global_store_byte v[30:31], v27, off
	s_or_b64 exec, exec, s[20:21]
	s_and_saveexec_b64 s[2:3], s[4:5]
	s_cbranch_execz .LBB21_14
.LBB21_18:                              ;   in Loop: Header=BB21_4 Depth=1
	s_waitcnt vmcnt(0)
	v_or_b32_e32 v28, s22, v26
	v_lshl_add_u64 v[26:27], v[14:15], 0, s[18:19]
	global_store_byte v[26:27], v28, off
	s_or_b64 exec, exec, s[2:3]
	s_and_saveexec_b64 s[2:3], s[6:7]
	s_cbranch_execz .LBB21_3
.LBB21_19:                              ;   in Loop: Header=BB21_4 Depth=1
	s_waitcnt vmcnt(0)
	v_or_b32_e32 v28, s22, v29
	v_lshl_add_u64 v[26:27], v[8:9], 0, s[18:19]
	global_store_byte v[26:27], v28, off
	s_branch .LBB21_3
.LBB21_20:
	s_mov_b64 s[2:3], 0
.LBB21_21:
	s_andn2_b64 vcc, exec, s[2:3]
	s_cbranch_vccnz .LBB21_25
; %bb.22:
	v_mov_b64_e32 v[4:5], 0x10000
	v_cmp_lt_i64_e32 vcc, s[14:15], v[4:5]
	s_and_b64 s[4:5], vcc, exec
	v_mov_b32_e32 v3, 0
	s_cselect_b32 s5, s15, 0
	s_cselect_b32 s4, s14, 0x10000
	v_lshlrev_b32_e32 v2, 2, v0
	s_mov_b32 s3, 0
	v_cmp_gt_i64_e32 vcc, s[4:5], v[2:3]
	s_and_saveexec_b64 s[6:7], vcc
	s_cbranch_execz .LBB21_25
; %bb.23:
	s_load_dword s0, s[0:1], 0xc5c
	v_mov_b32_e32 v1, v3
	v_lshl_add_u64 v[2:3], s[12:13], 0, v[2:3]
	s_mov_b32 s1, s3
	s_mov_b64 s[6:7], 0
	s_waitcnt lgkmcnt(0)
	s_and_b32 s2, s0, 0xffff
	s_lshl_b32 s0, s2, 2
	s_movk_i32 s12, 0xff
.LBB21_24:                              ; =>This Inner Loop Header: Depth=1
	v_lshl_add_u64 v[4:5], s[8:9], 0, v[2:3]
	global_load_dword v8, v[4:5], off
	v_lshl_add_u64 v[0:1], v[0:1], 0, s[2:3]
	v_lshlrev_b64 v[6:7], 2, v[0:1]
	v_cmp_le_i64_e32 vcc, s[4:5], v[6:7]
	v_lshl_add_u64 v[4:5], s[10:11], 0, v[2:3]
	v_lshl_add_u64 v[2:3], v[2:3], 0, s[0:1]
	s_or_b64 s[6:7], vcc, s[6:7]
	s_waitcnt vmcnt(0)
	v_or_b32_e32 v6, s22, v8
	v_lshrrev_b32_e32 v7, 8, v8
	v_or_b32_sdwa v9, v8, s22 dst_sel:DWORD dst_unused:UNUSED_PAD src0_sel:WORD_1 src1_sel:DWORD
	v_or_b32_sdwa v8, v8, s22 dst_sel:BYTE_1 dst_unused:UNUSED_PAD src0_sel:BYTE_3 src1_sel:DWORD
	v_or_b32_sdwa v7, v7, s22 dst_sel:BYTE_1 dst_unused:UNUSED_PAD src0_sel:DWORD src1_sel:DWORD
	v_bitop3_b16 v8, v9, v8, s12 bitop3:0xec
	v_bitop3_b16 v6, v6, v7, s12 bitop3:0xec
	v_lshlrev_b32_e32 v7, 16, v8
	v_or_b32_sdwa v6, v6, v7 dst_sel:DWORD dst_unused:UNUSED_PAD src0_sel:WORD_0 src1_sel:DWORD
	global_store_dword v[4:5], v6, off
	s_andn2_b64 exec, exec, s[6:7]
	s_cbranch_execnz .LBB21_24
.LBB21_25:
	s_endpgm
	.section	.rodata,"a",@progbits
	.p2align	6, 0x0
	.amdhsa_kernel _ZN2at6native12_GLOBAL__N_125multi_tensor_apply_kernelINS1_18TensorListMetadataILi2EEENS1_21BinaryOpScalarFunctorIbLi2ELi1ELi1EEEJSt4plusIbEbEEEvT_T0_DpT1_
		.amdhsa_group_segment_fixed_size 0
		.amdhsa_private_segment_fixed_size 0
		.amdhsa_kernarg_size 3408
		.amdhsa_user_sgpr_count 2
		.amdhsa_user_sgpr_dispatch_ptr 0
		.amdhsa_user_sgpr_queue_ptr 0
		.amdhsa_user_sgpr_kernarg_segment_ptr 1
		.amdhsa_user_sgpr_dispatch_id 0
		.amdhsa_user_sgpr_kernarg_preload_length 0
		.amdhsa_user_sgpr_kernarg_preload_offset 0
		.amdhsa_user_sgpr_private_segment_size 0
		.amdhsa_uses_dynamic_stack 0
		.amdhsa_enable_private_segment 0
		.amdhsa_system_sgpr_workgroup_id_x 1
		.amdhsa_system_sgpr_workgroup_id_y 0
		.amdhsa_system_sgpr_workgroup_id_z 0
		.amdhsa_system_sgpr_workgroup_info 0
		.amdhsa_system_vgpr_workitem_id 0
		.amdhsa_next_free_vgpr 32
		.amdhsa_next_free_sgpr 24
		.amdhsa_accum_offset 32
		.amdhsa_reserve_vcc 1
		.amdhsa_float_round_mode_32 0
		.amdhsa_float_round_mode_16_64 0
		.amdhsa_float_denorm_mode_32 3
		.amdhsa_float_denorm_mode_16_64 3
		.amdhsa_dx10_clamp 1
		.amdhsa_ieee_mode 1
		.amdhsa_fp16_overflow 0
		.amdhsa_tg_split 0
		.amdhsa_exception_fp_ieee_invalid_op 0
		.amdhsa_exception_fp_denorm_src 0
		.amdhsa_exception_fp_ieee_div_zero 0
		.amdhsa_exception_fp_ieee_overflow 0
		.amdhsa_exception_fp_ieee_underflow 0
		.amdhsa_exception_fp_ieee_inexact 0
		.amdhsa_exception_int_div_zero 0
	.end_amdhsa_kernel
	.section	.text._ZN2at6native12_GLOBAL__N_125multi_tensor_apply_kernelINS1_18TensorListMetadataILi2EEENS1_21BinaryOpScalarFunctorIbLi2ELi1ELi1EEEJSt4plusIbEbEEEvT_T0_DpT1_,"axG",@progbits,_ZN2at6native12_GLOBAL__N_125multi_tensor_apply_kernelINS1_18TensorListMetadataILi2EEENS1_21BinaryOpScalarFunctorIbLi2ELi1ELi1EEEJSt4plusIbEbEEEvT_T0_DpT1_,comdat
.Lfunc_end21:
	.size	_ZN2at6native12_GLOBAL__N_125multi_tensor_apply_kernelINS1_18TensorListMetadataILi2EEENS1_21BinaryOpScalarFunctorIbLi2ELi1ELi1EEEJSt4plusIbEbEEEvT_T0_DpT1_, .Lfunc_end21-_ZN2at6native12_GLOBAL__N_125multi_tensor_apply_kernelINS1_18TensorListMetadataILi2EEENS1_21BinaryOpScalarFunctorIbLi2ELi1ELi1EEEJSt4plusIbEbEEEvT_T0_DpT1_
                                        ; -- End function
	.set _ZN2at6native12_GLOBAL__N_125multi_tensor_apply_kernelINS1_18TensorListMetadataILi2EEENS1_21BinaryOpScalarFunctorIbLi2ELi1ELi1EEEJSt4plusIbEbEEEvT_T0_DpT1_.num_vgpr, 32
	.set _ZN2at6native12_GLOBAL__N_125multi_tensor_apply_kernelINS1_18TensorListMetadataILi2EEENS1_21BinaryOpScalarFunctorIbLi2ELi1ELi1EEEJSt4plusIbEbEEEvT_T0_DpT1_.num_agpr, 0
	.set _ZN2at6native12_GLOBAL__N_125multi_tensor_apply_kernelINS1_18TensorListMetadataILi2EEENS1_21BinaryOpScalarFunctorIbLi2ELi1ELi1EEEJSt4plusIbEbEEEvT_T0_DpT1_.numbered_sgpr, 24
	.set _ZN2at6native12_GLOBAL__N_125multi_tensor_apply_kernelINS1_18TensorListMetadataILi2EEENS1_21BinaryOpScalarFunctorIbLi2ELi1ELi1EEEJSt4plusIbEbEEEvT_T0_DpT1_.num_named_barrier, 0
	.set _ZN2at6native12_GLOBAL__N_125multi_tensor_apply_kernelINS1_18TensorListMetadataILi2EEENS1_21BinaryOpScalarFunctorIbLi2ELi1ELi1EEEJSt4plusIbEbEEEvT_T0_DpT1_.private_seg_size, 0
	.set _ZN2at6native12_GLOBAL__N_125multi_tensor_apply_kernelINS1_18TensorListMetadataILi2EEENS1_21BinaryOpScalarFunctorIbLi2ELi1ELi1EEEJSt4plusIbEbEEEvT_T0_DpT1_.uses_vcc, 1
	.set _ZN2at6native12_GLOBAL__N_125multi_tensor_apply_kernelINS1_18TensorListMetadataILi2EEENS1_21BinaryOpScalarFunctorIbLi2ELi1ELi1EEEJSt4plusIbEbEEEvT_T0_DpT1_.uses_flat_scratch, 0
	.set _ZN2at6native12_GLOBAL__N_125multi_tensor_apply_kernelINS1_18TensorListMetadataILi2EEENS1_21BinaryOpScalarFunctorIbLi2ELi1ELi1EEEJSt4plusIbEbEEEvT_T0_DpT1_.has_dyn_sized_stack, 0
	.set _ZN2at6native12_GLOBAL__N_125multi_tensor_apply_kernelINS1_18TensorListMetadataILi2EEENS1_21BinaryOpScalarFunctorIbLi2ELi1ELi1EEEJSt4plusIbEbEEEvT_T0_DpT1_.has_recursion, 0
	.set _ZN2at6native12_GLOBAL__N_125multi_tensor_apply_kernelINS1_18TensorListMetadataILi2EEENS1_21BinaryOpScalarFunctorIbLi2ELi1ELi1EEEJSt4plusIbEbEEEvT_T0_DpT1_.has_indirect_call, 0
	.section	.AMDGPU.csdata,"",@progbits
; Kernel info:
; codeLenInByte = 1068
; TotalNumSgprs: 30
; NumVgprs: 32
; NumAgprs: 0
; TotalNumVgprs: 32
; ScratchSize: 0
; MemoryBound: 0
; FloatMode: 240
; IeeeMode: 1
; LDSByteSize: 0 bytes/workgroup (compile time only)
; SGPRBlocks: 3
; VGPRBlocks: 3
; NumSGPRsForWavesPerEU: 30
; NumVGPRsForWavesPerEU: 32
; AccumOffset: 32
; Occupancy: 8
; WaveLimiterHint : 0
; COMPUTE_PGM_RSRC2:SCRATCH_EN: 0
; COMPUTE_PGM_RSRC2:USER_SGPR: 2
; COMPUTE_PGM_RSRC2:TRAP_HANDLER: 0
; COMPUTE_PGM_RSRC2:TGID_X_EN: 1
; COMPUTE_PGM_RSRC2:TGID_Y_EN: 0
; COMPUTE_PGM_RSRC2:TGID_Z_EN: 0
; COMPUTE_PGM_RSRC2:TIDIG_COMP_CNT: 0
; COMPUTE_PGM_RSRC3_GFX90A:ACCUM_OFFSET: 7
; COMPUTE_PGM_RSRC3_GFX90A:TG_SPLIT: 0
	.section	.text._ZN2at6native12_GLOBAL__N_125multi_tensor_apply_kernelINS1_18TensorListMetadataILi2EEENS1_21BinaryOpScalarFunctorIN3c104HalfELi2ELi1ELi1EEEJSt4plusIfEfEEEvT_T0_DpT1_,"axG",@progbits,_ZN2at6native12_GLOBAL__N_125multi_tensor_apply_kernelINS1_18TensorListMetadataILi2EEENS1_21BinaryOpScalarFunctorIN3c104HalfELi2ELi1ELi1EEEJSt4plusIfEfEEEvT_T0_DpT1_,comdat
	.globl	_ZN2at6native12_GLOBAL__N_125multi_tensor_apply_kernelINS1_18TensorListMetadataILi2EEENS1_21BinaryOpScalarFunctorIN3c104HalfELi2ELi1ELi1EEEJSt4plusIfEfEEEvT_T0_DpT1_ ; -- Begin function _ZN2at6native12_GLOBAL__N_125multi_tensor_apply_kernelINS1_18TensorListMetadataILi2EEENS1_21BinaryOpScalarFunctorIN3c104HalfELi2ELi1ELi1EEEJSt4plusIfEfEEEvT_T0_DpT1_
	.p2align	8
	.type	_ZN2at6native12_GLOBAL__N_125multi_tensor_apply_kernelINS1_18TensorListMetadataILi2EEENS1_21BinaryOpScalarFunctorIN3c104HalfELi2ELi1ELi1EEEJSt4plusIfEfEEEvT_T0_DpT1_,@function
_ZN2at6native12_GLOBAL__N_125multi_tensor_apply_kernelINS1_18TensorListMetadataILi2EEENS1_21BinaryOpScalarFunctorIN3c104HalfELi2ELi1ELi1EEEJSt4plusIfEfEEEvT_T0_DpT1_: ; @_ZN2at6native12_GLOBAL__N_125multi_tensor_apply_kernelINS1_18TensorListMetadataILi2EEENS1_21BinaryOpScalarFunctorIN3c104HalfELi2ELi1ELi1EEEJSt4plusIfEfEEEvT_T0_DpT1_
; %bb.0:
	v_mov_b32_e32 v1, s2
	global_load_ubyte v1, v1, s[0:1] offset:1536
	s_add_u32 s4, s0, s2
	s_mul_hi_u32 s7, s2, 3
	s_mul_i32 s2, s2, 3
	s_addc_u32 s8, s1, 0
	s_add_u32 s6, s4, s2
	s_addc_u32 s7, s8, s7
	s_load_dword s6, s[6:7], 0x740
	s_mov_b32 s3, 0
	s_mov_b32 s5, s3
	s_waitcnt lgkmcnt(0)
	s_ashr_i32 s7, s6, 31
	s_lshl_b64 s[14:15], s[6:7], 17
	s_lshl_b64 s[6:7], s[6:7], 16
	s_waitcnt vmcnt(0)
	v_readfirstlane_b32 s2, v1
	s_lshl_b32 s2, s2, 3
	s_load_dword s8, s[0:1], 0xc4c
	s_load_dwordx2 s[18:19], s[0:1], s2 offset:0x400
	s_load_dwordx2 s[10:11], s[0:1], s2 offset:0x0
	;; [unrolled: 1-line block ×3, first 2 shown]
	s_waitcnt lgkmcnt(0)
	s_add_u32 s2, s10, s14
	s_and_b32 s4, s12, 7
	s_and_b32 s2, s2, 7
	s_sub_u32 s16, s18, s6
	s_subb_u32 s17, s19, s7
	s_and_b32 s6, s18, 3
	s_mov_b32 s7, s3
	s_or_b64 s[4:5], s[4:5], s[6:7]
	s_or_b64 s[2:3], s[4:5], s[2:3]
	s_cmp_eq_u64 s[2:3], 0
	s_mov_b64 s[2:3], -1
	s_cbranch_scc1 .LBB22_21
; %bb.1:
	v_cmp_lt_i64_e64 s[2:3], s[16:17], 1
	s_and_b64 vcc, exec, s[2:3]
	s_cbranch_vccnz .LBB22_20
; %bb.2:
	s_load_dword s2, s[0:1], 0xc5c
	v_mov_b64_e32 v[2:3], 0x10000
	v_cmp_lt_i64_e32 vcc, s[16:17], v[2:3]
	s_and_b64 s[4:5], vcc, exec
	s_cselect_b32 s5, s17, 0
	s_cselect_b32 s4, s16, 0x10000
	s_waitcnt lgkmcnt(0)
	s_and_b32 s2, s2, 0xffff
	v_cmp_lt_u64_e32 vcc, s[16:17], v[2:3]
	s_mov_b32 s3, 0
	v_mov_b32_e32 v1, 0
	s_and_b64 s[6:7], vcc, exec
	s_cselect_b32 s19, s17, 0
	s_cselect_b32 s18, s16, 0x10000
	s_lshl_b32 s20, s2, 2
	s_mov_b32 s21, s3
	v_lshlrev_b32_e32 v12, 1, v0
	v_mov_b32_e32 v13, v1
	v_lshl_add_u64 v[18:19], v[0:1], 0, s[2:3]
	s_lshl_b32 s6, s2, 1
	s_mov_b32 s7, s3
	s_mul_i32 s24, s2, 3
	s_mov_b32 s25, s3
	v_mad_u64_u32 v[8:9], s[26:27], s2, 6, v[12:13]
	v_lshl_add_u64 v[14:15], s[20:21], 0, v[12:13]
	v_lshlrev_b32_e32 v22, 1, v18
	v_mov_b32_e32 v23, v1
	v_lshl_add_u64 v[2:3], s[10:11], 0, v[12:13]
	s_lshl_b32 s22, s2, 3
	s_mov_b32 s23, s3
	v_lshl_add_u64 v[4:5], s[12:13], 0, v[12:13]
	v_lshl_add_u64 v[6:7], s[10:11], 0, v[8:9]
	;; [unrolled: 1-line block ×9, first 2 shown]
	s_mov_b64 s[24:25], 0
	v_mov_b64_e32 v[24:25], s[4:5]
	s_branch .LBB22_4
.LBB22_3:                               ;   in Loop: Header=BB22_4 Depth=1
	s_or_b64 exec, exec, s[2:3]
	s_add_u32 s24, s24, s20
	s_addc_u32 s25, s25, 0
	v_cmp_lt_i64_e32 vcc, s[24:25], v[24:25]
	v_lshl_add_u64 v[2:3], v[2:3], 0, s[22:23]
	v_lshl_add_u64 v[4:5], v[4:5], 0, s[22:23]
	;; [unrolled: 1-line block ×8, first 2 shown]
	s_cbranch_vccz .LBB22_20
.LBB22_4:                               ; =>This Inner Loop Header: Depth=1
	v_lshl_add_u64 v[26:27], v[0:1], 0, s[24:25]
	v_cmp_gt_u64_e32 vcc, s[18:19], v[26:27]
	v_mov_b32_e32 v27, 0
	s_and_saveexec_b64 s[2:3], vcc
	s_cbranch_execz .LBB22_6
; %bb.5:                                ;   in Loop: Header=BB22_4 Depth=1
	v_lshl_add_u64 v[26:27], v[2:3], 0, s[14:15]
	global_load_ushort v26, v[26:27], off
	s_waitcnt vmcnt(0)
	v_cvt_f32_f16_e32 v27, v26
.LBB22_6:                               ;   in Loop: Header=BB22_4 Depth=1
	s_or_b64 exec, exec, s[2:3]
	v_lshl_add_u64 v[28:29], v[18:19], 0, s[24:25]
	v_cmp_gt_u64_e64 s[2:3], s[18:19], v[28:29]
	v_mov_b32_e32 v26, 0
	v_mov_b32_e32 v28, 0
	s_and_saveexec_b64 s[4:5], s[2:3]
	s_cbranch_execz .LBB22_8
; %bb.7:                                ;   in Loop: Header=BB22_4 Depth=1
	v_lshl_add_u64 v[28:29], v[20:21], 0, s[14:15]
	global_load_ushort v28, v[28:29], off
	s_waitcnt vmcnt(0)
	v_cvt_f32_f16_e32 v28, v28
.LBB22_8:                               ;   in Loop: Header=BB22_4 Depth=1
	s_or_b64 exec, exec, s[4:5]
	v_lshl_add_u64 v[30:31], v[16:17], 0, s[24:25]
	v_cmp_gt_u64_e64 s[4:5], s[18:19], v[30:31]
	s_and_saveexec_b64 s[6:7], s[4:5]
	s_cbranch_execz .LBB22_10
; %bb.9:                                ;   in Loop: Header=BB22_4 Depth=1
	v_lshl_add_u64 v[30:31], v[12:13], 0, s[14:15]
	global_load_ushort v26, v[30:31], off
	s_waitcnt vmcnt(0)
	v_cvt_f32_f16_e32 v26, v26
.LBB22_10:                              ;   in Loop: Header=BB22_4 Depth=1
	s_or_b64 exec, exec, s[6:7]
	v_lshl_add_u64 v[30:31], v[10:11], 0, s[24:25]
	v_cmp_gt_u64_e64 s[6:7], s[18:19], v[30:31]
	v_mov_b32_e32 v29, 0
	s_and_saveexec_b64 s[26:27], s[6:7]
	s_cbranch_execnz .LBB22_15
; %bb.11:                               ;   in Loop: Header=BB22_4 Depth=1
	s_or_b64 exec, exec, s[26:27]
	s_and_saveexec_b64 s[26:27], vcc
	s_cbranch_execnz .LBB22_16
.LBB22_12:                              ;   in Loop: Header=BB22_4 Depth=1
	s_or_b64 exec, exec, s[26:27]
	s_and_saveexec_b64 s[26:27], s[2:3]
	s_cbranch_execnz .LBB22_17
.LBB22_13:                              ;   in Loop: Header=BB22_4 Depth=1
	s_or_b64 exec, exec, s[26:27]
	s_and_saveexec_b64 s[2:3], s[4:5]
	s_cbranch_execnz .LBB22_18
.LBB22_14:                              ;   in Loop: Header=BB22_4 Depth=1
	s_or_b64 exec, exec, s[2:3]
	s_and_saveexec_b64 s[2:3], s[6:7]
	s_cbranch_execz .LBB22_3
	s_branch .LBB22_19
.LBB22_15:                              ;   in Loop: Header=BB22_4 Depth=1
	v_lshl_add_u64 v[30:31], v[6:7], 0, s[14:15]
	global_load_ushort v29, v[30:31], off
	s_waitcnt vmcnt(0)
	v_cvt_f32_f16_e32 v29, v29
	s_or_b64 exec, exec, s[26:27]
	s_and_saveexec_b64 s[26:27], vcc
	s_cbranch_execz .LBB22_12
.LBB22_16:                              ;   in Loop: Header=BB22_4 Depth=1
	v_add_f32_e32 v27, s8, v27
	v_cvt_f16_f32_e32 v27, v27
	v_lshl_add_u64 v[30:31], v[4:5], 0, s[14:15]
	global_store_short v[30:31], v27, off
	s_or_b64 exec, exec, s[26:27]
	s_and_saveexec_b64 s[26:27], s[2:3]
	s_cbranch_execz .LBB22_13
.LBB22_17:                              ;   in Loop: Header=BB22_4 Depth=1
	v_add_f32_e32 v27, s8, v28
	v_cvt_f16_f32_e32 v27, v27
	v_lshl_add_u64 v[30:31], v[22:23], 0, s[14:15]
	global_store_short v[30:31], v27, off
	s_or_b64 exec, exec, s[26:27]
	s_and_saveexec_b64 s[2:3], s[4:5]
	s_cbranch_execz .LBB22_14
.LBB22_18:                              ;   in Loop: Header=BB22_4 Depth=1
	v_add_f32_e32 v26, s8, v26
	v_cvt_f16_f32_e32 v28, v26
	v_lshl_add_u64 v[26:27], v[14:15], 0, s[14:15]
	global_store_short v[26:27], v28, off
	s_or_b64 exec, exec, s[2:3]
	s_and_saveexec_b64 s[2:3], s[6:7]
	s_cbranch_execz .LBB22_3
.LBB22_19:                              ;   in Loop: Header=BB22_4 Depth=1
	v_add_f32_e32 v26, s8, v29
	v_cvt_f16_f32_e32 v28, v26
	v_lshl_add_u64 v[26:27], v[8:9], 0, s[14:15]
	global_store_short v[26:27], v28, off
	s_branch .LBB22_3
.LBB22_20:
	s_mov_b64 s[2:3], 0
.LBB22_21:
	s_andn2_b64 vcc, exec, s[2:3]
	s_cbranch_vccnz .LBB22_25
; %bb.22:
	v_mov_b64_e32 v[4:5], 0x10000
	v_cmp_lt_i64_e32 vcc, s[16:17], v[4:5]
	s_and_b64 s[4:5], vcc, exec
	v_mov_b32_e32 v3, 0
	s_cselect_b32 s5, s17, 0
	s_cselect_b32 s4, s16, 0x10000
	v_lshlrev_b32_e32 v2, 2, v0
	s_mov_b32 s3, 0
	v_cmp_gt_i64_e32 vcc, s[4:5], v[2:3]
	s_and_saveexec_b64 s[6:7], vcc
	s_cbranch_execz .LBB22_25
; %bb.23:
	s_load_dword s2, s[0:1], 0xc5c
	v_lshlrev_b32_e32 v2, 3, v0
	v_mov_b32_e32 v1, v3
	s_mov_b32 s9, s8
	s_mov_b32 s0, s8
	s_waitcnt lgkmcnt(0)
	s_and_b32 s2, s2, 0xffff
	s_mov_b32 s1, s8
	v_lshl_add_u64 v[2:3], s[14:15], 0, v[2:3]
	s_lshl_b32 s6, s2, 3
	s_mov_b32 s7, s3
	s_mov_b64 s[14:15], 0
.LBB22_24:                              ; =>This Inner Loop Header: Depth=1
	v_lshl_add_u64 v[4:5], s[10:11], 0, v[2:3]
	global_load_dwordx2 v[4:5], v[4:5], off
	v_lshl_add_u64 v[0:1], v[0:1], 0, s[2:3]
	v_lshlrev_b64 v[8:9], 2, v[0:1]
	v_cmp_le_i64_e32 vcc, s[4:5], v[8:9]
	v_lshl_add_u64 v[6:7], s[12:13], 0, v[2:3]
	v_lshl_add_u64 v[2:3], v[2:3], 0, s[6:7]
	s_or_b64 s[14:15], vcc, s[14:15]
	s_waitcnt vmcnt(0)
	v_cvt_f32_f16_e32 v8, v5
	v_cvt_f32_f16_e32 v10, v4
	v_cvt_f32_f16_sdwa v11, v4 dst_sel:DWORD dst_unused:UNUSED_PAD src0_sel:WORD_1
	v_cvt_f32_f16_sdwa v9, v5 dst_sel:DWORD dst_unused:UNUSED_PAD src0_sel:WORD_1
	v_pk_add_f32 v[4:5], s[8:9], v[10:11]
	v_pk_add_f32 v[8:9], s[0:1], v[8:9]
	s_nop 0
	v_cvt_pk_f16_f32 v9, v8, v9
	v_cvt_pk_f16_f32 v8, v4, v5
	global_store_dwordx2 v[6:7], v[8:9], off
	s_andn2_b64 exec, exec, s[14:15]
	s_cbranch_execnz .LBB22_24
.LBB22_25:
	s_endpgm
	.section	.rodata,"a",@progbits
	.p2align	6, 0x0
	.amdhsa_kernel _ZN2at6native12_GLOBAL__N_125multi_tensor_apply_kernelINS1_18TensorListMetadataILi2EEENS1_21BinaryOpScalarFunctorIN3c104HalfELi2ELi1ELi1EEEJSt4plusIfEfEEEvT_T0_DpT1_
		.amdhsa_group_segment_fixed_size 0
		.amdhsa_private_segment_fixed_size 0
		.amdhsa_kernarg_size 3408
		.amdhsa_user_sgpr_count 2
		.amdhsa_user_sgpr_dispatch_ptr 0
		.amdhsa_user_sgpr_queue_ptr 0
		.amdhsa_user_sgpr_kernarg_segment_ptr 1
		.amdhsa_user_sgpr_dispatch_id 0
		.amdhsa_user_sgpr_kernarg_preload_length 0
		.amdhsa_user_sgpr_kernarg_preload_offset 0
		.amdhsa_user_sgpr_private_segment_size 0
		.amdhsa_uses_dynamic_stack 0
		.amdhsa_enable_private_segment 0
		.amdhsa_system_sgpr_workgroup_id_x 1
		.amdhsa_system_sgpr_workgroup_id_y 0
		.amdhsa_system_sgpr_workgroup_id_z 0
		.amdhsa_system_sgpr_workgroup_info 0
		.amdhsa_system_vgpr_workitem_id 0
		.amdhsa_next_free_vgpr 32
		.amdhsa_next_free_sgpr 28
		.amdhsa_accum_offset 32
		.amdhsa_reserve_vcc 1
		.amdhsa_float_round_mode_32 0
		.amdhsa_float_round_mode_16_64 0
		.amdhsa_float_denorm_mode_32 3
		.amdhsa_float_denorm_mode_16_64 3
		.amdhsa_dx10_clamp 1
		.amdhsa_ieee_mode 1
		.amdhsa_fp16_overflow 0
		.amdhsa_tg_split 0
		.amdhsa_exception_fp_ieee_invalid_op 0
		.amdhsa_exception_fp_denorm_src 0
		.amdhsa_exception_fp_ieee_div_zero 0
		.amdhsa_exception_fp_ieee_overflow 0
		.amdhsa_exception_fp_ieee_underflow 0
		.amdhsa_exception_fp_ieee_inexact 0
		.amdhsa_exception_int_div_zero 0
	.end_amdhsa_kernel
	.section	.text._ZN2at6native12_GLOBAL__N_125multi_tensor_apply_kernelINS1_18TensorListMetadataILi2EEENS1_21BinaryOpScalarFunctorIN3c104HalfELi2ELi1ELi1EEEJSt4plusIfEfEEEvT_T0_DpT1_,"axG",@progbits,_ZN2at6native12_GLOBAL__N_125multi_tensor_apply_kernelINS1_18TensorListMetadataILi2EEENS1_21BinaryOpScalarFunctorIN3c104HalfELi2ELi1ELi1EEEJSt4plusIfEfEEEvT_T0_DpT1_,comdat
.Lfunc_end22:
	.size	_ZN2at6native12_GLOBAL__N_125multi_tensor_apply_kernelINS1_18TensorListMetadataILi2EEENS1_21BinaryOpScalarFunctorIN3c104HalfELi2ELi1ELi1EEEJSt4plusIfEfEEEvT_T0_DpT1_, .Lfunc_end22-_ZN2at6native12_GLOBAL__N_125multi_tensor_apply_kernelINS1_18TensorListMetadataILi2EEENS1_21BinaryOpScalarFunctorIN3c104HalfELi2ELi1ELi1EEEJSt4plusIfEfEEEvT_T0_DpT1_
                                        ; -- End function
	.set _ZN2at6native12_GLOBAL__N_125multi_tensor_apply_kernelINS1_18TensorListMetadataILi2EEENS1_21BinaryOpScalarFunctorIN3c104HalfELi2ELi1ELi1EEEJSt4plusIfEfEEEvT_T0_DpT1_.num_vgpr, 32
	.set _ZN2at6native12_GLOBAL__N_125multi_tensor_apply_kernelINS1_18TensorListMetadataILi2EEENS1_21BinaryOpScalarFunctorIN3c104HalfELi2ELi1ELi1EEEJSt4plusIfEfEEEvT_T0_DpT1_.num_agpr, 0
	.set _ZN2at6native12_GLOBAL__N_125multi_tensor_apply_kernelINS1_18TensorListMetadataILi2EEENS1_21BinaryOpScalarFunctorIN3c104HalfELi2ELi1ELi1EEEJSt4plusIfEfEEEvT_T0_DpT1_.numbered_sgpr, 28
	.set _ZN2at6native12_GLOBAL__N_125multi_tensor_apply_kernelINS1_18TensorListMetadataILi2EEENS1_21BinaryOpScalarFunctorIN3c104HalfELi2ELi1ELi1EEEJSt4plusIfEfEEEvT_T0_DpT1_.num_named_barrier, 0
	.set _ZN2at6native12_GLOBAL__N_125multi_tensor_apply_kernelINS1_18TensorListMetadataILi2EEENS1_21BinaryOpScalarFunctorIN3c104HalfELi2ELi1ELi1EEEJSt4plusIfEfEEEvT_T0_DpT1_.private_seg_size, 0
	.set _ZN2at6native12_GLOBAL__N_125multi_tensor_apply_kernelINS1_18TensorListMetadataILi2EEENS1_21BinaryOpScalarFunctorIN3c104HalfELi2ELi1ELi1EEEJSt4plusIfEfEEEvT_T0_DpT1_.uses_vcc, 1
	.set _ZN2at6native12_GLOBAL__N_125multi_tensor_apply_kernelINS1_18TensorListMetadataILi2EEENS1_21BinaryOpScalarFunctorIN3c104HalfELi2ELi1ELi1EEEJSt4plusIfEfEEEvT_T0_DpT1_.uses_flat_scratch, 0
	.set _ZN2at6native12_GLOBAL__N_125multi_tensor_apply_kernelINS1_18TensorListMetadataILi2EEENS1_21BinaryOpScalarFunctorIN3c104HalfELi2ELi1ELi1EEEJSt4plusIfEfEEEvT_T0_DpT1_.has_dyn_sized_stack, 0
	.set _ZN2at6native12_GLOBAL__N_125multi_tensor_apply_kernelINS1_18TensorListMetadataILi2EEENS1_21BinaryOpScalarFunctorIN3c104HalfELi2ELi1ELi1EEEJSt4plusIfEfEEEvT_T0_DpT1_.has_recursion, 0
	.set _ZN2at6native12_GLOBAL__N_125multi_tensor_apply_kernelINS1_18TensorListMetadataILi2EEENS1_21BinaryOpScalarFunctorIN3c104HalfELi2ELi1ELi1EEEJSt4plusIfEfEEEvT_T0_DpT1_.has_indirect_call, 0
	.section	.AMDGPU.csdata,"",@progbits
; Kernel info:
; codeLenInByte = 1184
; TotalNumSgprs: 34
; NumVgprs: 32
; NumAgprs: 0
; TotalNumVgprs: 32
; ScratchSize: 0
; MemoryBound: 0
; FloatMode: 240
; IeeeMode: 1
; LDSByteSize: 0 bytes/workgroup (compile time only)
; SGPRBlocks: 4
; VGPRBlocks: 3
; NumSGPRsForWavesPerEU: 34
; NumVGPRsForWavesPerEU: 32
; AccumOffset: 32
; Occupancy: 8
; WaveLimiterHint : 0
; COMPUTE_PGM_RSRC2:SCRATCH_EN: 0
; COMPUTE_PGM_RSRC2:USER_SGPR: 2
; COMPUTE_PGM_RSRC2:TRAP_HANDLER: 0
; COMPUTE_PGM_RSRC2:TGID_X_EN: 1
; COMPUTE_PGM_RSRC2:TGID_Y_EN: 0
; COMPUTE_PGM_RSRC2:TGID_Z_EN: 0
; COMPUTE_PGM_RSRC2:TIDIG_COMP_CNT: 0
; COMPUTE_PGM_RSRC3_GFX90A:ACCUM_OFFSET: 7
; COMPUTE_PGM_RSRC3_GFX90A:TG_SPLIT: 0
	.section	.text._ZN2at6native12_GLOBAL__N_125multi_tensor_apply_kernelINS1_18TensorListMetadataILi2EEENS1_21BinaryOpScalarFunctorIN3c108BFloat16ELi2ELi1ELi1EEEJSt4plusIfEfEEEvT_T0_DpT1_,"axG",@progbits,_ZN2at6native12_GLOBAL__N_125multi_tensor_apply_kernelINS1_18TensorListMetadataILi2EEENS1_21BinaryOpScalarFunctorIN3c108BFloat16ELi2ELi1ELi1EEEJSt4plusIfEfEEEvT_T0_DpT1_,comdat
	.globl	_ZN2at6native12_GLOBAL__N_125multi_tensor_apply_kernelINS1_18TensorListMetadataILi2EEENS1_21BinaryOpScalarFunctorIN3c108BFloat16ELi2ELi1ELi1EEEJSt4plusIfEfEEEvT_T0_DpT1_ ; -- Begin function _ZN2at6native12_GLOBAL__N_125multi_tensor_apply_kernelINS1_18TensorListMetadataILi2EEENS1_21BinaryOpScalarFunctorIN3c108BFloat16ELi2ELi1ELi1EEEJSt4plusIfEfEEEvT_T0_DpT1_
	.p2align	8
	.type	_ZN2at6native12_GLOBAL__N_125multi_tensor_apply_kernelINS1_18TensorListMetadataILi2EEENS1_21BinaryOpScalarFunctorIN3c108BFloat16ELi2ELi1ELi1EEEJSt4plusIfEfEEEvT_T0_DpT1_,@function
_ZN2at6native12_GLOBAL__N_125multi_tensor_apply_kernelINS1_18TensorListMetadataILi2EEENS1_21BinaryOpScalarFunctorIN3c108BFloat16ELi2ELi1ELi1EEEJSt4plusIfEfEEEvT_T0_DpT1_: ; @_ZN2at6native12_GLOBAL__N_125multi_tensor_apply_kernelINS1_18TensorListMetadataILi2EEENS1_21BinaryOpScalarFunctorIN3c108BFloat16ELi2ELi1ELi1EEEJSt4plusIfEfEEEvT_T0_DpT1_
; %bb.0:
	v_mov_b32_e32 v1, s2
	global_load_ubyte v1, v1, s[0:1] offset:1536
	s_add_u32 s4, s0, s2
	s_mul_hi_u32 s7, s2, 3
	s_mul_i32 s2, s2, 3
	s_addc_u32 s8, s1, 0
	s_add_u32 s6, s4, s2
	s_addc_u32 s7, s8, s7
	s_load_dword s6, s[6:7], 0x740
	s_mov_b32 s3, 0
	s_mov_b32 s5, s3
	s_waitcnt lgkmcnt(0)
	s_ashr_i32 s7, s6, 31
	s_lshl_b64 s[12:13], s[6:7], 17
	s_lshl_b64 s[6:7], s[6:7], 16
	s_waitcnt vmcnt(0)
	v_readfirstlane_b32 s2, v1
	s_lshl_b32 s2, s2, 3
	s_load_dword s26, s[0:1], 0xc4c
	s_load_dwordx2 s[16:17], s[0:1], s2 offset:0x400
	s_load_dwordx2 s[8:9], s[0:1], s2 offset:0x0
	;; [unrolled: 1-line block ×3, first 2 shown]
	s_waitcnt lgkmcnt(0)
	s_add_u32 s2, s8, s12
	s_and_b32 s4, s10, 7
	s_and_b32 s2, s2, 7
	s_sub_u32 s14, s16, s6
	s_subb_u32 s15, s17, s7
	s_and_b32 s6, s16, 3
	s_mov_b32 s7, s3
	s_or_b64 s[4:5], s[4:5], s[6:7]
	s_or_b64 s[2:3], s[4:5], s[2:3]
	s_cmp_eq_u64 s[2:3], 0
	s_mov_b64 s[2:3], -1
	s_cbranch_scc1 .LBB23_21
; %bb.1:
	v_cmp_lt_i64_e64 s[2:3], s[14:15], 1
	s_and_b64 vcc, exec, s[2:3]
	s_cbranch_vccnz .LBB23_20
; %bb.2:
	s_load_dword s2, s[0:1], 0xc5c
	v_mov_b64_e32 v[2:3], 0x10000
	v_cmp_lt_i64_e32 vcc, s[14:15], v[2:3]
	s_and_b64 s[4:5], vcc, exec
	s_cselect_b32 s5, s15, 0
	s_cselect_b32 s4, s14, 0x10000
	s_waitcnt lgkmcnt(0)
	s_and_b32 s2, s2, 0xffff
	v_cmp_lt_u64_e32 vcc, s[14:15], v[2:3]
	s_mov_b32 s3, 0
	v_mov_b32_e32 v1, 0
	s_and_b64 s[6:7], vcc, exec
	s_cselect_b32 s17, s15, 0
	s_cselect_b32 s16, s14, 0x10000
	s_lshl_b32 s18, s2, 2
	s_mov_b32 s19, s3
	v_lshlrev_b32_e32 v12, 1, v0
	v_mov_b32_e32 v13, v1
	v_lshl_add_u64 v[18:19], v[0:1], 0, s[2:3]
	s_lshl_b32 s6, s2, 1
	s_mov_b32 s7, s3
	s_mul_i32 s22, s2, 3
	s_mov_b32 s23, s3
	v_mad_u64_u32 v[8:9], s[24:25], s2, 6, v[12:13]
	v_lshl_add_u64 v[14:15], s[18:19], 0, v[12:13]
	v_lshlrev_b32_e32 v22, 1, v18
	v_mov_b32_e32 v23, v1
	v_lshl_add_u64 v[2:3], s[8:9], 0, v[12:13]
	s_lshl_b32 s20, s2, 3
	s_mov_b32 s21, s3
	v_lshl_add_u64 v[4:5], s[10:11], 0, v[12:13]
	v_lshl_add_u64 v[6:7], s[8:9], 0, v[8:9]
	;; [unrolled: 1-line block ×9, first 2 shown]
	s_mov_b64 s[22:23], 0
	s_movk_i32 s19, 0x7fff
	v_mov_b64_e32 v[24:25], s[4:5]
	v_mov_b32_e32 v26, 0x7fc0
	s_branch .LBB23_4
.LBB23_3:                               ;   in Loop: Header=BB23_4 Depth=1
	s_or_b64 exec, exec, s[2:3]
	s_add_u32 s22, s22, s18
	s_addc_u32 s23, s23, 0
	v_cmp_lt_i64_e32 vcc, s[22:23], v[24:25]
	v_lshl_add_u64 v[2:3], v[2:3], 0, s[20:21]
	v_lshl_add_u64 v[4:5], v[4:5], 0, s[20:21]
	;; [unrolled: 1-line block ×8, first 2 shown]
	s_cbranch_vccz .LBB23_20
.LBB23_4:                               ; =>This Inner Loop Header: Depth=1
	v_lshl_add_u64 v[28:29], v[0:1], 0, s[22:23]
	v_cmp_gt_u64_e32 vcc, s[16:17], v[28:29]
	v_mov_b32_e32 v28, 0
	s_and_saveexec_b64 s[2:3], vcc
	s_cbranch_execz .LBB23_6
; %bb.5:                                ;   in Loop: Header=BB23_4 Depth=1
	v_lshl_add_u64 v[28:29], v[2:3], 0, s[12:13]
	global_load_ushort v27, v[28:29], off
	s_waitcnt vmcnt(0)
	v_lshlrev_b32_e32 v28, 16, v27
.LBB23_6:                               ;   in Loop: Header=BB23_4 Depth=1
	s_or_b64 exec, exec, s[2:3]
	v_lshl_add_u64 v[30:31], v[18:19], 0, s[22:23]
	v_cmp_gt_u64_e64 s[2:3], s[16:17], v[30:31]
	v_mov_b32_e32 v27, 0
	v_mov_b32_e32 v29, 0
	s_and_saveexec_b64 s[4:5], s[2:3]
	s_cbranch_execz .LBB23_8
; %bb.7:                                ;   in Loop: Header=BB23_4 Depth=1
	v_lshl_add_u64 v[30:31], v[20:21], 0, s[12:13]
	global_load_ushort v29, v[30:31], off
	s_waitcnt vmcnt(0)
	v_lshlrev_b32_e32 v29, 16, v29
.LBB23_8:                               ;   in Loop: Header=BB23_4 Depth=1
	s_or_b64 exec, exec, s[4:5]
	v_lshl_add_u64 v[30:31], v[16:17], 0, s[22:23]
	v_cmp_gt_u64_e64 s[4:5], s[16:17], v[30:31]
	s_and_saveexec_b64 s[6:7], s[4:5]
	s_cbranch_execz .LBB23_10
; %bb.9:                                ;   in Loop: Header=BB23_4 Depth=1
	v_lshl_add_u64 v[30:31], v[12:13], 0, s[12:13]
	global_load_ushort v27, v[30:31], off
	s_waitcnt vmcnt(0)
	v_lshlrev_b32_e32 v27, 16, v27
.LBB23_10:                              ;   in Loop: Header=BB23_4 Depth=1
	s_or_b64 exec, exec, s[6:7]
	v_lshl_add_u64 v[30:31], v[10:11], 0, s[22:23]
	v_cmp_gt_u64_e64 s[6:7], s[16:17], v[30:31]
	v_mov_b32_e32 v30, 0
	s_and_saveexec_b64 s[24:25], s[6:7]
	s_cbranch_execnz .LBB23_15
; %bb.11:                               ;   in Loop: Header=BB23_4 Depth=1
	s_or_b64 exec, exec, s[24:25]
	s_and_saveexec_b64 s[24:25], vcc
	s_cbranch_execnz .LBB23_16
.LBB23_12:                              ;   in Loop: Header=BB23_4 Depth=1
	s_or_b64 exec, exec, s[24:25]
	s_and_saveexec_b64 s[24:25], s[2:3]
	s_cbranch_execnz .LBB23_17
.LBB23_13:                              ;   in Loop: Header=BB23_4 Depth=1
	s_or_b64 exec, exec, s[24:25]
	s_and_saveexec_b64 s[2:3], s[4:5]
	s_cbranch_execnz .LBB23_18
.LBB23_14:                              ;   in Loop: Header=BB23_4 Depth=1
	s_or_b64 exec, exec, s[2:3]
	s_and_saveexec_b64 s[2:3], s[6:7]
	s_cbranch_execz .LBB23_3
	s_branch .LBB23_19
.LBB23_15:                              ;   in Loop: Header=BB23_4 Depth=1
	v_lshl_add_u64 v[30:31], v[6:7], 0, s[12:13]
	global_load_ushort v30, v[30:31], off
	s_waitcnt vmcnt(0)
	v_lshlrev_b32_e32 v30, 16, v30
	s_or_b64 exec, exec, s[24:25]
	s_and_saveexec_b64 s[24:25], vcc
	s_cbranch_execz .LBB23_12
.LBB23_16:                              ;   in Loop: Header=BB23_4 Depth=1
	v_add_f32_e32 v28, s26, v28
	v_bfe_u32 v31, v28, 16, 1
	v_add3_u32 v31, v28, v31, s19
	v_cmp_o_f32_e32 vcc, v28, v28
	v_lshl_add_u64 v[32:33], v[4:5], 0, s[12:13]
	s_nop 0
	v_cndmask_b32_sdwa v28, v26, v31, vcc dst_sel:DWORD dst_unused:UNUSED_PAD src0_sel:DWORD src1_sel:WORD_1
	global_store_short v[32:33], v28, off
	s_or_b64 exec, exec, s[24:25]
	s_and_saveexec_b64 s[24:25], s[2:3]
	s_cbranch_execz .LBB23_13
.LBB23_17:                              ;   in Loop: Header=BB23_4 Depth=1
	v_add_f32_e32 v28, s26, v29
	v_bfe_u32 v29, v28, 16, 1
	v_add3_u32 v29, v28, v29, s19
	v_cmp_o_f32_e32 vcc, v28, v28
	s_nop 1
	v_cndmask_b32_sdwa v31, v26, v29, vcc dst_sel:DWORD dst_unused:UNUSED_PAD src0_sel:DWORD src1_sel:WORD_1
	v_lshl_add_u64 v[28:29], v[22:23], 0, s[12:13]
	global_store_short v[28:29], v31, off
	s_or_b64 exec, exec, s[24:25]
	s_and_saveexec_b64 s[2:3], s[4:5]
	s_cbranch_execz .LBB23_14
.LBB23_18:                              ;   in Loop: Header=BB23_4 Depth=1
	v_add_f32_e32 v27, s26, v27
	v_bfe_u32 v28, v27, 16, 1
	v_add3_u32 v28, v27, v28, s19
	v_cmp_o_f32_e32 vcc, v27, v27
	s_nop 1
	v_cndmask_b32_sdwa v27, v26, v28, vcc dst_sel:DWORD dst_unused:UNUSED_PAD src0_sel:DWORD src1_sel:WORD_1
	v_lshl_add_u64 v[28:29], v[14:15], 0, s[12:13]
	global_store_short v[28:29], v27, off
	s_or_b64 exec, exec, s[2:3]
	s_and_saveexec_b64 s[2:3], s[6:7]
	s_cbranch_execz .LBB23_3
.LBB23_19:                              ;   in Loop: Header=BB23_4 Depth=1
	v_add_f32_e32 v27, s26, v30
	v_bfe_u32 v28, v27, 16, 1
	v_add3_u32 v28, v27, v28, s19
	v_cmp_o_f32_e32 vcc, v27, v27
	s_nop 1
	v_cndmask_b32_sdwa v27, v26, v28, vcc dst_sel:DWORD dst_unused:UNUSED_PAD src0_sel:DWORD src1_sel:WORD_1
	v_lshl_add_u64 v[28:29], v[8:9], 0, s[12:13]
	global_store_short v[28:29], v27, off
	s_branch .LBB23_3
.LBB23_20:
	s_mov_b64 s[2:3], 0
.LBB23_21:
	s_andn2_b64 vcc, exec, s[2:3]
	s_cbranch_vccnz .LBB23_25
; %bb.22:
	v_mov_b64_e32 v[4:5], 0x10000
	v_cmp_lt_i64_e32 vcc, s[14:15], v[4:5]
	s_and_b64 s[2:3], vcc, exec
	v_mov_b32_e32 v3, 0
	s_cselect_b32 s7, s15, 0
	s_cselect_b32 s6, s14, 0x10000
	v_lshlrev_b32_e32 v2, 2, v0
	s_mov_b32 s5, 0
	v_cmp_gt_i64_e32 vcc, s[6:7], v[2:3]
	s_and_saveexec_b64 s[2:3], vcc
	s_cbranch_execz .LBB23_25
; %bb.23:
	s_load_dword s0, s[0:1], 0xc5c
	v_lshlrev_b32_e32 v2, 3, v0
	v_mov_b32_e32 v1, v3
	s_mov_b32 s15, s5
	v_lshl_add_u64 v[2:3], s[12:13], 0, v[2:3]
	s_waitcnt lgkmcnt(0)
	s_and_b32 s4, s0, 0xffff
	s_lshl_b32 s14, s4, 3
	s_mov_b64 s[12:13], 0
	s_movk_i32 s16, 0x7fff
	v_mov_b32_e32 v4, 0x7fc00000
	v_mov_b32_e32 v5, 0x7fc0
.LBB23_24:                              ; =>This Inner Loop Header: Depth=1
	v_lshl_add_u64 v[6:7], s[8:9], 0, v[2:3]
	global_load_dwordx2 v[6:7], v[6:7], off
	v_lshl_add_u64 v[0:1], v[0:1], 0, s[4:5]
	v_lshlrev_b64 v[10:11], 2, v[0:1]
	v_cmp_le_i64_e32 vcc, s[6:7], v[10:11]
	s_or_b64 s[12:13], vcc, s[12:13]
	v_lshl_add_u64 v[8:9], s[10:11], 0, v[2:3]
	v_lshl_add_u64 v[2:3], v[2:3], 0, s[14:15]
	s_waitcnt vmcnt(0)
	v_lshlrev_b32_e32 v10, 16, v6
	v_and_b32_e32 v11, 0xffff0000, v6
	v_alignbit_b32 v6, v7, v6, 16
	v_and_b32_e32 v7, 0xffff0000, v7
	v_add_f32_e32 v10, s26, v10
	v_add_f32_e32 v11, s26, v11
	v_and_b32_e32 v6, 0xffff0000, v6
	v_add_f32_e32 v7, s26, v7
	v_bfe_u32 v12, v10, 16, 1
	v_bfe_u32 v13, v11, 16, 1
	v_add_f32_e32 v6, s26, v6
	v_bfe_u32 v14, v7, 16, 1
	v_add3_u32 v12, v10, v12, s16
	v_add3_u32 v13, v11, v13, s16
	v_bfe_u32 v15, v6, 16, 1
	v_add3_u32 v14, v7, v14, s16
	v_lshrrev_b32_e32 v12, 16, v12
	v_and_b32_e32 v13, 0xffff0000, v13
	v_add3_u32 v15, v6, v15, s16
	v_and_b32_e32 v14, 0xffff0000, v14
	v_cmp_o_f32_e32 vcc, v7, v7
	v_cmp_o_f32_e64 s[0:1], v11, v11
	v_cmp_o_f32_e64 s[2:3], v10, v10
	v_lshrrev_b32_e32 v7, 16, v15
	v_cndmask_b32_e32 v10, v4, v14, vcc
	v_cndmask_b32_e64 v11, v4, v13, s[0:1]
	v_cndmask_b32_e64 v12, v5, v12, s[2:3]
	v_cmp_o_f32_e32 vcc, v6, v6
	v_or_b32_e32 v11, v12, v11
	s_nop 0
	v_cndmask_b32_e32 v6, v5, v7, vcc
	v_or3_b32 v7, 0, v6, v10
	v_or3_b32 v6, v11, 0, 0
	global_store_dwordx2 v[8:9], v[6:7], off
	s_andn2_b64 exec, exec, s[12:13]
	s_cbranch_execnz .LBB23_24
.LBB23_25:
	s_endpgm
	.section	.rodata,"a",@progbits
	.p2align	6, 0x0
	.amdhsa_kernel _ZN2at6native12_GLOBAL__N_125multi_tensor_apply_kernelINS1_18TensorListMetadataILi2EEENS1_21BinaryOpScalarFunctorIN3c108BFloat16ELi2ELi1ELi1EEEJSt4plusIfEfEEEvT_T0_DpT1_
		.amdhsa_group_segment_fixed_size 0
		.amdhsa_private_segment_fixed_size 0
		.amdhsa_kernarg_size 3408
		.amdhsa_user_sgpr_count 2
		.amdhsa_user_sgpr_dispatch_ptr 0
		.amdhsa_user_sgpr_queue_ptr 0
		.amdhsa_user_sgpr_kernarg_segment_ptr 1
		.amdhsa_user_sgpr_dispatch_id 0
		.amdhsa_user_sgpr_kernarg_preload_length 0
		.amdhsa_user_sgpr_kernarg_preload_offset 0
		.amdhsa_user_sgpr_private_segment_size 0
		.amdhsa_uses_dynamic_stack 0
		.amdhsa_enable_private_segment 0
		.amdhsa_system_sgpr_workgroup_id_x 1
		.amdhsa_system_sgpr_workgroup_id_y 0
		.amdhsa_system_sgpr_workgroup_id_z 0
		.amdhsa_system_sgpr_workgroup_info 0
		.amdhsa_system_vgpr_workitem_id 0
		.amdhsa_next_free_vgpr 34
		.amdhsa_next_free_sgpr 27
		.amdhsa_accum_offset 36
		.amdhsa_reserve_vcc 1
		.amdhsa_float_round_mode_32 0
		.amdhsa_float_round_mode_16_64 0
		.amdhsa_float_denorm_mode_32 3
		.amdhsa_float_denorm_mode_16_64 3
		.amdhsa_dx10_clamp 1
		.amdhsa_ieee_mode 1
		.amdhsa_fp16_overflow 0
		.amdhsa_tg_split 0
		.amdhsa_exception_fp_ieee_invalid_op 0
		.amdhsa_exception_fp_denorm_src 0
		.amdhsa_exception_fp_ieee_div_zero 0
		.amdhsa_exception_fp_ieee_overflow 0
		.amdhsa_exception_fp_ieee_underflow 0
		.amdhsa_exception_fp_ieee_inexact 0
		.amdhsa_exception_int_div_zero 0
	.end_amdhsa_kernel
	.section	.text._ZN2at6native12_GLOBAL__N_125multi_tensor_apply_kernelINS1_18TensorListMetadataILi2EEENS1_21BinaryOpScalarFunctorIN3c108BFloat16ELi2ELi1ELi1EEEJSt4plusIfEfEEEvT_T0_DpT1_,"axG",@progbits,_ZN2at6native12_GLOBAL__N_125multi_tensor_apply_kernelINS1_18TensorListMetadataILi2EEENS1_21BinaryOpScalarFunctorIN3c108BFloat16ELi2ELi1ELi1EEEJSt4plusIfEfEEEvT_T0_DpT1_,comdat
.Lfunc_end23:
	.size	_ZN2at6native12_GLOBAL__N_125multi_tensor_apply_kernelINS1_18TensorListMetadataILi2EEENS1_21BinaryOpScalarFunctorIN3c108BFloat16ELi2ELi1ELi1EEEJSt4plusIfEfEEEvT_T0_DpT1_, .Lfunc_end23-_ZN2at6native12_GLOBAL__N_125multi_tensor_apply_kernelINS1_18TensorListMetadataILi2EEENS1_21BinaryOpScalarFunctorIN3c108BFloat16ELi2ELi1ELi1EEEJSt4plusIfEfEEEvT_T0_DpT1_
                                        ; -- End function
	.set _ZN2at6native12_GLOBAL__N_125multi_tensor_apply_kernelINS1_18TensorListMetadataILi2EEENS1_21BinaryOpScalarFunctorIN3c108BFloat16ELi2ELi1ELi1EEEJSt4plusIfEfEEEvT_T0_DpT1_.num_vgpr, 34
	.set _ZN2at6native12_GLOBAL__N_125multi_tensor_apply_kernelINS1_18TensorListMetadataILi2EEENS1_21BinaryOpScalarFunctorIN3c108BFloat16ELi2ELi1ELi1EEEJSt4plusIfEfEEEvT_T0_DpT1_.num_agpr, 0
	.set _ZN2at6native12_GLOBAL__N_125multi_tensor_apply_kernelINS1_18TensorListMetadataILi2EEENS1_21BinaryOpScalarFunctorIN3c108BFloat16ELi2ELi1ELi1EEEJSt4plusIfEfEEEvT_T0_DpT1_.numbered_sgpr, 27
	.set _ZN2at6native12_GLOBAL__N_125multi_tensor_apply_kernelINS1_18TensorListMetadataILi2EEENS1_21BinaryOpScalarFunctorIN3c108BFloat16ELi2ELi1ELi1EEEJSt4plusIfEfEEEvT_T0_DpT1_.num_named_barrier, 0
	.set _ZN2at6native12_GLOBAL__N_125multi_tensor_apply_kernelINS1_18TensorListMetadataILi2EEENS1_21BinaryOpScalarFunctorIN3c108BFloat16ELi2ELi1ELi1EEEJSt4plusIfEfEEEvT_T0_DpT1_.private_seg_size, 0
	.set _ZN2at6native12_GLOBAL__N_125multi_tensor_apply_kernelINS1_18TensorListMetadataILi2EEENS1_21BinaryOpScalarFunctorIN3c108BFloat16ELi2ELi1ELi1EEEJSt4plusIfEfEEEvT_T0_DpT1_.uses_vcc, 1
	.set _ZN2at6native12_GLOBAL__N_125multi_tensor_apply_kernelINS1_18TensorListMetadataILi2EEENS1_21BinaryOpScalarFunctorIN3c108BFloat16ELi2ELi1ELi1EEEJSt4plusIfEfEEEvT_T0_DpT1_.uses_flat_scratch, 0
	.set _ZN2at6native12_GLOBAL__N_125multi_tensor_apply_kernelINS1_18TensorListMetadataILi2EEENS1_21BinaryOpScalarFunctorIN3c108BFloat16ELi2ELi1ELi1EEEJSt4plusIfEfEEEvT_T0_DpT1_.has_dyn_sized_stack, 0
	.set _ZN2at6native12_GLOBAL__N_125multi_tensor_apply_kernelINS1_18TensorListMetadataILi2EEENS1_21BinaryOpScalarFunctorIN3c108BFloat16ELi2ELi1ELi1EEEJSt4plusIfEfEEEvT_T0_DpT1_.has_recursion, 0
	.set _ZN2at6native12_GLOBAL__N_125multi_tensor_apply_kernelINS1_18TensorListMetadataILi2EEENS1_21BinaryOpScalarFunctorIN3c108BFloat16ELi2ELi1ELi1EEEJSt4plusIfEfEEEvT_T0_DpT1_.has_indirect_call, 0
	.section	.AMDGPU.csdata,"",@progbits
; Kernel info:
; codeLenInByte = 1468
; TotalNumSgprs: 33
; NumVgprs: 34
; NumAgprs: 0
; TotalNumVgprs: 34
; ScratchSize: 0
; MemoryBound: 0
; FloatMode: 240
; IeeeMode: 1
; LDSByteSize: 0 bytes/workgroup (compile time only)
; SGPRBlocks: 4
; VGPRBlocks: 4
; NumSGPRsForWavesPerEU: 33
; NumVGPRsForWavesPerEU: 34
; AccumOffset: 36
; Occupancy: 8
; WaveLimiterHint : 0
; COMPUTE_PGM_RSRC2:SCRATCH_EN: 0
; COMPUTE_PGM_RSRC2:USER_SGPR: 2
; COMPUTE_PGM_RSRC2:TRAP_HANDLER: 0
; COMPUTE_PGM_RSRC2:TGID_X_EN: 1
; COMPUTE_PGM_RSRC2:TGID_Y_EN: 0
; COMPUTE_PGM_RSRC2:TGID_Z_EN: 0
; COMPUTE_PGM_RSRC2:TIDIG_COMP_CNT: 0
; COMPUTE_PGM_RSRC3_GFX90A:ACCUM_OFFSET: 8
; COMPUTE_PGM_RSRC3_GFX90A:TG_SPLIT: 0
	.section	.text._ZN2at6native12_GLOBAL__N_125multi_tensor_apply_kernelINS1_18TensorListMetadataILi1EEENS1_21BinaryOpScalarFunctorIhLi1ELi1ELi0EEEJSt10multipliesIhEhEEEvT_T0_DpT1_,"axG",@progbits,_ZN2at6native12_GLOBAL__N_125multi_tensor_apply_kernelINS1_18TensorListMetadataILi1EEENS1_21BinaryOpScalarFunctorIhLi1ELi1ELi0EEEJSt10multipliesIhEhEEEvT_T0_DpT1_,comdat
	.globl	_ZN2at6native12_GLOBAL__N_125multi_tensor_apply_kernelINS1_18TensorListMetadataILi1EEENS1_21BinaryOpScalarFunctorIhLi1ELi1ELi0EEEJSt10multipliesIhEhEEEvT_T0_DpT1_ ; -- Begin function _ZN2at6native12_GLOBAL__N_125multi_tensor_apply_kernelINS1_18TensorListMetadataILi1EEENS1_21BinaryOpScalarFunctorIhLi1ELi1ELi0EEEJSt10multipliesIhEhEEEvT_T0_DpT1_
	.p2align	8
	.type	_ZN2at6native12_GLOBAL__N_125multi_tensor_apply_kernelINS1_18TensorListMetadataILi1EEENS1_21BinaryOpScalarFunctorIhLi1ELi1ELi0EEEJSt10multipliesIhEhEEEvT_T0_DpT1_,@function
_ZN2at6native12_GLOBAL__N_125multi_tensor_apply_kernelINS1_18TensorListMetadataILi1EEENS1_21BinaryOpScalarFunctorIhLi1ELi1ELi0EEEJSt10multipliesIhEhEEEvT_T0_DpT1_: ; @_ZN2at6native12_GLOBAL__N_125multi_tensor_apply_kernelINS1_18TensorListMetadataILi1EEENS1_21BinaryOpScalarFunctorIhLi1ELi1ELi0EEEJSt10multipliesIhEhEEEvT_T0_DpT1_
; %bb.0:
	v_mov_b32_e32 v1, s2
	global_load_ubyte v1, v1, s[0:1] offset:1760
	s_add_u32 s3, s0, s2
	s_mul_hi_u32 s4, s2, 3
	s_mul_i32 s2, s2, 3
	s_addc_u32 s5, s1, 0
	s_add_u32 s2, s3, s2
	s_addc_u32 s3, s5, s4
	s_load_dword s2, s[2:3], 0x820
	s_waitcnt vmcnt(0)
	v_readfirstlane_b32 s3, v1
	s_lshl_b32 s3, s3, 3
	s_load_dwordx2 s[4:5], s[0:1], s3 offset:0x370
	s_load_dword s20, s[0:1], 0xd28
	s_load_dwordx2 s[8:9], s[0:1], s3 offset:0x0
	s_waitcnt lgkmcnt(0)
	s_ashr_i32 s3, s2, 31
	s_lshl_b64 s[10:11], s[2:3], 16
	s_sub_u32 s12, s4, s10
	s_subb_u32 s13, s5, s11
	s_or_b32 s2, s4, s8
	s_and_b32 s2, s2, 3
	s_cmp_eq_u32 s2, 0
	s_cbranch_scc1 .LBB24_21
; %bb.1:
	v_cmp_lt_i64_e64 s[2:3], s[12:13], 1
	s_and_b64 vcc, exec, s[2:3]
	s_cbranch_vccnz .LBB24_20
; %bb.2:
	s_load_dword s2, s[0:1], 0xd3c
	v_mov_b64_e32 v[2:3], 0x10000
	v_cmp_lt_i64_e32 vcc, s[12:13], v[2:3]
	s_and_b64 s[4:5], vcc, exec
	s_cselect_b32 s5, s13, 0
	s_cselect_b32 s4, s12, 0x10000
	s_waitcnt lgkmcnt(0)
	s_and_b32 s2, s2, 0xffff
	v_cmp_lt_u64_e32 vcc, s[12:13], v[2:3]
	s_and_b64 s[6:7], vcc, exec
	s_cselect_b32 s15, s13, 0
	s_cselect_b32 s14, s12, 0x10000
	s_lshl_b32 s6, s2, 1
	s_mul_i32 s16, s2, 3
	s_lshl_b32 s21, s2, 2
	s_add_u32 s18, s10, s16
	s_addc_u32 s19, s11, 0
	s_mov_b32 s3, 0
	s_add_u32 s18, s8, s18
	v_mov_b32_e32 v1, 0
	s_mov_b32 s17, s3
	s_addc_u32 s19, s9, s19
	v_lshl_add_u64 v[6:7], s[16:17], 0, v[0:1]
	s_add_u32 s16, s10, s6
	s_addc_u32 s17, s11, 0
	s_add_u32 s16, s8, s16
	s_mov_b32 s7, s3
	s_addc_u32 s17, s9, s17
	v_lshl_add_u64 v[10:11], s[6:7], 0, v[0:1]
	s_add_u32 s6, s8, s2
	v_lshl_add_u64 v[12:13], s[10:11], 0, v[0:1]
	s_addc_u32 s7, s9, 0
	v_lshl_add_u64 v[2:3], s[8:9], 0, v[12:13]
	v_lshl_add_u64 v[4:5], s[18:19], 0, v[0:1]
	v_lshl_add_u64 v[8:9], s[16:17], 0, v[0:1]
	v_lshl_add_u64 v[12:13], s[6:7], 0, v[12:13]
	v_lshl_add_u64 v[14:15], v[0:1], 0, s[2:3]
	s_mov_b64 s[16:17], 0
	s_lshr_b32 s22, s20, 16
	v_mov_b64_e32 v[16:17], s[4:5]
	s_branch .LBB24_4
.LBB24_3:                               ;   in Loop: Header=BB24_4 Depth=1
	s_or_b64 exec, exec, s[2:3]
	s_add_u32 s16, s16, s21
	s_addc_u32 s17, s17, 0
	v_cmp_lt_i64_e32 vcc, s[16:17], v[16:17]
	s_cbranch_vccz .LBB24_20
.LBB24_4:                               ; =>This Inner Loop Header: Depth=1
	v_lshl_add_u64 v[18:19], v[0:1], 0, s[16:17]
	v_cmp_gt_u64_e32 vcc, s[14:15], v[18:19]
	v_lshl_add_u64 v[18:19], v[2:3], 0, s[16:17]
	s_waitcnt vmcnt(0)
	v_mov_b32_e32 v27, 0
	s_and_saveexec_b64 s[2:3], vcc
	s_cbranch_execz .LBB24_6
; %bb.5:                                ;   in Loop: Header=BB24_4 Depth=1
	global_load_ubyte v27, v[18:19], off
.LBB24_6:                               ;   in Loop: Header=BB24_4 Depth=1
	s_or_b64 exec, exec, s[2:3]
	v_lshl_add_u64 v[20:21], v[14:15], 0, s[16:17]
	v_cmp_gt_u64_e64 s[2:3], s[14:15], v[20:21]
	v_mov_b32_e32 v26, 0
	v_lshl_add_u64 v[20:21], v[12:13], 0, s[16:17]
	v_mov_b32_e32 v28, 0
	s_and_saveexec_b64 s[4:5], s[2:3]
	s_cbranch_execz .LBB24_8
; %bb.7:                                ;   in Loop: Header=BB24_4 Depth=1
	global_load_ubyte v28, v[20:21], off
.LBB24_8:                               ;   in Loop: Header=BB24_4 Depth=1
	s_or_b64 exec, exec, s[4:5]
	v_lshl_add_u64 v[22:23], v[10:11], 0, s[16:17]
	v_cmp_gt_u64_e64 s[4:5], s[14:15], v[22:23]
	v_lshl_add_u64 v[22:23], v[8:9], 0, s[16:17]
	s_and_saveexec_b64 s[6:7], s[4:5]
	s_cbranch_execz .LBB24_10
; %bb.9:                                ;   in Loop: Header=BB24_4 Depth=1
	global_load_ubyte v26, v[22:23], off
.LBB24_10:                              ;   in Loop: Header=BB24_4 Depth=1
	s_or_b64 exec, exec, s[6:7]
	v_lshl_add_u64 v[24:25], v[6:7], 0, s[16:17]
	v_cmp_gt_u64_e64 s[6:7], s[14:15], v[24:25]
	v_mov_b32_e32 v29, 0
	v_lshl_add_u64 v[24:25], v[4:5], 0, s[16:17]
	s_and_saveexec_b64 s[18:19], s[6:7]
	s_cbranch_execnz .LBB24_15
; %bb.11:                               ;   in Loop: Header=BB24_4 Depth=1
	s_or_b64 exec, exec, s[18:19]
	s_and_saveexec_b64 s[18:19], vcc
	s_cbranch_execnz .LBB24_16
.LBB24_12:                              ;   in Loop: Header=BB24_4 Depth=1
	s_or_b64 exec, exec, s[18:19]
	s_and_saveexec_b64 s[18:19], s[2:3]
	s_cbranch_execnz .LBB24_17
.LBB24_13:                              ;   in Loop: Header=BB24_4 Depth=1
	s_or_b64 exec, exec, s[18:19]
	s_and_saveexec_b64 s[2:3], s[4:5]
	s_cbranch_execnz .LBB24_18
.LBB24_14:                              ;   in Loop: Header=BB24_4 Depth=1
	s_or_b64 exec, exec, s[2:3]
	s_and_saveexec_b64 s[2:3], s[6:7]
	s_cbranch_execz .LBB24_3
	s_branch .LBB24_19
.LBB24_15:                              ;   in Loop: Header=BB24_4 Depth=1
	global_load_ubyte v29, v[24:25], off
	s_or_b64 exec, exec, s[18:19]
	s_and_saveexec_b64 s[18:19], vcc
	s_cbranch_execz .LBB24_12
.LBB24_16:                              ;   in Loop: Header=BB24_4 Depth=1
	s_waitcnt vmcnt(0)
	v_mul_lo_u16_e32 v27, s22, v27
	global_store_byte v[18:19], v27, off
	s_or_b64 exec, exec, s[18:19]
	s_and_saveexec_b64 s[18:19], s[2:3]
	s_cbranch_execz .LBB24_13
.LBB24_17:                              ;   in Loop: Header=BB24_4 Depth=1
	s_waitcnt vmcnt(0)
	v_mul_lo_u16_e32 v18, s22, v28
	global_store_byte v[20:21], v18, off
	s_or_b64 exec, exec, s[18:19]
	s_and_saveexec_b64 s[2:3], s[4:5]
	s_cbranch_execz .LBB24_14
.LBB24_18:                              ;   in Loop: Header=BB24_4 Depth=1
	s_waitcnt vmcnt(0)
	v_mul_lo_u16_e32 v18, s22, v26
	global_store_byte v[22:23], v18, off
	s_or_b64 exec, exec, s[2:3]
	s_and_saveexec_b64 s[2:3], s[6:7]
	s_cbranch_execz .LBB24_3
.LBB24_19:                              ;   in Loop: Header=BB24_4 Depth=1
	s_waitcnt vmcnt(0)
	v_mul_lo_u16_e32 v18, s22, v29
	global_store_byte v[24:25], v18, off
	s_branch .LBB24_3
.LBB24_20:
	s_cbranch_execz .LBB24_22
	s_branch .LBB24_25
.LBB24_21:
.LBB24_22:
	v_mov_b64_e32 v[4:5], 0x10000
	v_cmp_lt_i64_e32 vcc, s[12:13], v[4:5]
	s_and_b64 s[4:5], vcc, exec
	v_mov_b32_e32 v3, 0
	s_cselect_b32 s5, s13, 0
	s_cselect_b32 s4, s12, 0x10000
	v_lshlrev_b32_e32 v2, 2, v0
	s_mov_b32 s3, 0
	v_cmp_gt_i64_e32 vcc, s[4:5], v[2:3]
	s_and_saveexec_b64 s[6:7], vcc
	s_cbranch_execz .LBB24_25
; %bb.23:
	s_load_dword s0, s[0:1], 0xd3c
	v_mov_b32_e32 v1, v3
	s_mov_b32 s1, s3
	s_mov_b64 s[6:7], 0
	s_waitcnt lgkmcnt(0)
	s_and_b32 s2, s0, 0xffff
	s_add_u32 s8, s8, s10
	s_addc_u32 s9, s9, s11
	s_lshl_b32 s0, s2, 2
	v_lshl_add_u64 v[2:3], s[8:9], 0, v[2:3]
	s_lshr_b32 s8, s20, 16
	s_movk_i32 s9, 0xff
.LBB24_24:                              ; =>This Inner Loop Header: Depth=1
	global_load_dword v6, v[2:3], off
	v_lshl_add_u64 v[0:1], v[0:1], 0, s[2:3]
	v_lshlrev_b64 v[4:5], 2, v[0:1]
	v_cmp_le_i64_e32 vcc, s[4:5], v[4:5]
	s_or_b64 s[6:7], vcc, s[6:7]
	s_waitcnt vmcnt(0)
	v_mul_lo_u16_e32 v4, s8, v6
	v_lshrrev_b32_e32 v5, 8, v6
	v_mul_lo_u16_sdwa v7, s8, v6 dst_sel:DWORD dst_unused:UNUSED_PAD src0_sel:DWORD src1_sel:WORD_1
	v_mul_lo_u16_sdwa v6, s8, v6 dst_sel:BYTE_1 dst_unused:UNUSED_PAD src0_sel:DWORD src1_sel:BYTE_3
	v_mul_lo_u16_sdwa v5, s8, v5 dst_sel:BYTE_1 dst_unused:UNUSED_PAD src0_sel:DWORD src1_sel:DWORD
	v_bitop3_b16 v6, v7, v6, s9 bitop3:0xec
	v_lshlrev_b32_e32 v6, 16, v6
	v_bitop3_b16 v4, v4, v5, s9 bitop3:0xec
	v_or_b32_sdwa v4, v4, v6 dst_sel:DWORD dst_unused:UNUSED_PAD src0_sel:WORD_0 src1_sel:DWORD
	global_store_dword v[2:3], v4, off
	v_lshl_add_u64 v[2:3], v[2:3], 0, s[0:1]
	s_andn2_b64 exec, exec, s[6:7]
	s_cbranch_execnz .LBB24_24
.LBB24_25:
	s_endpgm
	.section	.rodata,"a",@progbits
	.p2align	6, 0x0
	.amdhsa_kernel _ZN2at6native12_GLOBAL__N_125multi_tensor_apply_kernelINS1_18TensorListMetadataILi1EEENS1_21BinaryOpScalarFunctorIhLi1ELi1ELi0EEEJSt10multipliesIhEhEEEvT_T0_DpT1_
		.amdhsa_group_segment_fixed_size 0
		.amdhsa_private_segment_fixed_size 0
		.amdhsa_kernarg_size 3632
		.amdhsa_user_sgpr_count 2
		.amdhsa_user_sgpr_dispatch_ptr 0
		.amdhsa_user_sgpr_queue_ptr 0
		.amdhsa_user_sgpr_kernarg_segment_ptr 1
		.amdhsa_user_sgpr_dispatch_id 0
		.amdhsa_user_sgpr_kernarg_preload_length 0
		.amdhsa_user_sgpr_kernarg_preload_offset 0
		.amdhsa_user_sgpr_private_segment_size 0
		.amdhsa_uses_dynamic_stack 0
		.amdhsa_enable_private_segment 0
		.amdhsa_system_sgpr_workgroup_id_x 1
		.amdhsa_system_sgpr_workgroup_id_y 0
		.amdhsa_system_sgpr_workgroup_id_z 0
		.amdhsa_system_sgpr_workgroup_info 0
		.amdhsa_system_vgpr_workitem_id 0
		.amdhsa_next_free_vgpr 30
		.amdhsa_next_free_sgpr 23
		.amdhsa_accum_offset 32
		.amdhsa_reserve_vcc 1
		.amdhsa_float_round_mode_32 0
		.amdhsa_float_round_mode_16_64 0
		.amdhsa_float_denorm_mode_32 3
		.amdhsa_float_denorm_mode_16_64 3
		.amdhsa_dx10_clamp 1
		.amdhsa_ieee_mode 1
		.amdhsa_fp16_overflow 0
		.amdhsa_tg_split 0
		.amdhsa_exception_fp_ieee_invalid_op 0
		.amdhsa_exception_fp_denorm_src 0
		.amdhsa_exception_fp_ieee_div_zero 0
		.amdhsa_exception_fp_ieee_overflow 0
		.amdhsa_exception_fp_ieee_underflow 0
		.amdhsa_exception_fp_ieee_inexact 0
		.amdhsa_exception_int_div_zero 0
	.end_amdhsa_kernel
	.section	.text._ZN2at6native12_GLOBAL__N_125multi_tensor_apply_kernelINS1_18TensorListMetadataILi1EEENS1_21BinaryOpScalarFunctorIhLi1ELi1ELi0EEEJSt10multipliesIhEhEEEvT_T0_DpT1_,"axG",@progbits,_ZN2at6native12_GLOBAL__N_125multi_tensor_apply_kernelINS1_18TensorListMetadataILi1EEENS1_21BinaryOpScalarFunctorIhLi1ELi1ELi0EEEJSt10multipliesIhEhEEEvT_T0_DpT1_,comdat
.Lfunc_end24:
	.size	_ZN2at6native12_GLOBAL__N_125multi_tensor_apply_kernelINS1_18TensorListMetadataILi1EEENS1_21BinaryOpScalarFunctorIhLi1ELi1ELi0EEEJSt10multipliesIhEhEEEvT_T0_DpT1_, .Lfunc_end24-_ZN2at6native12_GLOBAL__N_125multi_tensor_apply_kernelINS1_18TensorListMetadataILi1EEENS1_21BinaryOpScalarFunctorIhLi1ELi1ELi0EEEJSt10multipliesIhEhEEEvT_T0_DpT1_
                                        ; -- End function
	.set _ZN2at6native12_GLOBAL__N_125multi_tensor_apply_kernelINS1_18TensorListMetadataILi1EEENS1_21BinaryOpScalarFunctorIhLi1ELi1ELi0EEEJSt10multipliesIhEhEEEvT_T0_DpT1_.num_vgpr, 30
	.set _ZN2at6native12_GLOBAL__N_125multi_tensor_apply_kernelINS1_18TensorListMetadataILi1EEENS1_21BinaryOpScalarFunctorIhLi1ELi1ELi0EEEJSt10multipliesIhEhEEEvT_T0_DpT1_.num_agpr, 0
	.set _ZN2at6native12_GLOBAL__N_125multi_tensor_apply_kernelINS1_18TensorListMetadataILi1EEENS1_21BinaryOpScalarFunctorIhLi1ELi1ELi0EEEJSt10multipliesIhEhEEEvT_T0_DpT1_.numbered_sgpr, 23
	.set _ZN2at6native12_GLOBAL__N_125multi_tensor_apply_kernelINS1_18TensorListMetadataILi1EEENS1_21BinaryOpScalarFunctorIhLi1ELi1ELi0EEEJSt10multipliesIhEhEEEvT_T0_DpT1_.num_named_barrier, 0
	.set _ZN2at6native12_GLOBAL__N_125multi_tensor_apply_kernelINS1_18TensorListMetadataILi1EEENS1_21BinaryOpScalarFunctorIhLi1ELi1ELi0EEEJSt10multipliesIhEhEEEvT_T0_DpT1_.private_seg_size, 0
	.set _ZN2at6native12_GLOBAL__N_125multi_tensor_apply_kernelINS1_18TensorListMetadataILi1EEENS1_21BinaryOpScalarFunctorIhLi1ELi1ELi0EEEJSt10multipliesIhEhEEEvT_T0_DpT1_.uses_vcc, 1
	.set _ZN2at6native12_GLOBAL__N_125multi_tensor_apply_kernelINS1_18TensorListMetadataILi1EEENS1_21BinaryOpScalarFunctorIhLi1ELi1ELi0EEEJSt10multipliesIhEhEEEvT_T0_DpT1_.uses_flat_scratch, 0
	.set _ZN2at6native12_GLOBAL__N_125multi_tensor_apply_kernelINS1_18TensorListMetadataILi1EEENS1_21BinaryOpScalarFunctorIhLi1ELi1ELi0EEEJSt10multipliesIhEhEEEvT_T0_DpT1_.has_dyn_sized_stack, 0
	.set _ZN2at6native12_GLOBAL__N_125multi_tensor_apply_kernelINS1_18TensorListMetadataILi1EEENS1_21BinaryOpScalarFunctorIhLi1ELi1ELi0EEEJSt10multipliesIhEhEEEvT_T0_DpT1_.has_recursion, 0
	.set _ZN2at6native12_GLOBAL__N_125multi_tensor_apply_kernelINS1_18TensorListMetadataILi1EEENS1_21BinaryOpScalarFunctorIhLi1ELi1ELi0EEEJSt10multipliesIhEhEEEvT_T0_DpT1_.has_indirect_call, 0
	.section	.AMDGPU.csdata,"",@progbits
; Kernel info:
; codeLenInByte = 968
; TotalNumSgprs: 29
; NumVgprs: 30
; NumAgprs: 0
; TotalNumVgprs: 30
; ScratchSize: 0
; MemoryBound: 0
; FloatMode: 240
; IeeeMode: 1
; LDSByteSize: 0 bytes/workgroup (compile time only)
; SGPRBlocks: 3
; VGPRBlocks: 3
; NumSGPRsForWavesPerEU: 29
; NumVGPRsForWavesPerEU: 30
; AccumOffset: 32
; Occupancy: 8
; WaveLimiterHint : 0
; COMPUTE_PGM_RSRC2:SCRATCH_EN: 0
; COMPUTE_PGM_RSRC2:USER_SGPR: 2
; COMPUTE_PGM_RSRC2:TRAP_HANDLER: 0
; COMPUTE_PGM_RSRC2:TGID_X_EN: 1
; COMPUTE_PGM_RSRC2:TGID_Y_EN: 0
; COMPUTE_PGM_RSRC2:TGID_Z_EN: 0
; COMPUTE_PGM_RSRC2:TIDIG_COMP_CNT: 0
; COMPUTE_PGM_RSRC3_GFX90A:ACCUM_OFFSET: 7
; COMPUTE_PGM_RSRC3_GFX90A:TG_SPLIT: 0
	.section	.text._ZN2at6native12_GLOBAL__N_125multi_tensor_apply_kernelINS1_18TensorListMetadataILi1EEENS1_21BinaryOpScalarFunctorIaLi1ELi1ELi0EEEJSt10multipliesIaEaEEEvT_T0_DpT1_,"axG",@progbits,_ZN2at6native12_GLOBAL__N_125multi_tensor_apply_kernelINS1_18TensorListMetadataILi1EEENS1_21BinaryOpScalarFunctorIaLi1ELi1ELi0EEEJSt10multipliesIaEaEEEvT_T0_DpT1_,comdat
	.globl	_ZN2at6native12_GLOBAL__N_125multi_tensor_apply_kernelINS1_18TensorListMetadataILi1EEENS1_21BinaryOpScalarFunctorIaLi1ELi1ELi0EEEJSt10multipliesIaEaEEEvT_T0_DpT1_ ; -- Begin function _ZN2at6native12_GLOBAL__N_125multi_tensor_apply_kernelINS1_18TensorListMetadataILi1EEENS1_21BinaryOpScalarFunctorIaLi1ELi1ELi0EEEJSt10multipliesIaEaEEEvT_T0_DpT1_
	.p2align	8
	.type	_ZN2at6native12_GLOBAL__N_125multi_tensor_apply_kernelINS1_18TensorListMetadataILi1EEENS1_21BinaryOpScalarFunctorIaLi1ELi1ELi0EEEJSt10multipliesIaEaEEEvT_T0_DpT1_,@function
_ZN2at6native12_GLOBAL__N_125multi_tensor_apply_kernelINS1_18TensorListMetadataILi1EEENS1_21BinaryOpScalarFunctorIaLi1ELi1ELi0EEEJSt10multipliesIaEaEEEvT_T0_DpT1_: ; @_ZN2at6native12_GLOBAL__N_125multi_tensor_apply_kernelINS1_18TensorListMetadataILi1EEENS1_21BinaryOpScalarFunctorIaLi1ELi1ELi0EEEJSt10multipliesIaEaEEEvT_T0_DpT1_
; %bb.0:
	v_mov_b32_e32 v1, s2
	global_load_ubyte v1, v1, s[0:1] offset:1760
	s_add_u32 s3, s0, s2
	s_mul_hi_u32 s4, s2, 3
	s_mul_i32 s2, s2, 3
	s_addc_u32 s5, s1, 0
	s_add_u32 s2, s3, s2
	s_addc_u32 s3, s5, s4
	s_load_dword s2, s[2:3], 0x820
	s_waitcnt vmcnt(0)
	v_readfirstlane_b32 s3, v1
	s_lshl_b32 s3, s3, 3
	s_load_dwordx2 s[4:5], s[0:1], s3 offset:0x370
	s_load_dword s20, s[0:1], 0xd28
	s_load_dwordx2 s[8:9], s[0:1], s3 offset:0x0
	s_waitcnt lgkmcnt(0)
	s_ashr_i32 s3, s2, 31
	s_lshl_b64 s[10:11], s[2:3], 16
	s_sub_u32 s12, s4, s10
	s_subb_u32 s13, s5, s11
	s_or_b32 s2, s4, s8
	s_and_b32 s2, s2, 3
	s_cmp_eq_u32 s2, 0
	s_cbranch_scc1 .LBB25_21
; %bb.1:
	v_cmp_lt_i64_e64 s[2:3], s[12:13], 1
	s_and_b64 vcc, exec, s[2:3]
	s_cbranch_vccnz .LBB25_20
; %bb.2:
	s_load_dword s2, s[0:1], 0xd3c
	v_mov_b64_e32 v[2:3], 0x10000
	v_cmp_lt_i64_e32 vcc, s[12:13], v[2:3]
	s_and_b64 s[4:5], vcc, exec
	s_cselect_b32 s5, s13, 0
	s_cselect_b32 s4, s12, 0x10000
	s_waitcnt lgkmcnt(0)
	s_and_b32 s2, s2, 0xffff
	v_cmp_lt_u64_e32 vcc, s[12:13], v[2:3]
	s_and_b64 s[6:7], vcc, exec
	s_cselect_b32 s15, s13, 0
	s_cselect_b32 s14, s12, 0x10000
	s_lshl_b32 s6, s2, 1
	s_mul_i32 s16, s2, 3
	s_lshl_b32 s21, s2, 2
	s_add_u32 s18, s10, s16
	s_addc_u32 s19, s11, 0
	s_mov_b32 s3, 0
	s_add_u32 s18, s8, s18
	v_mov_b32_e32 v1, 0
	s_mov_b32 s17, s3
	s_addc_u32 s19, s9, s19
	v_lshl_add_u64 v[6:7], s[16:17], 0, v[0:1]
	s_add_u32 s16, s10, s6
	s_addc_u32 s17, s11, 0
	s_add_u32 s16, s8, s16
	s_mov_b32 s7, s3
	s_addc_u32 s17, s9, s17
	v_lshl_add_u64 v[10:11], s[6:7], 0, v[0:1]
	s_add_u32 s6, s8, s2
	v_lshl_add_u64 v[12:13], s[10:11], 0, v[0:1]
	s_addc_u32 s7, s9, 0
	v_lshl_add_u64 v[2:3], s[8:9], 0, v[12:13]
	v_lshl_add_u64 v[4:5], s[18:19], 0, v[0:1]
	;; [unrolled: 1-line block ×5, first 2 shown]
	s_mov_b64 s[16:17], 0
	s_lshr_b32 s22, s20, 16
	v_mov_b64_e32 v[16:17], s[4:5]
	s_branch .LBB25_4
.LBB25_3:                               ;   in Loop: Header=BB25_4 Depth=1
	s_or_b64 exec, exec, s[2:3]
	s_add_u32 s16, s16, s21
	s_addc_u32 s17, s17, 0
	v_cmp_lt_i64_e32 vcc, s[16:17], v[16:17]
	s_cbranch_vccz .LBB25_20
.LBB25_4:                               ; =>This Inner Loop Header: Depth=1
	v_lshl_add_u64 v[18:19], v[0:1], 0, s[16:17]
	v_cmp_gt_u64_e32 vcc, s[14:15], v[18:19]
	v_lshl_add_u64 v[18:19], v[2:3], 0, s[16:17]
	s_waitcnt vmcnt(0)
	v_mov_b32_e32 v27, 0
	s_and_saveexec_b64 s[2:3], vcc
	s_cbranch_execz .LBB25_6
; %bb.5:                                ;   in Loop: Header=BB25_4 Depth=1
	global_load_ubyte v27, v[18:19], off
.LBB25_6:                               ;   in Loop: Header=BB25_4 Depth=1
	s_or_b64 exec, exec, s[2:3]
	v_lshl_add_u64 v[20:21], v[14:15], 0, s[16:17]
	v_cmp_gt_u64_e64 s[2:3], s[14:15], v[20:21]
	v_mov_b32_e32 v26, 0
	v_lshl_add_u64 v[20:21], v[12:13], 0, s[16:17]
	v_mov_b32_e32 v28, 0
	s_and_saveexec_b64 s[4:5], s[2:3]
	s_cbranch_execz .LBB25_8
; %bb.7:                                ;   in Loop: Header=BB25_4 Depth=1
	global_load_ubyte v28, v[20:21], off
.LBB25_8:                               ;   in Loop: Header=BB25_4 Depth=1
	s_or_b64 exec, exec, s[4:5]
	v_lshl_add_u64 v[22:23], v[10:11], 0, s[16:17]
	v_cmp_gt_u64_e64 s[4:5], s[14:15], v[22:23]
	v_lshl_add_u64 v[22:23], v[8:9], 0, s[16:17]
	s_and_saveexec_b64 s[6:7], s[4:5]
	s_cbranch_execz .LBB25_10
; %bb.9:                                ;   in Loop: Header=BB25_4 Depth=1
	global_load_ubyte v26, v[22:23], off
.LBB25_10:                              ;   in Loop: Header=BB25_4 Depth=1
	s_or_b64 exec, exec, s[6:7]
	v_lshl_add_u64 v[24:25], v[6:7], 0, s[16:17]
	v_cmp_gt_u64_e64 s[6:7], s[14:15], v[24:25]
	v_mov_b32_e32 v29, 0
	v_lshl_add_u64 v[24:25], v[4:5], 0, s[16:17]
	s_and_saveexec_b64 s[18:19], s[6:7]
	s_cbranch_execnz .LBB25_15
; %bb.11:                               ;   in Loop: Header=BB25_4 Depth=1
	s_or_b64 exec, exec, s[18:19]
	s_and_saveexec_b64 s[18:19], vcc
	s_cbranch_execnz .LBB25_16
.LBB25_12:                              ;   in Loop: Header=BB25_4 Depth=1
	s_or_b64 exec, exec, s[18:19]
	s_and_saveexec_b64 s[18:19], s[2:3]
	s_cbranch_execnz .LBB25_17
.LBB25_13:                              ;   in Loop: Header=BB25_4 Depth=1
	s_or_b64 exec, exec, s[18:19]
	s_and_saveexec_b64 s[2:3], s[4:5]
	s_cbranch_execnz .LBB25_18
.LBB25_14:                              ;   in Loop: Header=BB25_4 Depth=1
	s_or_b64 exec, exec, s[2:3]
	s_and_saveexec_b64 s[2:3], s[6:7]
	s_cbranch_execz .LBB25_3
	s_branch .LBB25_19
.LBB25_15:                              ;   in Loop: Header=BB25_4 Depth=1
	global_load_ubyte v29, v[24:25], off
	s_or_b64 exec, exec, s[18:19]
	s_and_saveexec_b64 s[18:19], vcc
	s_cbranch_execz .LBB25_12
.LBB25_16:                              ;   in Loop: Header=BB25_4 Depth=1
	s_waitcnt vmcnt(0)
	v_mul_lo_u16_e32 v27, s22, v27
	global_store_byte v[18:19], v27, off
	s_or_b64 exec, exec, s[18:19]
	s_and_saveexec_b64 s[18:19], s[2:3]
	s_cbranch_execz .LBB25_13
.LBB25_17:                              ;   in Loop: Header=BB25_4 Depth=1
	s_waitcnt vmcnt(0)
	v_mul_lo_u16_e32 v18, s22, v28
	global_store_byte v[20:21], v18, off
	s_or_b64 exec, exec, s[18:19]
	s_and_saveexec_b64 s[2:3], s[4:5]
	s_cbranch_execz .LBB25_14
.LBB25_18:                              ;   in Loop: Header=BB25_4 Depth=1
	s_waitcnt vmcnt(0)
	v_mul_lo_u16_e32 v18, s22, v26
	global_store_byte v[22:23], v18, off
	s_or_b64 exec, exec, s[2:3]
	s_and_saveexec_b64 s[2:3], s[6:7]
	s_cbranch_execz .LBB25_3
.LBB25_19:                              ;   in Loop: Header=BB25_4 Depth=1
	s_waitcnt vmcnt(0)
	v_mul_lo_u16_e32 v18, s22, v29
	global_store_byte v[24:25], v18, off
	s_branch .LBB25_3
.LBB25_20:
	s_cbranch_execz .LBB25_22
	s_branch .LBB25_25
.LBB25_21:
.LBB25_22:
	v_mov_b64_e32 v[4:5], 0x10000
	v_cmp_lt_i64_e32 vcc, s[12:13], v[4:5]
	s_and_b64 s[4:5], vcc, exec
	v_mov_b32_e32 v3, 0
	s_cselect_b32 s5, s13, 0
	s_cselect_b32 s4, s12, 0x10000
	v_lshlrev_b32_e32 v2, 2, v0
	s_mov_b32 s3, 0
	v_cmp_gt_i64_e32 vcc, s[4:5], v[2:3]
	s_and_saveexec_b64 s[6:7], vcc
	s_cbranch_execz .LBB25_25
; %bb.23:
	s_load_dword s0, s[0:1], 0xd3c
	v_mov_b32_e32 v1, v3
	s_mov_b32 s1, s3
	s_mov_b64 s[6:7], 0
	s_waitcnt lgkmcnt(0)
	s_and_b32 s2, s0, 0xffff
	s_add_u32 s8, s8, s10
	s_addc_u32 s9, s9, s11
	s_lshl_b32 s0, s2, 2
	v_lshl_add_u64 v[2:3], s[8:9], 0, v[2:3]
	s_lshr_b32 s8, s20, 16
	s_movk_i32 s9, 0xff
.LBB25_24:                              ; =>This Inner Loop Header: Depth=1
	global_load_dword v6, v[2:3], off
	v_lshl_add_u64 v[0:1], v[0:1], 0, s[2:3]
	v_lshlrev_b64 v[4:5], 2, v[0:1]
	v_cmp_le_i64_e32 vcc, s[4:5], v[4:5]
	s_or_b64 s[6:7], vcc, s[6:7]
	s_waitcnt vmcnt(0)
	v_mul_lo_u16_e32 v4, s8, v6
	v_lshrrev_b32_e32 v5, 8, v6
	v_mul_lo_u16_sdwa v7, s8, v6 dst_sel:DWORD dst_unused:UNUSED_PAD src0_sel:DWORD src1_sel:WORD_1
	v_mul_lo_u16_sdwa v6, s8, v6 dst_sel:BYTE_1 dst_unused:UNUSED_PAD src0_sel:DWORD src1_sel:BYTE_3
	v_mul_lo_u16_sdwa v5, s8, v5 dst_sel:BYTE_1 dst_unused:UNUSED_PAD src0_sel:DWORD src1_sel:DWORD
	v_bitop3_b16 v6, v7, v6, s9 bitop3:0xec
	v_lshlrev_b32_e32 v6, 16, v6
	v_bitop3_b16 v4, v4, v5, s9 bitop3:0xec
	v_or_b32_sdwa v4, v4, v6 dst_sel:DWORD dst_unused:UNUSED_PAD src0_sel:WORD_0 src1_sel:DWORD
	global_store_dword v[2:3], v4, off
	v_lshl_add_u64 v[2:3], v[2:3], 0, s[0:1]
	s_andn2_b64 exec, exec, s[6:7]
	s_cbranch_execnz .LBB25_24
.LBB25_25:
	s_endpgm
	.section	.rodata,"a",@progbits
	.p2align	6, 0x0
	.amdhsa_kernel _ZN2at6native12_GLOBAL__N_125multi_tensor_apply_kernelINS1_18TensorListMetadataILi1EEENS1_21BinaryOpScalarFunctorIaLi1ELi1ELi0EEEJSt10multipliesIaEaEEEvT_T0_DpT1_
		.amdhsa_group_segment_fixed_size 0
		.amdhsa_private_segment_fixed_size 0
		.amdhsa_kernarg_size 3632
		.amdhsa_user_sgpr_count 2
		.amdhsa_user_sgpr_dispatch_ptr 0
		.amdhsa_user_sgpr_queue_ptr 0
		.amdhsa_user_sgpr_kernarg_segment_ptr 1
		.amdhsa_user_sgpr_dispatch_id 0
		.amdhsa_user_sgpr_kernarg_preload_length 0
		.amdhsa_user_sgpr_kernarg_preload_offset 0
		.amdhsa_user_sgpr_private_segment_size 0
		.amdhsa_uses_dynamic_stack 0
		.amdhsa_enable_private_segment 0
		.amdhsa_system_sgpr_workgroup_id_x 1
		.amdhsa_system_sgpr_workgroup_id_y 0
		.amdhsa_system_sgpr_workgroup_id_z 0
		.amdhsa_system_sgpr_workgroup_info 0
		.amdhsa_system_vgpr_workitem_id 0
		.amdhsa_next_free_vgpr 30
		.amdhsa_next_free_sgpr 23
		.amdhsa_accum_offset 32
		.amdhsa_reserve_vcc 1
		.amdhsa_float_round_mode_32 0
		.amdhsa_float_round_mode_16_64 0
		.amdhsa_float_denorm_mode_32 3
		.amdhsa_float_denorm_mode_16_64 3
		.amdhsa_dx10_clamp 1
		.amdhsa_ieee_mode 1
		.amdhsa_fp16_overflow 0
		.amdhsa_tg_split 0
		.amdhsa_exception_fp_ieee_invalid_op 0
		.amdhsa_exception_fp_denorm_src 0
		.amdhsa_exception_fp_ieee_div_zero 0
		.amdhsa_exception_fp_ieee_overflow 0
		.amdhsa_exception_fp_ieee_underflow 0
		.amdhsa_exception_fp_ieee_inexact 0
		.amdhsa_exception_int_div_zero 0
	.end_amdhsa_kernel
	.section	.text._ZN2at6native12_GLOBAL__N_125multi_tensor_apply_kernelINS1_18TensorListMetadataILi1EEENS1_21BinaryOpScalarFunctorIaLi1ELi1ELi0EEEJSt10multipliesIaEaEEEvT_T0_DpT1_,"axG",@progbits,_ZN2at6native12_GLOBAL__N_125multi_tensor_apply_kernelINS1_18TensorListMetadataILi1EEENS1_21BinaryOpScalarFunctorIaLi1ELi1ELi0EEEJSt10multipliesIaEaEEEvT_T0_DpT1_,comdat
.Lfunc_end25:
	.size	_ZN2at6native12_GLOBAL__N_125multi_tensor_apply_kernelINS1_18TensorListMetadataILi1EEENS1_21BinaryOpScalarFunctorIaLi1ELi1ELi0EEEJSt10multipliesIaEaEEEvT_T0_DpT1_, .Lfunc_end25-_ZN2at6native12_GLOBAL__N_125multi_tensor_apply_kernelINS1_18TensorListMetadataILi1EEENS1_21BinaryOpScalarFunctorIaLi1ELi1ELi0EEEJSt10multipliesIaEaEEEvT_T0_DpT1_
                                        ; -- End function
	.set _ZN2at6native12_GLOBAL__N_125multi_tensor_apply_kernelINS1_18TensorListMetadataILi1EEENS1_21BinaryOpScalarFunctorIaLi1ELi1ELi0EEEJSt10multipliesIaEaEEEvT_T0_DpT1_.num_vgpr, 30
	.set _ZN2at6native12_GLOBAL__N_125multi_tensor_apply_kernelINS1_18TensorListMetadataILi1EEENS1_21BinaryOpScalarFunctorIaLi1ELi1ELi0EEEJSt10multipliesIaEaEEEvT_T0_DpT1_.num_agpr, 0
	.set _ZN2at6native12_GLOBAL__N_125multi_tensor_apply_kernelINS1_18TensorListMetadataILi1EEENS1_21BinaryOpScalarFunctorIaLi1ELi1ELi0EEEJSt10multipliesIaEaEEEvT_T0_DpT1_.numbered_sgpr, 23
	.set _ZN2at6native12_GLOBAL__N_125multi_tensor_apply_kernelINS1_18TensorListMetadataILi1EEENS1_21BinaryOpScalarFunctorIaLi1ELi1ELi0EEEJSt10multipliesIaEaEEEvT_T0_DpT1_.num_named_barrier, 0
	.set _ZN2at6native12_GLOBAL__N_125multi_tensor_apply_kernelINS1_18TensorListMetadataILi1EEENS1_21BinaryOpScalarFunctorIaLi1ELi1ELi0EEEJSt10multipliesIaEaEEEvT_T0_DpT1_.private_seg_size, 0
	.set _ZN2at6native12_GLOBAL__N_125multi_tensor_apply_kernelINS1_18TensorListMetadataILi1EEENS1_21BinaryOpScalarFunctorIaLi1ELi1ELi0EEEJSt10multipliesIaEaEEEvT_T0_DpT1_.uses_vcc, 1
	.set _ZN2at6native12_GLOBAL__N_125multi_tensor_apply_kernelINS1_18TensorListMetadataILi1EEENS1_21BinaryOpScalarFunctorIaLi1ELi1ELi0EEEJSt10multipliesIaEaEEEvT_T0_DpT1_.uses_flat_scratch, 0
	.set _ZN2at6native12_GLOBAL__N_125multi_tensor_apply_kernelINS1_18TensorListMetadataILi1EEENS1_21BinaryOpScalarFunctorIaLi1ELi1ELi0EEEJSt10multipliesIaEaEEEvT_T0_DpT1_.has_dyn_sized_stack, 0
	.set _ZN2at6native12_GLOBAL__N_125multi_tensor_apply_kernelINS1_18TensorListMetadataILi1EEENS1_21BinaryOpScalarFunctorIaLi1ELi1ELi0EEEJSt10multipliesIaEaEEEvT_T0_DpT1_.has_recursion, 0
	.set _ZN2at6native12_GLOBAL__N_125multi_tensor_apply_kernelINS1_18TensorListMetadataILi1EEENS1_21BinaryOpScalarFunctorIaLi1ELi1ELi0EEEJSt10multipliesIaEaEEEvT_T0_DpT1_.has_indirect_call, 0
	.section	.AMDGPU.csdata,"",@progbits
; Kernel info:
; codeLenInByte = 968
; TotalNumSgprs: 29
; NumVgprs: 30
; NumAgprs: 0
; TotalNumVgprs: 30
; ScratchSize: 0
; MemoryBound: 0
; FloatMode: 240
; IeeeMode: 1
; LDSByteSize: 0 bytes/workgroup (compile time only)
; SGPRBlocks: 3
; VGPRBlocks: 3
; NumSGPRsForWavesPerEU: 29
; NumVGPRsForWavesPerEU: 30
; AccumOffset: 32
; Occupancy: 8
; WaveLimiterHint : 0
; COMPUTE_PGM_RSRC2:SCRATCH_EN: 0
; COMPUTE_PGM_RSRC2:USER_SGPR: 2
; COMPUTE_PGM_RSRC2:TRAP_HANDLER: 0
; COMPUTE_PGM_RSRC2:TGID_X_EN: 1
; COMPUTE_PGM_RSRC2:TGID_Y_EN: 0
; COMPUTE_PGM_RSRC2:TGID_Z_EN: 0
; COMPUTE_PGM_RSRC2:TIDIG_COMP_CNT: 0
; COMPUTE_PGM_RSRC3_GFX90A:ACCUM_OFFSET: 7
; COMPUTE_PGM_RSRC3_GFX90A:TG_SPLIT: 0
	.section	.text._ZN2at6native12_GLOBAL__N_125multi_tensor_apply_kernelINS1_18TensorListMetadataILi1EEENS1_21BinaryOpScalarFunctorIiLi1ELi1ELi0EEEJSt10multipliesIiEiEEEvT_T0_DpT1_,"axG",@progbits,_ZN2at6native12_GLOBAL__N_125multi_tensor_apply_kernelINS1_18TensorListMetadataILi1EEENS1_21BinaryOpScalarFunctorIiLi1ELi1ELi0EEEJSt10multipliesIiEiEEEvT_T0_DpT1_,comdat
	.globl	_ZN2at6native12_GLOBAL__N_125multi_tensor_apply_kernelINS1_18TensorListMetadataILi1EEENS1_21BinaryOpScalarFunctorIiLi1ELi1ELi0EEEJSt10multipliesIiEiEEEvT_T0_DpT1_ ; -- Begin function _ZN2at6native12_GLOBAL__N_125multi_tensor_apply_kernelINS1_18TensorListMetadataILi1EEENS1_21BinaryOpScalarFunctorIiLi1ELi1ELi0EEEJSt10multipliesIiEiEEEvT_T0_DpT1_
	.p2align	8
	.type	_ZN2at6native12_GLOBAL__N_125multi_tensor_apply_kernelINS1_18TensorListMetadataILi1EEENS1_21BinaryOpScalarFunctorIiLi1ELi1ELi0EEEJSt10multipliesIiEiEEEvT_T0_DpT1_,@function
_ZN2at6native12_GLOBAL__N_125multi_tensor_apply_kernelINS1_18TensorListMetadataILi1EEENS1_21BinaryOpScalarFunctorIiLi1ELi1ELi0EEEJSt10multipliesIiEiEEEvT_T0_DpT1_: ; @_ZN2at6native12_GLOBAL__N_125multi_tensor_apply_kernelINS1_18TensorListMetadataILi1EEENS1_21BinaryOpScalarFunctorIiLi1ELi1ELi0EEEJSt10multipliesIiEiEEEvT_T0_DpT1_
; %bb.0:
	v_mov_b32_e32 v1, s2
	global_load_ubyte v1, v1, s[0:1] offset:1760
	s_add_u32 s3, s0, s2
	s_mul_hi_u32 s4, s2, 3
	s_mul_i32 s2, s2, 3
	s_addc_u32 s5, s1, 0
	s_add_u32 s2, s3, s2
	s_addc_u32 s3, s5, s4
	s_load_dword s2, s[2:3], 0x820
	s_mov_b32 s7, 0
	s_waitcnt vmcnt(0)
	v_readfirstlane_b32 s3, v1
	s_lshl_b32 s3, s3, 3
	s_load_dword s10, s[0:1], 0xd2c
	s_load_dwordx2 s[4:5], s[0:1], s3 offset:0x370
	s_load_dwordx2 s[8:9], s[0:1], s3 offset:0x0
	s_waitcnt lgkmcnt(0)
	s_ashr_i32 s3, s2, 31
	s_lshl_b64 s[12:13], s[2:3], 18
	s_lshl_b64 s[2:3], s[2:3], 16
	s_and_b32 s6, s8, 15
	s_sub_u32 s14, s4, s2
	s_subb_u32 s15, s5, s3
	s_and_b32 s2, s4, 3
	s_mov_b32 s3, s7
	s_or_b64 s[2:3], s[6:7], s[2:3]
	s_cmp_eq_u64 s[2:3], 0
	s_cbranch_scc1 .LBB26_21
; %bb.1:
	v_cmp_lt_i64_e64 s[2:3], s[14:15], 1
	s_and_b64 vcc, exec, s[2:3]
	s_cbranch_vccnz .LBB26_20
; %bb.2:
	s_load_dword s2, s[0:1], 0xd3c
	v_mov_b64_e32 v[2:3], 0x10000
	v_cmp_lt_i64_e32 vcc, s[14:15], v[2:3]
	s_and_b64 s[4:5], vcc, exec
	s_cselect_b32 s5, s15, 0
	s_cselect_b32 s4, s14, 0x10000
	s_waitcnt lgkmcnt(0)
	s_and_b32 s2, s2, 0xffff
	v_cmp_lt_u64_e32 vcc, s[14:15], v[2:3]
	s_and_b64 s[6:7], vcc, exec
	s_mov_b32 s3, 0
	v_mov_b32_e32 v1, 0
	s_cselect_b32 s17, s15, 0
	s_cselect_b32 s16, s14, 0x10000
	s_lshl_b32 s6, s2, 1
	s_lshl_b32 s11, s2, 2
	s_add_u32 s24, s8, s12
	v_lshl_add_u64 v[8:9], v[0:1], 0, s[2:3]
	s_mov_b32 s7, s3
	s_mul_i32 s22, s2, 3
	s_mov_b32 s23, s3
	v_lshlrev_b32_e32 v2, 2, v0
	v_mov_b32_e32 v3, v1
	s_addc_u32 s25, s9, s13
	v_lshlrev_b32_e32 v10, 2, v8
	v_mov_b32_e32 v11, v1
	v_lshl_add_u64 v[2:3], s[24:25], 0, v[2:3]
	s_lshl_b32 s18, s2, 4
	s_mov_b32 s19, s3
	s_mul_i32 s20, s2, 12
	s_mov_b32 s21, s3
	v_lshl_add_u64 v[4:5], s[22:23], 0, v[0:1]
	s_lshl_b32 s22, s2, 3
	v_lshl_add_u64 v[6:7], s[6:7], 0, v[0:1]
	v_lshl_add_u64 v[10:11], s[24:25], 0, v[10:11]
	s_mov_b64 s[24:25], 0
	v_mov_b64_e32 v[12:13], s[4:5]
	s_branch .LBB26_4
.LBB26_3:                               ;   in Loop: Header=BB26_4 Depth=1
	s_or_b64 exec, exec, s[2:3]
	s_add_u32 s24, s24, s11
	s_addc_u32 s25, s25, 0
	v_cmp_lt_i64_e32 vcc, s[24:25], v[12:13]
	v_lshl_add_u64 v[2:3], v[2:3], 0, s[18:19]
	v_lshl_add_u64 v[10:11], v[10:11], 0, s[18:19]
	s_cbranch_vccz .LBB26_20
.LBB26_4:                               ; =>This Inner Loop Header: Depth=1
	v_lshl_add_u64 v[14:15], v[0:1], 0, s[24:25]
	v_cmp_gt_u64_e32 vcc, s[16:17], v[14:15]
	s_waitcnt vmcnt(0)
	v_mov_b32_e32 v19, 0
	s_and_saveexec_b64 s[2:3], vcc
	s_cbranch_execz .LBB26_6
; %bb.5:                                ;   in Loop: Header=BB26_4 Depth=1
	global_load_dword v19, v[2:3], off
.LBB26_6:                               ;   in Loop: Header=BB26_4 Depth=1
	s_or_b64 exec, exec, s[2:3]
	v_lshl_add_u64 v[14:15], v[8:9], 0, s[24:25]
	v_cmp_gt_u64_e64 s[2:3], s[16:17], v[14:15]
	v_mov_b32_e32 v18, 0
	v_mov_b32_e32 v20, 0
	s_and_saveexec_b64 s[4:5], s[2:3]
	s_cbranch_execz .LBB26_8
; %bb.7:                                ;   in Loop: Header=BB26_4 Depth=1
	global_load_dword v20, v[10:11], off
.LBB26_8:                               ;   in Loop: Header=BB26_4 Depth=1
	s_or_b64 exec, exec, s[4:5]
	v_lshl_add_u64 v[14:15], v[6:7], 0, s[24:25]
	v_cmp_gt_u64_e64 s[4:5], s[16:17], v[14:15]
	v_lshl_add_u64 v[14:15], v[2:3], 0, s[22:23]
	s_and_saveexec_b64 s[6:7], s[4:5]
	s_cbranch_execz .LBB26_10
; %bb.9:                                ;   in Loop: Header=BB26_4 Depth=1
	global_load_dword v18, v[14:15], off
.LBB26_10:                              ;   in Loop: Header=BB26_4 Depth=1
	s_or_b64 exec, exec, s[6:7]
	v_lshl_add_u64 v[16:17], v[4:5], 0, s[24:25]
	v_cmp_gt_u64_e64 s[6:7], s[16:17], v[16:17]
	v_mov_b32_e32 v21, 0
	v_lshl_add_u64 v[16:17], v[2:3], 0, s[20:21]
	s_and_saveexec_b64 s[26:27], s[6:7]
	s_cbranch_execnz .LBB26_15
; %bb.11:                               ;   in Loop: Header=BB26_4 Depth=1
	s_or_b64 exec, exec, s[26:27]
	s_and_saveexec_b64 s[26:27], vcc
	s_cbranch_execnz .LBB26_16
.LBB26_12:                              ;   in Loop: Header=BB26_4 Depth=1
	s_or_b64 exec, exec, s[26:27]
	s_and_saveexec_b64 s[26:27], s[2:3]
	s_cbranch_execnz .LBB26_17
.LBB26_13:                              ;   in Loop: Header=BB26_4 Depth=1
	s_or_b64 exec, exec, s[26:27]
	s_and_saveexec_b64 s[2:3], s[4:5]
	s_cbranch_execnz .LBB26_18
.LBB26_14:                              ;   in Loop: Header=BB26_4 Depth=1
	s_or_b64 exec, exec, s[2:3]
	s_and_saveexec_b64 s[2:3], s[6:7]
	s_cbranch_execz .LBB26_3
	s_branch .LBB26_19
.LBB26_15:                              ;   in Loop: Header=BB26_4 Depth=1
	global_load_dword v21, v[16:17], off
	s_or_b64 exec, exec, s[26:27]
	s_and_saveexec_b64 s[26:27], vcc
	s_cbranch_execz .LBB26_12
.LBB26_16:                              ;   in Loop: Header=BB26_4 Depth=1
	s_waitcnt vmcnt(0)
	v_mul_lo_u32 v19, v19, s10
	global_store_dword v[2:3], v19, off
	s_or_b64 exec, exec, s[26:27]
	s_and_saveexec_b64 s[26:27], s[2:3]
	s_cbranch_execz .LBB26_13
.LBB26_17:                              ;   in Loop: Header=BB26_4 Depth=1
	s_waitcnt vmcnt(0)
	v_mul_lo_u32 v19, v20, s10
	global_store_dword v[10:11], v19, off
	s_or_b64 exec, exec, s[26:27]
	s_and_saveexec_b64 s[2:3], s[4:5]
	s_cbranch_execz .LBB26_14
.LBB26_18:                              ;   in Loop: Header=BB26_4 Depth=1
	s_waitcnt vmcnt(0)
	v_mul_lo_u32 v18, v18, s10
	global_store_dword v[14:15], v18, off
	s_or_b64 exec, exec, s[2:3]
	s_and_saveexec_b64 s[2:3], s[6:7]
	s_cbranch_execz .LBB26_3
.LBB26_19:                              ;   in Loop: Header=BB26_4 Depth=1
	s_waitcnt vmcnt(0)
	v_mul_lo_u32 v14, v21, s10
	global_store_dword v[16:17], v14, off
	s_branch .LBB26_3
.LBB26_20:
	s_cbranch_execz .LBB26_22
	s_branch .LBB26_32
.LBB26_21:
.LBB26_22:
	v_mov_b64_e32 v[4:5], 0x10000
	v_cmp_lt_i64_e32 vcc, s[14:15], v[4:5]
	s_and_b64 s[2:3], vcc, exec
	v_mov_b32_e32 v3, 0
	s_cselect_b32 s3, s15, 0
	s_cselect_b32 s2, s14, 0x10000
	v_lshlrev_b32_e32 v2, 2, v0
	s_mov_b32 s4, 0
	v_cmp_gt_i64_e32 vcc, s[2:3], v[2:3]
	s_and_saveexec_b64 s[6:7], vcc
	s_cbranch_execz .LBB26_32
; %bb.23:
	v_add_u32_e32 v4, 4, v2
	v_mov_b32_e32 v5, v3
	v_mov_b32_e32 v6, s3
	v_cmp_gt_i64_e32 vcc, s[2:3], v[4:5]
	s_load_dword s0, s[0:1], 0xd3c
	v_mov_b32_e32 v1, v3
	v_cndmask_b32_e32 v5, 0, v6, vcc
	v_mov_b32_e32 v6, s2
	v_cndmask_b32_e32 v4, v4, v6, vcc
	v_lshl_add_u64 v[4:5], v[4:5], 0, -4
	v_cmp_ne_u64_e32 vcc, v[4:5], v[2:3]
	s_waitcnt lgkmcnt(0)
	s_and_b32 s0, s0, 0xffff
	v_mov_b32_e32 v7, s4
	v_cndmask_b32_e64 v6, 0, 1, vcc
	v_or_b32_e32 v2, v2, v6
	v_sub_co_u32_e32 v2, vcc, v4, v2
	s_cmp_lg_u32 s0, 1
	s_nop 0
	v_subbrev_co_u32_e32 v3, vcc, 0, v5, vcc
	v_lshrrev_b64 v[2:3], 2, v[2:3]
	v_lshl_add_u64 v[4:5], v[2:3], 0, v[6:7]
	v_cmp_eq_u64_e32 vcc, 0, v[4:5]
	s_cselect_b64 s[6:7], -1, 0
	s_mov_b64 s[4:5], 0
	s_or_b64 s[6:7], vcc, s[6:7]
	s_and_saveexec_b64 s[14:15], s[6:7]
	s_xor_b64 s[6:7], exec, s[14:15]
	s_cbranch_execnz .LBB26_26
; %bb.24:
	s_or_saveexec_b64 s[6:7], s[6:7]
	v_mov_b64_e32 v[2:3], s[10:11]
	s_xor_b64 exec, exec, s[6:7]
	s_cbranch_execnz .LBB26_27
.LBB26_25:
	s_or_b64 exec, exec, s[6:7]
	s_and_b64 exec, exec, s[4:5]
	s_cbranch_execnz .LBB26_30
	s_branch .LBB26_32
.LBB26_26:
	s_mov_b64 s[4:5], exec
                                        ; implicit-def: $vgpr4_vgpr5
	s_or_saveexec_b64 s[6:7], s[6:7]
	v_mov_b64_e32 v[2:3], s[10:11]
	s_xor_b64 exec, exec, s[6:7]
	s_cbranch_execz .LBB26_25
.LBB26_27:
	s_add_u32 s14, s8, s12
	v_lshl_add_u64 v[2:3], v[4:5], 0, 1
	v_lshlrev_b32_e32 v6, 4, v0
	v_mov_b32_e32 v7, 0
	s_addc_u32 s15, s9, s13
	v_and_b32_e32 v4, -2, v2
	v_mov_b32_e32 v5, v3
	v_lshl_add_u64 v[6:7], s[14:15], 0, v[6:7]
	s_mov_b32 s1, s10
	v_lshl_add_u64 v[6:7], v[6:7], 0, 28
	s_mov_b64 s[14:15], 0
	v_mov_b64_e32 v[8:9], v[4:5]
.LBB26_28:                              ; =>This Inner Loop Header: Depth=1
	global_load_dwordx4 v[10:13], v[6:7], off offset:-12
	global_load_dwordx4 v[14:17], v[6:7], off offset:-28
	v_lshl_add_u64 v[8:9], v[8:9], 0, -2
	v_cmp_eq_u64_e32 vcc, 0, v[8:9]
	s_or_b64 s[14:15], vcc, s[14:15]
	s_waitcnt vmcnt(1)
	v_mul_lo_u32 v10, v10, s1
	s_waitcnt vmcnt(0)
	v_mul_lo_u32 v14, v14, s10
	v_mul_lo_u32 v15, v15, s10
	;; [unrolled: 1-line block ×7, first 2 shown]
	global_store_dwordx4 v[6:7], v[14:17], off offset:-28
	global_store_dwordx4 v[6:7], v[10:13], off offset:-12
	v_lshl_add_u64 v[6:7], v[6:7], 0, 32
	s_andn2_b64 exec, exec, s[14:15]
	s_cbranch_execnz .LBB26_28
; %bb.29:
	s_or_b64 exec, exec, s[14:15]
	v_cmp_ne_u64_e32 vcc, v[2:3], v[4:5]
	s_andn2_b64 s[4:5], s[4:5], exec
	s_and_b64 s[14:15], vcc, exec
	v_lshl_add_u64 v[0:1], v[4:5], 0, v[0:1]
	v_mov_b64_e32 v[2:3], s[10:11]
	s_or_b64 s[4:5], s[4:5], s[14:15]
	s_or_b64 exec, exec, s[6:7]
	s_and_b64 exec, exec, s[4:5]
	s_cbranch_execz .LBB26_32
.LBB26_30:
	s_add_u32 s4, s8, s12
	s_addc_u32 s5, s9, s13
	s_mov_b32 s1, 0
	v_lshl_add_u64 v[4:5], v[0:1], 4, s[4:5]
	v_mov_b32_e32 v3, s10
	v_lshl_add_u64 v[4:5], v[4:5], 0, 8
	s_lshl_b32 s4, s0, 4
	s_mov_b32 s5, s1
	s_mov_b64 s[6:7], 0
.LBB26_31:                              ; =>This Inner Loop Header: Depth=1
	global_load_dwordx4 v[6:9], v[4:5], off offset:-8
	v_lshl_add_u64 v[0:1], v[0:1], 0, s[0:1]
	v_lshlrev_b64 v[10:11], 2, v[0:1]
	v_cmp_le_i64_e32 vcc, s[2:3], v[10:11]
	s_or_b64 s[6:7], vcc, s[6:7]
	s_waitcnt vmcnt(0)
	v_mul_lo_u32 v7, v7, v3
	v_mul_lo_u32 v6, v6, v2
	;; [unrolled: 1-line block ×4, first 2 shown]
	global_store_dwordx4 v[4:5], v[6:9], off offset:-8
	v_lshl_add_u64 v[4:5], v[4:5], 0, s[4:5]
	s_andn2_b64 exec, exec, s[6:7]
	s_cbranch_execnz .LBB26_31
.LBB26_32:
	s_endpgm
	.section	.rodata,"a",@progbits
	.p2align	6, 0x0
	.amdhsa_kernel _ZN2at6native12_GLOBAL__N_125multi_tensor_apply_kernelINS1_18TensorListMetadataILi1EEENS1_21BinaryOpScalarFunctorIiLi1ELi1ELi0EEEJSt10multipliesIiEiEEEvT_T0_DpT1_
		.amdhsa_group_segment_fixed_size 0
		.amdhsa_private_segment_fixed_size 0
		.amdhsa_kernarg_size 3632
		.amdhsa_user_sgpr_count 2
		.amdhsa_user_sgpr_dispatch_ptr 0
		.amdhsa_user_sgpr_queue_ptr 0
		.amdhsa_user_sgpr_kernarg_segment_ptr 1
		.amdhsa_user_sgpr_dispatch_id 0
		.amdhsa_user_sgpr_kernarg_preload_length 0
		.amdhsa_user_sgpr_kernarg_preload_offset 0
		.amdhsa_user_sgpr_private_segment_size 0
		.amdhsa_uses_dynamic_stack 0
		.amdhsa_enable_private_segment 0
		.amdhsa_system_sgpr_workgroup_id_x 1
		.amdhsa_system_sgpr_workgroup_id_y 0
		.amdhsa_system_sgpr_workgroup_id_z 0
		.amdhsa_system_sgpr_workgroup_info 0
		.amdhsa_system_vgpr_workitem_id 0
		.amdhsa_next_free_vgpr 22
		.amdhsa_next_free_sgpr 28
		.amdhsa_accum_offset 24
		.amdhsa_reserve_vcc 1
		.amdhsa_float_round_mode_32 0
		.amdhsa_float_round_mode_16_64 0
		.amdhsa_float_denorm_mode_32 3
		.amdhsa_float_denorm_mode_16_64 3
		.amdhsa_dx10_clamp 1
		.amdhsa_ieee_mode 1
		.amdhsa_fp16_overflow 0
		.amdhsa_tg_split 0
		.amdhsa_exception_fp_ieee_invalid_op 0
		.amdhsa_exception_fp_denorm_src 0
		.amdhsa_exception_fp_ieee_div_zero 0
		.amdhsa_exception_fp_ieee_overflow 0
		.amdhsa_exception_fp_ieee_underflow 0
		.amdhsa_exception_fp_ieee_inexact 0
		.amdhsa_exception_int_div_zero 0
	.end_amdhsa_kernel
	.section	.text._ZN2at6native12_GLOBAL__N_125multi_tensor_apply_kernelINS1_18TensorListMetadataILi1EEENS1_21BinaryOpScalarFunctorIiLi1ELi1ELi0EEEJSt10multipliesIiEiEEEvT_T0_DpT1_,"axG",@progbits,_ZN2at6native12_GLOBAL__N_125multi_tensor_apply_kernelINS1_18TensorListMetadataILi1EEENS1_21BinaryOpScalarFunctorIiLi1ELi1ELi0EEEJSt10multipliesIiEiEEEvT_T0_DpT1_,comdat
.Lfunc_end26:
	.size	_ZN2at6native12_GLOBAL__N_125multi_tensor_apply_kernelINS1_18TensorListMetadataILi1EEENS1_21BinaryOpScalarFunctorIiLi1ELi1ELi0EEEJSt10multipliesIiEiEEEvT_T0_DpT1_, .Lfunc_end26-_ZN2at6native12_GLOBAL__N_125multi_tensor_apply_kernelINS1_18TensorListMetadataILi1EEENS1_21BinaryOpScalarFunctorIiLi1ELi1ELi0EEEJSt10multipliesIiEiEEEvT_T0_DpT1_
                                        ; -- End function
	.set _ZN2at6native12_GLOBAL__N_125multi_tensor_apply_kernelINS1_18TensorListMetadataILi1EEENS1_21BinaryOpScalarFunctorIiLi1ELi1ELi0EEEJSt10multipliesIiEiEEEvT_T0_DpT1_.num_vgpr, 22
	.set _ZN2at6native12_GLOBAL__N_125multi_tensor_apply_kernelINS1_18TensorListMetadataILi1EEENS1_21BinaryOpScalarFunctorIiLi1ELi1ELi0EEEJSt10multipliesIiEiEEEvT_T0_DpT1_.num_agpr, 0
	.set _ZN2at6native12_GLOBAL__N_125multi_tensor_apply_kernelINS1_18TensorListMetadataILi1EEENS1_21BinaryOpScalarFunctorIiLi1ELi1ELi0EEEJSt10multipliesIiEiEEEvT_T0_DpT1_.numbered_sgpr, 28
	.set _ZN2at6native12_GLOBAL__N_125multi_tensor_apply_kernelINS1_18TensorListMetadataILi1EEENS1_21BinaryOpScalarFunctorIiLi1ELi1ELi0EEEJSt10multipliesIiEiEEEvT_T0_DpT1_.num_named_barrier, 0
	.set _ZN2at6native12_GLOBAL__N_125multi_tensor_apply_kernelINS1_18TensorListMetadataILi1EEENS1_21BinaryOpScalarFunctorIiLi1ELi1ELi0EEEJSt10multipliesIiEiEEEvT_T0_DpT1_.private_seg_size, 0
	.set _ZN2at6native12_GLOBAL__N_125multi_tensor_apply_kernelINS1_18TensorListMetadataILi1EEENS1_21BinaryOpScalarFunctorIiLi1ELi1ELi0EEEJSt10multipliesIiEiEEEvT_T0_DpT1_.uses_vcc, 1
	.set _ZN2at6native12_GLOBAL__N_125multi_tensor_apply_kernelINS1_18TensorListMetadataILi1EEENS1_21BinaryOpScalarFunctorIiLi1ELi1ELi0EEEJSt10multipliesIiEiEEEvT_T0_DpT1_.uses_flat_scratch, 0
	.set _ZN2at6native12_GLOBAL__N_125multi_tensor_apply_kernelINS1_18TensorListMetadataILi1EEENS1_21BinaryOpScalarFunctorIiLi1ELi1ELi0EEEJSt10multipliesIiEiEEEvT_T0_DpT1_.has_dyn_sized_stack, 0
	.set _ZN2at6native12_GLOBAL__N_125multi_tensor_apply_kernelINS1_18TensorListMetadataILi1EEENS1_21BinaryOpScalarFunctorIiLi1ELi1ELi0EEEJSt10multipliesIiEiEEEvT_T0_DpT1_.has_recursion, 0
	.set _ZN2at6native12_GLOBAL__N_125multi_tensor_apply_kernelINS1_18TensorListMetadataILi1EEENS1_21BinaryOpScalarFunctorIiLi1ELi1ELi0EEEJSt10multipliesIiEiEEEvT_T0_DpT1_.has_indirect_call, 0
	.section	.AMDGPU.csdata,"",@progbits
; Kernel info:
; codeLenInByte = 1364
; TotalNumSgprs: 34
; NumVgprs: 22
; NumAgprs: 0
; TotalNumVgprs: 22
; ScratchSize: 0
; MemoryBound: 0
; FloatMode: 240
; IeeeMode: 1
; LDSByteSize: 0 bytes/workgroup (compile time only)
; SGPRBlocks: 4
; VGPRBlocks: 2
; NumSGPRsForWavesPerEU: 34
; NumVGPRsForWavesPerEU: 22
; AccumOffset: 24
; Occupancy: 8
; WaveLimiterHint : 0
; COMPUTE_PGM_RSRC2:SCRATCH_EN: 0
; COMPUTE_PGM_RSRC2:USER_SGPR: 2
; COMPUTE_PGM_RSRC2:TRAP_HANDLER: 0
; COMPUTE_PGM_RSRC2:TGID_X_EN: 1
; COMPUTE_PGM_RSRC2:TGID_Y_EN: 0
; COMPUTE_PGM_RSRC2:TGID_Z_EN: 0
; COMPUTE_PGM_RSRC2:TIDIG_COMP_CNT: 0
; COMPUTE_PGM_RSRC3_GFX90A:ACCUM_OFFSET: 5
; COMPUTE_PGM_RSRC3_GFX90A:TG_SPLIT: 0
	.section	.text._ZN2at6native12_GLOBAL__N_125multi_tensor_apply_kernelINS1_18TensorListMetadataILi1EEENS1_21BinaryOpScalarFunctorIlLi1ELi1ELi0EEEJSt10multipliesIlElEEEvT_T0_DpT1_,"axG",@progbits,_ZN2at6native12_GLOBAL__N_125multi_tensor_apply_kernelINS1_18TensorListMetadataILi1EEENS1_21BinaryOpScalarFunctorIlLi1ELi1ELi0EEEJSt10multipliesIlElEEEvT_T0_DpT1_,comdat
	.globl	_ZN2at6native12_GLOBAL__N_125multi_tensor_apply_kernelINS1_18TensorListMetadataILi1EEENS1_21BinaryOpScalarFunctorIlLi1ELi1ELi0EEEJSt10multipliesIlElEEEvT_T0_DpT1_ ; -- Begin function _ZN2at6native12_GLOBAL__N_125multi_tensor_apply_kernelINS1_18TensorListMetadataILi1EEENS1_21BinaryOpScalarFunctorIlLi1ELi1ELi0EEEJSt10multipliesIlElEEEvT_T0_DpT1_
	.p2align	8
	.type	_ZN2at6native12_GLOBAL__N_125multi_tensor_apply_kernelINS1_18TensorListMetadataILi1EEENS1_21BinaryOpScalarFunctorIlLi1ELi1ELi0EEEJSt10multipliesIlElEEEvT_T0_DpT1_,@function
_ZN2at6native12_GLOBAL__N_125multi_tensor_apply_kernelINS1_18TensorListMetadataILi1EEENS1_21BinaryOpScalarFunctorIlLi1ELi1ELi0EEEJSt10multipliesIlElEEEvT_T0_DpT1_: ; @_ZN2at6native12_GLOBAL__N_125multi_tensor_apply_kernelINS1_18TensorListMetadataILi1EEENS1_21BinaryOpScalarFunctorIlLi1ELi1ELi0EEEJSt10multipliesIlElEEEvT_T0_DpT1_
; %bb.0:
	v_mov_b32_e32 v1, s2
	global_load_ubyte v1, v1, s[0:1] offset:1760
	s_add_u32 s3, s0, s2
	s_mul_hi_u32 s4, s2, 3
	s_mul_i32 s2, s2, 3
	s_addc_u32 s5, s1, 0
	s_add_u32 s2, s3, s2
	s_addc_u32 s3, s5, s4
	s_load_dword s2, s[2:3], 0x820
	s_mov_b32 s7, 0
	s_waitcnt vmcnt(0)
	v_readfirstlane_b32 s3, v1
	s_lshl_b32 s3, s3, 3
	s_load_dwordx2 s[8:9], s[0:1], 0xd30
	s_load_dwordx2 s[4:5], s[0:1], s3 offset:0x370
	s_load_dwordx2 s[10:11], s[0:1], s3 offset:0x0
	s_waitcnt lgkmcnt(0)
	s_ashr_i32 s3, s2, 31
	s_lshl_b64 s[12:13], s[2:3], 19
	s_lshl_b64 s[2:3], s[2:3], 16
	s_and_b32 s6, s10, 31
	s_sub_u32 s14, s4, s2
	s_subb_u32 s15, s5, s3
	s_and_b32 s2, s4, 3
	s_mov_b32 s3, s7
	s_or_b64 s[2:3], s[6:7], s[2:3]
	s_cmp_eq_u64 s[2:3], 0
	s_cbranch_scc1 .LBB27_21
; %bb.1:
	v_cmp_lt_i64_e64 s[2:3], s[14:15], 1
	s_and_b64 vcc, exec, s[2:3]
	s_cbranch_vccnz .LBB27_20
; %bb.2:
	s_load_dword s2, s[0:1], 0xd44
	v_mov_b64_e32 v[2:3], 0x10000
	v_cmp_lt_i64_e32 vcc, s[14:15], v[2:3]
	s_and_b64 s[4:5], vcc, exec
	s_cselect_b32 s5, s15, 0
	s_cselect_b32 s4, s14, 0x10000
	s_waitcnt lgkmcnt(0)
	s_and_b32 s2, s2, 0xffff
	v_cmp_lt_u64_e32 vcc, s[14:15], v[2:3]
	s_and_b64 s[6:7], vcc, exec
	s_mov_b32 s3, 0
	v_mov_b32_e32 v1, 0
	s_cselect_b32 s17, s15, 0
	s_cselect_b32 s16, s14, 0x10000
	s_lshl_b32 s6, s2, 1
	s_lshl_b32 s28, s2, 2
	s_add_u32 s24, s10, s12
	v_lshl_add_u64 v[8:9], v[0:1], 0, s[2:3]
	s_mov_b32 s7, s3
	s_mul_i32 s22, s2, 3
	s_mov_b32 s23, s3
	v_lshlrev_b32_e32 v2, 3, v0
	v_mov_b32_e32 v3, v1
	s_addc_u32 s25, s11, s13
	v_lshlrev_b32_e32 v10, 3, v8
	v_mov_b32_e32 v11, v1
	v_lshl_add_u64 v[2:3], s[24:25], 0, v[2:3]
	s_lshl_b32 s18, s2, 5
	s_mov_b32 s19, s3
	s_mul_i32 s20, s2, 24
	s_mov_b32 s21, s3
	v_lshl_add_u64 v[4:5], s[22:23], 0, v[0:1]
	s_lshl_b32 s22, s2, 4
	v_lshl_add_u64 v[6:7], s[6:7], 0, v[0:1]
	v_lshl_add_u64 v[10:11], s[24:25], 0, v[10:11]
	s_mov_b64 s[24:25], 0
	v_mov_b64_e32 v[12:13], s[4:5]
	s_branch .LBB27_4
.LBB27_3:                               ;   in Loop: Header=BB27_4 Depth=1
	s_or_b64 exec, exec, s[2:3]
	s_add_u32 s24, s24, s28
	s_addc_u32 s25, s25, 0
	v_cmp_lt_i64_e32 vcc, s[24:25], v[12:13]
	v_lshl_add_u64 v[2:3], v[2:3], 0, s[18:19]
	v_lshl_add_u64 v[10:11], v[10:11], 0, s[18:19]
	s_cbranch_vccz .LBB27_20
.LBB27_4:                               ; =>This Inner Loop Header: Depth=1
	s_waitcnt vmcnt(0)
	v_lshl_add_u64 v[14:15], v[0:1], 0, s[24:25]
	v_cmp_gt_u64_e64 s[2:3], s[16:17], v[14:15]
	v_mov_b64_e32 v[16:17], 0
	v_mov_b64_e32 v[22:23], 0
	s_and_saveexec_b64 s[4:5], s[2:3]
	s_cbranch_execz .LBB27_6
; %bb.5:                                ;   in Loop: Header=BB27_4 Depth=1
	global_load_dwordx2 v[22:23], v[2:3], off
.LBB27_6:                               ;   in Loop: Header=BB27_4 Depth=1
	s_or_b64 exec, exec, s[4:5]
	v_lshl_add_u64 v[14:15], v[8:9], 0, s[24:25]
	v_cmp_gt_u64_e64 s[4:5], s[16:17], v[14:15]
	s_and_saveexec_b64 s[6:7], s[4:5]
	s_cbranch_execz .LBB27_8
; %bb.7:                                ;   in Loop: Header=BB27_4 Depth=1
	global_load_dwordx2 v[16:17], v[10:11], off
.LBB27_8:                               ;   in Loop: Header=BB27_4 Depth=1
	s_or_b64 exec, exec, s[6:7]
	v_lshl_add_u64 v[14:15], v[6:7], 0, s[24:25]
	v_cmp_gt_u64_e32 vcc, s[16:17], v[14:15]
	v_mov_b64_e32 v[14:15], 0
	v_lshl_add_u64 v[20:21], v[2:3], 0, s[22:23]
	v_mov_b64_e32 v[24:25], 0
	s_and_saveexec_b64 s[6:7], vcc
	s_cbranch_execz .LBB27_10
; %bb.9:                                ;   in Loop: Header=BB27_4 Depth=1
	global_load_dwordx2 v[24:25], v[20:21], off
.LBB27_10:                              ;   in Loop: Header=BB27_4 Depth=1
	s_or_b64 exec, exec, s[6:7]
	v_lshl_add_u64 v[18:19], v[4:5], 0, s[24:25]
	v_cmp_gt_u64_e64 s[6:7], s[16:17], v[18:19]
	v_lshl_add_u64 v[18:19], v[2:3], 0, s[20:21]
	s_and_saveexec_b64 s[26:27], s[6:7]
	s_cbranch_execnz .LBB27_15
; %bb.11:                               ;   in Loop: Header=BB27_4 Depth=1
	s_or_b64 exec, exec, s[26:27]
	s_and_saveexec_b64 s[26:27], s[2:3]
	s_cbranch_execnz .LBB27_16
.LBB27_12:                              ;   in Loop: Header=BB27_4 Depth=1
	s_or_b64 exec, exec, s[26:27]
	s_and_saveexec_b64 s[2:3], s[4:5]
	s_cbranch_execnz .LBB27_17
.LBB27_13:                              ;   in Loop: Header=BB27_4 Depth=1
	s_or_b64 exec, exec, s[2:3]
	s_and_saveexec_b64 s[2:3], vcc
	s_cbranch_execnz .LBB27_18
.LBB27_14:                              ;   in Loop: Header=BB27_4 Depth=1
	s_or_b64 exec, exec, s[2:3]
	s_and_saveexec_b64 s[2:3], s[6:7]
	s_cbranch_execz .LBB27_3
	s_branch .LBB27_19
.LBB27_15:                              ;   in Loop: Header=BB27_4 Depth=1
	global_load_dwordx2 v[14:15], v[18:19], off
	s_or_b64 exec, exec, s[26:27]
	s_and_saveexec_b64 s[26:27], s[2:3]
	s_cbranch_execz .LBB27_12
.LBB27_16:                              ;   in Loop: Header=BB27_4 Depth=1
	s_waitcnt vmcnt(0)
	v_mul_lo_u32 v26, v23, s8
	v_mul_lo_u32 v27, v22, s9
	v_mad_u64_u32 v[22:23], s[2:3], v22, s8, 0
	v_add3_u32 v23, v23, v27, v26
	global_store_dwordx2 v[2:3], v[22:23], off
	s_or_b64 exec, exec, s[26:27]
	s_and_saveexec_b64 s[2:3], s[4:5]
	s_cbranch_execz .LBB27_13
.LBB27_17:                              ;   in Loop: Header=BB27_4 Depth=1
	s_waitcnt vmcnt(0)
	v_mul_lo_u32 v22, v17, s8
	v_mul_lo_u32 v23, v16, s9
	v_mad_u64_u32 v[16:17], s[4:5], v16, s8, 0
	v_add3_u32 v17, v17, v23, v22
	global_store_dwordx2 v[10:11], v[16:17], off
	s_or_b64 exec, exec, s[2:3]
	s_and_saveexec_b64 s[2:3], vcc
	s_cbranch_execz .LBB27_14
.LBB27_18:                              ;   in Loop: Header=BB27_4 Depth=1
	s_waitcnt vmcnt(0)
	v_mul_lo_u32 v22, v25, s8
	v_mul_lo_u32 v23, v24, s9
	v_mad_u64_u32 v[16:17], s[4:5], v24, s8, 0
	v_add3_u32 v17, v17, v23, v22
	global_store_dwordx2 v[20:21], v[16:17], off
	s_or_b64 exec, exec, s[2:3]
	s_and_saveexec_b64 s[2:3], s[6:7]
	s_cbranch_execz .LBB27_3
.LBB27_19:                              ;   in Loop: Header=BB27_4 Depth=1
	s_waitcnt vmcnt(0)
	v_mul_lo_u32 v16, v15, s8
	v_mul_lo_u32 v17, v14, s9
	v_mad_u64_u32 v[14:15], s[4:5], v14, s8, 0
	v_add3_u32 v15, v15, v17, v16
	global_store_dwordx2 v[18:19], v[14:15], off
	s_branch .LBB27_3
.LBB27_20:
	s_cbranch_execz .LBB27_22
	s_branch .LBB27_25
.LBB27_21:
.LBB27_22:
	v_mov_b64_e32 v[4:5], 0x10000
	v_cmp_lt_i64_e32 vcc, s[14:15], v[4:5]
	s_and_b64 s[4:5], vcc, exec
	v_mov_b32_e32 v3, 0
	s_cselect_b32 s5, s15, 0
	s_cselect_b32 s4, s14, 0x10000
	v_lshlrev_b32_e32 v2, 2, v0
	s_mov_b32 s3, 0
	v_cmp_gt_i64_e32 vcc, s[4:5], v[2:3]
	s_and_saveexec_b64 s[6:7], vcc
	s_cbranch_execz .LBB27_25
; %bb.23:
	s_load_dword s0, s[0:1], 0xd44
	v_lshlrev_b32_e32 v2, 5, v0
	v_mov_b32_e32 v1, v3
	s_mov_b32 s1, s3
	s_waitcnt lgkmcnt(0)
	s_and_b32 s2, s0, 0xffff
	s_add_u32 s6, s10, s12
	s_addc_u32 s7, s11, s13
	v_lshl_add_u64 v[2:3], s[6:7], 0, v[2:3]
	s_lshl_b32 s0, s2, 5
	v_lshl_add_u64 v[2:3], v[2:3], 0, 16
	s_mov_b64 s[6:7], 0
.LBB27_24:                              ; =>This Inner Loop Header: Depth=1
	global_load_dwordx4 v[4:7], v[2:3], off offset:-16
	global_load_dwordx4 v[8:11], v[2:3], off
	v_lshl_add_u64 v[0:1], v[0:1], 0, s[2:3]
	v_lshlrev_b64 v[12:13], 2, v[0:1]
	v_cmp_le_i64_e32 vcc, s[4:5], v[12:13]
	s_or_b64 s[6:7], vcc, s[6:7]
	s_waitcnt vmcnt(1)
	v_mul_lo_u32 v12, v5, s8
	v_mul_lo_u32 v13, v4, s9
	v_mad_u64_u32 v[4:5], s[10:11], v4, s8, 0
	v_mul_lo_u32 v14, v7, s8
	v_mul_lo_u32 v15, v6, s9
	v_mad_u64_u32 v[6:7], s[10:11], v6, s8, 0
	s_waitcnt vmcnt(0)
	v_mul_lo_u32 v16, v9, s8
	v_mul_lo_u32 v17, v8, s9
	v_mad_u64_u32 v[8:9], s[10:11], v8, s8, 0
	v_mul_lo_u32 v18, v11, s8
	v_mul_lo_u32 v19, v10, s9
	v_mad_u64_u32 v[10:11], s[10:11], v10, s8, 0
	v_add3_u32 v5, v5, v13, v12
	v_add3_u32 v7, v7, v15, v14
	;; [unrolled: 1-line block ×4, first 2 shown]
	global_store_dwordx4 v[2:3], v[4:7], off offset:-16
	global_store_dwordx4 v[2:3], v[8:11], off
	v_lshl_add_u64 v[2:3], v[2:3], 0, s[0:1]
	s_andn2_b64 exec, exec, s[6:7]
	s_cbranch_execnz .LBB27_24
.LBB27_25:
	s_endpgm
	.section	.rodata,"a",@progbits
	.p2align	6, 0x0
	.amdhsa_kernel _ZN2at6native12_GLOBAL__N_125multi_tensor_apply_kernelINS1_18TensorListMetadataILi1EEENS1_21BinaryOpScalarFunctorIlLi1ELi1ELi0EEEJSt10multipliesIlElEEEvT_T0_DpT1_
		.amdhsa_group_segment_fixed_size 0
		.amdhsa_private_segment_fixed_size 0
		.amdhsa_kernarg_size 3640
		.amdhsa_user_sgpr_count 2
		.amdhsa_user_sgpr_dispatch_ptr 0
		.amdhsa_user_sgpr_queue_ptr 0
		.amdhsa_user_sgpr_kernarg_segment_ptr 1
		.amdhsa_user_sgpr_dispatch_id 0
		.amdhsa_user_sgpr_kernarg_preload_length 0
		.amdhsa_user_sgpr_kernarg_preload_offset 0
		.amdhsa_user_sgpr_private_segment_size 0
		.amdhsa_uses_dynamic_stack 0
		.amdhsa_enable_private_segment 0
		.amdhsa_system_sgpr_workgroup_id_x 1
		.amdhsa_system_sgpr_workgroup_id_y 0
		.amdhsa_system_sgpr_workgroup_id_z 0
		.amdhsa_system_sgpr_workgroup_info 0
		.amdhsa_system_vgpr_workitem_id 0
		.amdhsa_next_free_vgpr 28
		.amdhsa_next_free_sgpr 29
		.amdhsa_accum_offset 28
		.amdhsa_reserve_vcc 1
		.amdhsa_float_round_mode_32 0
		.amdhsa_float_round_mode_16_64 0
		.amdhsa_float_denorm_mode_32 3
		.amdhsa_float_denorm_mode_16_64 3
		.amdhsa_dx10_clamp 1
		.amdhsa_ieee_mode 1
		.amdhsa_fp16_overflow 0
		.amdhsa_tg_split 0
		.amdhsa_exception_fp_ieee_invalid_op 0
		.amdhsa_exception_fp_denorm_src 0
		.amdhsa_exception_fp_ieee_div_zero 0
		.amdhsa_exception_fp_ieee_overflow 0
		.amdhsa_exception_fp_ieee_underflow 0
		.amdhsa_exception_fp_ieee_inexact 0
		.amdhsa_exception_int_div_zero 0
	.end_amdhsa_kernel
	.section	.text._ZN2at6native12_GLOBAL__N_125multi_tensor_apply_kernelINS1_18TensorListMetadataILi1EEENS1_21BinaryOpScalarFunctorIlLi1ELi1ELi0EEEJSt10multipliesIlElEEEvT_T0_DpT1_,"axG",@progbits,_ZN2at6native12_GLOBAL__N_125multi_tensor_apply_kernelINS1_18TensorListMetadataILi1EEENS1_21BinaryOpScalarFunctorIlLi1ELi1ELi0EEEJSt10multipliesIlElEEEvT_T0_DpT1_,comdat
.Lfunc_end27:
	.size	_ZN2at6native12_GLOBAL__N_125multi_tensor_apply_kernelINS1_18TensorListMetadataILi1EEENS1_21BinaryOpScalarFunctorIlLi1ELi1ELi0EEEJSt10multipliesIlElEEEvT_T0_DpT1_, .Lfunc_end27-_ZN2at6native12_GLOBAL__N_125multi_tensor_apply_kernelINS1_18TensorListMetadataILi1EEENS1_21BinaryOpScalarFunctorIlLi1ELi1ELi0EEEJSt10multipliesIlElEEEvT_T0_DpT1_
                                        ; -- End function
	.set _ZN2at6native12_GLOBAL__N_125multi_tensor_apply_kernelINS1_18TensorListMetadataILi1EEENS1_21BinaryOpScalarFunctorIlLi1ELi1ELi0EEEJSt10multipliesIlElEEEvT_T0_DpT1_.num_vgpr, 28
	.set _ZN2at6native12_GLOBAL__N_125multi_tensor_apply_kernelINS1_18TensorListMetadataILi1EEENS1_21BinaryOpScalarFunctorIlLi1ELi1ELi0EEEJSt10multipliesIlElEEEvT_T0_DpT1_.num_agpr, 0
	.set _ZN2at6native12_GLOBAL__N_125multi_tensor_apply_kernelINS1_18TensorListMetadataILi1EEENS1_21BinaryOpScalarFunctorIlLi1ELi1ELi0EEEJSt10multipliesIlElEEEvT_T0_DpT1_.numbered_sgpr, 29
	.set _ZN2at6native12_GLOBAL__N_125multi_tensor_apply_kernelINS1_18TensorListMetadataILi1EEENS1_21BinaryOpScalarFunctorIlLi1ELi1ELi0EEEJSt10multipliesIlElEEEvT_T0_DpT1_.num_named_barrier, 0
	.set _ZN2at6native12_GLOBAL__N_125multi_tensor_apply_kernelINS1_18TensorListMetadataILi1EEENS1_21BinaryOpScalarFunctorIlLi1ELi1ELi0EEEJSt10multipliesIlElEEEvT_T0_DpT1_.private_seg_size, 0
	.set _ZN2at6native12_GLOBAL__N_125multi_tensor_apply_kernelINS1_18TensorListMetadataILi1EEENS1_21BinaryOpScalarFunctorIlLi1ELi1ELi0EEEJSt10multipliesIlElEEEvT_T0_DpT1_.uses_vcc, 1
	.set _ZN2at6native12_GLOBAL__N_125multi_tensor_apply_kernelINS1_18TensorListMetadataILi1EEENS1_21BinaryOpScalarFunctorIlLi1ELi1ELi0EEEJSt10multipliesIlElEEEvT_T0_DpT1_.uses_flat_scratch, 0
	.set _ZN2at6native12_GLOBAL__N_125multi_tensor_apply_kernelINS1_18TensorListMetadataILi1EEENS1_21BinaryOpScalarFunctorIlLi1ELi1ELi0EEEJSt10multipliesIlElEEEvT_T0_DpT1_.has_dyn_sized_stack, 0
	.set _ZN2at6native12_GLOBAL__N_125multi_tensor_apply_kernelINS1_18TensorListMetadataILi1EEENS1_21BinaryOpScalarFunctorIlLi1ELi1ELi0EEEJSt10multipliesIlElEEEvT_T0_DpT1_.has_recursion, 0
	.set _ZN2at6native12_GLOBAL__N_125multi_tensor_apply_kernelINS1_18TensorListMetadataILi1EEENS1_21BinaryOpScalarFunctorIlLi1ELi1ELi0EEEJSt10multipliesIlElEEEvT_T0_DpT1_.has_indirect_call, 0
	.section	.AMDGPU.csdata,"",@progbits
; Kernel info:
; codeLenInByte = 1164
; TotalNumSgprs: 35
; NumVgprs: 28
; NumAgprs: 0
; TotalNumVgprs: 28
; ScratchSize: 0
; MemoryBound: 0
; FloatMode: 240
; IeeeMode: 1
; LDSByteSize: 0 bytes/workgroup (compile time only)
; SGPRBlocks: 4
; VGPRBlocks: 3
; NumSGPRsForWavesPerEU: 35
; NumVGPRsForWavesPerEU: 28
; AccumOffset: 28
; Occupancy: 8
; WaveLimiterHint : 0
; COMPUTE_PGM_RSRC2:SCRATCH_EN: 0
; COMPUTE_PGM_RSRC2:USER_SGPR: 2
; COMPUTE_PGM_RSRC2:TRAP_HANDLER: 0
; COMPUTE_PGM_RSRC2:TGID_X_EN: 1
; COMPUTE_PGM_RSRC2:TGID_Y_EN: 0
; COMPUTE_PGM_RSRC2:TGID_Z_EN: 0
; COMPUTE_PGM_RSRC2:TIDIG_COMP_CNT: 0
; COMPUTE_PGM_RSRC3_GFX90A:ACCUM_OFFSET: 6
; COMPUTE_PGM_RSRC3_GFX90A:TG_SPLIT: 0
	.section	.text._ZN2at6native12_GLOBAL__N_125multi_tensor_apply_kernelINS1_18TensorListMetadataILi1EEENS1_21BinaryOpScalarFunctorIsLi1ELi1ELi0EEEJSt10multipliesIsEsEEEvT_T0_DpT1_,"axG",@progbits,_ZN2at6native12_GLOBAL__N_125multi_tensor_apply_kernelINS1_18TensorListMetadataILi1EEENS1_21BinaryOpScalarFunctorIsLi1ELi1ELi0EEEJSt10multipliesIsEsEEEvT_T0_DpT1_,comdat
	.globl	_ZN2at6native12_GLOBAL__N_125multi_tensor_apply_kernelINS1_18TensorListMetadataILi1EEENS1_21BinaryOpScalarFunctorIsLi1ELi1ELi0EEEJSt10multipliesIsEsEEEvT_T0_DpT1_ ; -- Begin function _ZN2at6native12_GLOBAL__N_125multi_tensor_apply_kernelINS1_18TensorListMetadataILi1EEENS1_21BinaryOpScalarFunctorIsLi1ELi1ELi0EEEJSt10multipliesIsEsEEEvT_T0_DpT1_
	.p2align	8
	.type	_ZN2at6native12_GLOBAL__N_125multi_tensor_apply_kernelINS1_18TensorListMetadataILi1EEENS1_21BinaryOpScalarFunctorIsLi1ELi1ELi0EEEJSt10multipliesIsEsEEEvT_T0_DpT1_,@function
_ZN2at6native12_GLOBAL__N_125multi_tensor_apply_kernelINS1_18TensorListMetadataILi1EEENS1_21BinaryOpScalarFunctorIsLi1ELi1ELi0EEEJSt10multipliesIsEsEEEvT_T0_DpT1_: ; @_ZN2at6native12_GLOBAL__N_125multi_tensor_apply_kernelINS1_18TensorListMetadataILi1EEENS1_21BinaryOpScalarFunctorIsLi1ELi1ELi0EEEJSt10multipliesIsEsEEEvT_T0_DpT1_
; %bb.0:
	v_mov_b32_e32 v1, s2
	global_load_ubyte v1, v1, s[0:1] offset:1760
	s_load_dword s3, s[0:1], 0xd28
	s_mul_hi_u32 s4, s2, 3
	s_mul_i32 s5, s2, 3
	s_mov_b32 s7, 0
	s_waitcnt lgkmcnt(0)
	s_lshr_b32 s26, s3, 16
	s_add_u32 s2, s0, s2
	s_addc_u32 s3, s1, 0
	s_add_u32 s2, s2, s5
	s_addc_u32 s3, s3, s4
	s_load_dword s2, s[2:3], 0x820
	s_waitcnt vmcnt(0)
	v_readfirstlane_b32 s3, v1
	s_lshl_b32 s3, s3, 3
	s_load_dwordx2 s[4:5], s[0:1], s3 offset:0x370
	s_load_dwordx2 s[8:9], s[0:1], s3 offset:0x0
	s_waitcnt lgkmcnt(0)
	s_ashr_i32 s3, s2, 31
	s_lshl_b64 s[10:11], s[2:3], 17
	s_lshl_b64 s[2:3], s[2:3], 16
	s_and_b32 s6, s8, 7
	s_sub_u32 s12, s4, s2
	s_subb_u32 s13, s5, s3
	s_and_b32 s2, s4, 3
	s_mov_b32 s3, s7
	s_or_b64 s[2:3], s[6:7], s[2:3]
	s_cmp_eq_u64 s[2:3], 0
	s_cbranch_scc1 .LBB28_21
; %bb.1:
	v_cmp_lt_i64_e64 s[2:3], s[12:13], 1
	s_and_b64 vcc, exec, s[2:3]
	s_cbranch_vccnz .LBB28_20
; %bb.2:
	s_load_dword s2, s[0:1], 0xd3c
	v_mov_b64_e32 v[2:3], 0x10000
	v_cmp_lt_i64_e32 vcc, s[12:13], v[2:3]
	s_and_b64 s[4:5], vcc, exec
	s_cselect_b32 s5, s13, 0
	s_cselect_b32 s4, s12, 0x10000
	s_waitcnt lgkmcnt(0)
	s_and_b32 s2, s2, 0xffff
	v_cmp_lt_u64_e32 vcc, s[12:13], v[2:3]
	s_and_b64 s[6:7], vcc, exec
	s_mov_b32 s3, 0
	v_mov_b32_e32 v1, 0
	s_cselect_b32 s15, s13, 0
	s_cselect_b32 s14, s12, 0x10000
	s_lshl_b32 s6, s2, 1
	s_lshl_b32 s16, s2, 2
	s_add_u32 s24, s8, s10
	v_lshl_add_u64 v[8:9], v[0:1], 0, s[2:3]
	s_mov_b32 s7, s3
	s_mul_i32 s22, s2, 3
	s_mov_b32 s23, s3
	v_lshlrev_b32_e32 v2, 1, v0
	v_mov_b32_e32 v3, v1
	s_addc_u32 s25, s9, s11
	v_lshlrev_b32_e32 v10, 1, v8
	v_mov_b32_e32 v11, v1
	s_mov_b32 s17, s3
	v_lshl_add_u64 v[2:3], s[24:25], 0, v[2:3]
	s_lshl_b32 s18, s2, 3
	s_mov_b32 s19, s3
	s_mul_i32 s20, s2, 6
	s_mov_b32 s21, s3
	v_lshl_add_u64 v[4:5], s[22:23], 0, v[0:1]
	v_lshl_add_u64 v[6:7], s[6:7], 0, v[0:1]
	;; [unrolled: 1-line block ×3, first 2 shown]
	s_mov_b64 s[22:23], 0
	v_mov_b64_e32 v[12:13], s[4:5]
	s_branch .LBB28_4
.LBB28_3:                               ;   in Loop: Header=BB28_4 Depth=1
	s_or_b64 exec, exec, s[2:3]
	s_add_u32 s22, s22, s16
	s_addc_u32 s23, s23, 0
	v_cmp_lt_i64_e32 vcc, s[22:23], v[12:13]
	v_lshl_add_u64 v[2:3], v[2:3], 0, s[18:19]
	v_lshl_add_u64 v[10:11], v[10:11], 0, s[18:19]
	s_cbranch_vccz .LBB28_20
.LBB28_4:                               ; =>This Inner Loop Header: Depth=1
	v_lshl_add_u64 v[14:15], v[0:1], 0, s[22:23]
	v_cmp_gt_u64_e32 vcc, s[14:15], v[14:15]
	s_waitcnt vmcnt(0)
	v_mov_b32_e32 v19, 0
	s_and_saveexec_b64 s[2:3], vcc
	s_cbranch_execz .LBB28_6
; %bb.5:                                ;   in Loop: Header=BB28_4 Depth=1
	global_load_ushort v19, v[2:3], off
.LBB28_6:                               ;   in Loop: Header=BB28_4 Depth=1
	s_or_b64 exec, exec, s[2:3]
	v_lshl_add_u64 v[14:15], v[8:9], 0, s[22:23]
	v_cmp_gt_u64_e64 s[2:3], s[14:15], v[14:15]
	v_mov_b32_e32 v18, 0
	v_mov_b32_e32 v20, 0
	s_and_saveexec_b64 s[4:5], s[2:3]
	s_cbranch_execz .LBB28_8
; %bb.7:                                ;   in Loop: Header=BB28_4 Depth=1
	global_load_ushort v20, v[10:11], off
.LBB28_8:                               ;   in Loop: Header=BB28_4 Depth=1
	s_or_b64 exec, exec, s[4:5]
	v_lshl_add_u64 v[14:15], v[6:7], 0, s[22:23]
	v_cmp_gt_u64_e64 s[4:5], s[14:15], v[14:15]
	v_lshl_add_u64 v[14:15], v[2:3], 0, s[16:17]
	s_and_saveexec_b64 s[6:7], s[4:5]
	s_cbranch_execz .LBB28_10
; %bb.9:                                ;   in Loop: Header=BB28_4 Depth=1
	global_load_ushort v18, v[14:15], off
.LBB28_10:                              ;   in Loop: Header=BB28_4 Depth=1
	s_or_b64 exec, exec, s[6:7]
	v_lshl_add_u64 v[16:17], v[4:5], 0, s[22:23]
	v_cmp_gt_u64_e64 s[6:7], s[14:15], v[16:17]
	v_mov_b32_e32 v21, 0
	v_lshl_add_u64 v[16:17], v[2:3], 0, s[20:21]
	s_and_saveexec_b64 s[24:25], s[6:7]
	s_cbranch_execnz .LBB28_15
; %bb.11:                               ;   in Loop: Header=BB28_4 Depth=1
	s_or_b64 exec, exec, s[24:25]
	s_and_saveexec_b64 s[24:25], vcc
	s_cbranch_execnz .LBB28_16
.LBB28_12:                              ;   in Loop: Header=BB28_4 Depth=1
	s_or_b64 exec, exec, s[24:25]
	s_and_saveexec_b64 s[24:25], s[2:3]
	s_cbranch_execnz .LBB28_17
.LBB28_13:                              ;   in Loop: Header=BB28_4 Depth=1
	s_or_b64 exec, exec, s[24:25]
	s_and_saveexec_b64 s[2:3], s[4:5]
	s_cbranch_execnz .LBB28_18
.LBB28_14:                              ;   in Loop: Header=BB28_4 Depth=1
	s_or_b64 exec, exec, s[2:3]
	s_and_saveexec_b64 s[2:3], s[6:7]
	s_cbranch_execz .LBB28_3
	s_branch .LBB28_19
.LBB28_15:                              ;   in Loop: Header=BB28_4 Depth=1
	global_load_ushort v21, v[16:17], off
	s_or_b64 exec, exec, s[24:25]
	s_and_saveexec_b64 s[24:25], vcc
	s_cbranch_execz .LBB28_12
.LBB28_16:                              ;   in Loop: Header=BB28_4 Depth=1
	s_waitcnt vmcnt(0)
	v_mul_lo_u16_e32 v19, s26, v19
	global_store_short v[2:3], v19, off
	s_or_b64 exec, exec, s[24:25]
	s_and_saveexec_b64 s[24:25], s[2:3]
	s_cbranch_execz .LBB28_13
.LBB28_17:                              ;   in Loop: Header=BB28_4 Depth=1
	s_waitcnt vmcnt(0)
	v_mul_lo_u16_e32 v19, s26, v20
	global_store_short v[10:11], v19, off
	s_or_b64 exec, exec, s[24:25]
	s_and_saveexec_b64 s[2:3], s[4:5]
	s_cbranch_execz .LBB28_14
.LBB28_18:                              ;   in Loop: Header=BB28_4 Depth=1
	s_waitcnt vmcnt(0)
	v_mul_lo_u16_e32 v18, s26, v18
	global_store_short v[14:15], v18, off
	s_or_b64 exec, exec, s[2:3]
	s_and_saveexec_b64 s[2:3], s[6:7]
	s_cbranch_execz .LBB28_3
.LBB28_19:                              ;   in Loop: Header=BB28_4 Depth=1
	s_waitcnt vmcnt(0)
	v_mul_lo_u16_e32 v14, s26, v21
	global_store_short v[16:17], v14, off
	s_branch .LBB28_3
.LBB28_20:
	s_cbranch_execz .LBB28_22
	s_branch .LBB28_25
.LBB28_21:
.LBB28_22:
	v_mov_b64_e32 v[4:5], 0x10000
	v_cmp_lt_i64_e32 vcc, s[12:13], v[4:5]
	s_and_b64 s[4:5], vcc, exec
	v_mov_b32_e32 v3, 0
	s_cselect_b32 s5, s13, 0
	s_cselect_b32 s4, s12, 0x10000
	v_lshlrev_b32_e32 v2, 2, v0
	s_mov_b32 s3, 0
	v_cmp_gt_i64_e32 vcc, s[4:5], v[2:3]
	s_and_saveexec_b64 s[6:7], vcc
	s_cbranch_execz .LBB28_25
; %bb.23:
	s_load_dword s0, s[0:1], 0xd3c
	v_lshlrev_b32_e32 v2, 3, v0
	v_mov_b32_e32 v1, v3
	s_mov_b32 s1, s3
	s_waitcnt lgkmcnt(0)
	s_and_b32 s2, s0, 0xffff
	s_add_u32 s6, s8, s10
	s_addc_u32 s7, s9, s11
	s_lshl_b32 s0, s2, 3
	v_lshl_add_u64 v[2:3], s[6:7], 0, v[2:3]
	s_mov_b64 s[6:7], 0
	s_mov_b32 s8, 0x5040100
.LBB28_24:                              ; =>This Inner Loop Header: Depth=1
	global_load_dwordx2 v[4:5], v[2:3], off
	v_lshl_add_u64 v[0:1], v[0:1], 0, s[2:3]
	v_lshlrev_b64 v[6:7], 2, v[0:1]
	v_cmp_le_i64_e32 vcc, s[4:5], v[6:7]
	s_or_b64 s[6:7], vcc, s[6:7]
	s_waitcnt vmcnt(0)
	v_mul_lo_u16_e32 v6, s26, v4
	v_mul_lo_u16_sdwa v4, s26, v4 dst_sel:DWORD dst_unused:UNUSED_PAD src0_sel:DWORD src1_sel:WORD_1
	v_mul_lo_u16_e32 v7, s26, v5
	v_mul_lo_u16_sdwa v5, s26, v5 dst_sel:DWORD dst_unused:UNUSED_PAD src0_sel:DWORD src1_sel:WORD_1
	v_perm_b32 v5, v5, v7, s8
	v_perm_b32 v4, v4, v6, s8
	global_store_dwordx2 v[2:3], v[4:5], off
	v_lshl_add_u64 v[2:3], v[2:3], 0, s[0:1]
	s_andn2_b64 exec, exec, s[6:7]
	s_cbranch_execnz .LBB28_24
.LBB28_25:
	s_endpgm
	.section	.rodata,"a",@progbits
	.p2align	6, 0x0
	.amdhsa_kernel _ZN2at6native12_GLOBAL__N_125multi_tensor_apply_kernelINS1_18TensorListMetadataILi1EEENS1_21BinaryOpScalarFunctorIsLi1ELi1ELi0EEEJSt10multipliesIsEsEEEvT_T0_DpT1_
		.amdhsa_group_segment_fixed_size 0
		.amdhsa_private_segment_fixed_size 0
		.amdhsa_kernarg_size 3632
		.amdhsa_user_sgpr_count 2
		.amdhsa_user_sgpr_dispatch_ptr 0
		.amdhsa_user_sgpr_queue_ptr 0
		.amdhsa_user_sgpr_kernarg_segment_ptr 1
		.amdhsa_user_sgpr_dispatch_id 0
		.amdhsa_user_sgpr_kernarg_preload_length 0
		.amdhsa_user_sgpr_kernarg_preload_offset 0
		.amdhsa_user_sgpr_private_segment_size 0
		.amdhsa_uses_dynamic_stack 0
		.amdhsa_enable_private_segment 0
		.amdhsa_system_sgpr_workgroup_id_x 1
		.amdhsa_system_sgpr_workgroup_id_y 0
		.amdhsa_system_sgpr_workgroup_id_z 0
		.amdhsa_system_sgpr_workgroup_info 0
		.amdhsa_system_vgpr_workitem_id 0
		.amdhsa_next_free_vgpr 22
		.amdhsa_next_free_sgpr 27
		.amdhsa_accum_offset 24
		.amdhsa_reserve_vcc 1
		.amdhsa_float_round_mode_32 0
		.amdhsa_float_round_mode_16_64 0
		.amdhsa_float_denorm_mode_32 3
		.amdhsa_float_denorm_mode_16_64 3
		.amdhsa_dx10_clamp 1
		.amdhsa_ieee_mode 1
		.amdhsa_fp16_overflow 0
		.amdhsa_tg_split 0
		.amdhsa_exception_fp_ieee_invalid_op 0
		.amdhsa_exception_fp_denorm_src 0
		.amdhsa_exception_fp_ieee_div_zero 0
		.amdhsa_exception_fp_ieee_overflow 0
		.amdhsa_exception_fp_ieee_underflow 0
		.amdhsa_exception_fp_ieee_inexact 0
		.amdhsa_exception_int_div_zero 0
	.end_amdhsa_kernel
	.section	.text._ZN2at6native12_GLOBAL__N_125multi_tensor_apply_kernelINS1_18TensorListMetadataILi1EEENS1_21BinaryOpScalarFunctorIsLi1ELi1ELi0EEEJSt10multipliesIsEsEEEvT_T0_DpT1_,"axG",@progbits,_ZN2at6native12_GLOBAL__N_125multi_tensor_apply_kernelINS1_18TensorListMetadataILi1EEENS1_21BinaryOpScalarFunctorIsLi1ELi1ELi0EEEJSt10multipliesIsEsEEEvT_T0_DpT1_,comdat
.Lfunc_end28:
	.size	_ZN2at6native12_GLOBAL__N_125multi_tensor_apply_kernelINS1_18TensorListMetadataILi1EEENS1_21BinaryOpScalarFunctorIsLi1ELi1ELi0EEEJSt10multipliesIsEsEEEvT_T0_DpT1_, .Lfunc_end28-_ZN2at6native12_GLOBAL__N_125multi_tensor_apply_kernelINS1_18TensorListMetadataILi1EEENS1_21BinaryOpScalarFunctorIsLi1ELi1ELi0EEEJSt10multipliesIsEsEEEvT_T0_DpT1_
                                        ; -- End function
	.set _ZN2at6native12_GLOBAL__N_125multi_tensor_apply_kernelINS1_18TensorListMetadataILi1EEENS1_21BinaryOpScalarFunctorIsLi1ELi1ELi0EEEJSt10multipliesIsEsEEEvT_T0_DpT1_.num_vgpr, 22
	.set _ZN2at6native12_GLOBAL__N_125multi_tensor_apply_kernelINS1_18TensorListMetadataILi1EEENS1_21BinaryOpScalarFunctorIsLi1ELi1ELi0EEEJSt10multipliesIsEsEEEvT_T0_DpT1_.num_agpr, 0
	.set _ZN2at6native12_GLOBAL__N_125multi_tensor_apply_kernelINS1_18TensorListMetadataILi1EEENS1_21BinaryOpScalarFunctorIsLi1ELi1ELi0EEEJSt10multipliesIsEsEEEvT_T0_DpT1_.numbered_sgpr, 27
	.set _ZN2at6native12_GLOBAL__N_125multi_tensor_apply_kernelINS1_18TensorListMetadataILi1EEENS1_21BinaryOpScalarFunctorIsLi1ELi1ELi0EEEJSt10multipliesIsEsEEEvT_T0_DpT1_.num_named_barrier, 0
	.set _ZN2at6native12_GLOBAL__N_125multi_tensor_apply_kernelINS1_18TensorListMetadataILi1EEENS1_21BinaryOpScalarFunctorIsLi1ELi1ELi0EEEJSt10multipliesIsEsEEEvT_T0_DpT1_.private_seg_size, 0
	.set _ZN2at6native12_GLOBAL__N_125multi_tensor_apply_kernelINS1_18TensorListMetadataILi1EEENS1_21BinaryOpScalarFunctorIsLi1ELi1ELi0EEEJSt10multipliesIsEsEEEvT_T0_DpT1_.uses_vcc, 1
	.set _ZN2at6native12_GLOBAL__N_125multi_tensor_apply_kernelINS1_18TensorListMetadataILi1EEENS1_21BinaryOpScalarFunctorIsLi1ELi1ELi0EEEJSt10multipliesIsEsEEEvT_T0_DpT1_.uses_flat_scratch, 0
	.set _ZN2at6native12_GLOBAL__N_125multi_tensor_apply_kernelINS1_18TensorListMetadataILi1EEENS1_21BinaryOpScalarFunctorIsLi1ELi1ELi0EEEJSt10multipliesIsEsEEEvT_T0_DpT1_.has_dyn_sized_stack, 0
	.set _ZN2at6native12_GLOBAL__N_125multi_tensor_apply_kernelINS1_18TensorListMetadataILi1EEENS1_21BinaryOpScalarFunctorIsLi1ELi1ELi0EEEJSt10multipliesIsEsEEEvT_T0_DpT1_.has_recursion, 0
	.set _ZN2at6native12_GLOBAL__N_125multi_tensor_apply_kernelINS1_18TensorListMetadataILi1EEENS1_21BinaryOpScalarFunctorIsLi1ELi1ELi0EEEJSt10multipliesIsEsEEEvT_T0_DpT1_.has_indirect_call, 0
	.section	.AMDGPU.csdata,"",@progbits
; Kernel info:
; codeLenInByte = 952
; TotalNumSgprs: 33
; NumVgprs: 22
; NumAgprs: 0
; TotalNumVgprs: 22
; ScratchSize: 0
; MemoryBound: 0
; FloatMode: 240
; IeeeMode: 1
; LDSByteSize: 0 bytes/workgroup (compile time only)
; SGPRBlocks: 4
; VGPRBlocks: 2
; NumSGPRsForWavesPerEU: 33
; NumVGPRsForWavesPerEU: 22
; AccumOffset: 24
; Occupancy: 8
; WaveLimiterHint : 0
; COMPUTE_PGM_RSRC2:SCRATCH_EN: 0
; COMPUTE_PGM_RSRC2:USER_SGPR: 2
; COMPUTE_PGM_RSRC2:TRAP_HANDLER: 0
; COMPUTE_PGM_RSRC2:TGID_X_EN: 1
; COMPUTE_PGM_RSRC2:TGID_Y_EN: 0
; COMPUTE_PGM_RSRC2:TGID_Z_EN: 0
; COMPUTE_PGM_RSRC2:TIDIG_COMP_CNT: 0
; COMPUTE_PGM_RSRC3_GFX90A:ACCUM_OFFSET: 5
; COMPUTE_PGM_RSRC3_GFX90A:TG_SPLIT: 0
	.section	.text._ZN2at6native12_GLOBAL__N_125multi_tensor_apply_kernelINS1_18TensorListMetadataILi1EEENS1_21BinaryOpScalarFunctorIdLi1ELi1ELi0EEEJSt10multipliesIdEdEEEvT_T0_DpT1_,"axG",@progbits,_ZN2at6native12_GLOBAL__N_125multi_tensor_apply_kernelINS1_18TensorListMetadataILi1EEENS1_21BinaryOpScalarFunctorIdLi1ELi1ELi0EEEJSt10multipliesIdEdEEEvT_T0_DpT1_,comdat
	.globl	_ZN2at6native12_GLOBAL__N_125multi_tensor_apply_kernelINS1_18TensorListMetadataILi1EEENS1_21BinaryOpScalarFunctorIdLi1ELi1ELi0EEEJSt10multipliesIdEdEEEvT_T0_DpT1_ ; -- Begin function _ZN2at6native12_GLOBAL__N_125multi_tensor_apply_kernelINS1_18TensorListMetadataILi1EEENS1_21BinaryOpScalarFunctorIdLi1ELi1ELi0EEEJSt10multipliesIdEdEEEvT_T0_DpT1_
	.p2align	8
	.type	_ZN2at6native12_GLOBAL__N_125multi_tensor_apply_kernelINS1_18TensorListMetadataILi1EEENS1_21BinaryOpScalarFunctorIdLi1ELi1ELi0EEEJSt10multipliesIdEdEEEvT_T0_DpT1_,@function
_ZN2at6native12_GLOBAL__N_125multi_tensor_apply_kernelINS1_18TensorListMetadataILi1EEENS1_21BinaryOpScalarFunctorIdLi1ELi1ELi0EEEJSt10multipliesIdEdEEEvT_T0_DpT1_: ; @_ZN2at6native12_GLOBAL__N_125multi_tensor_apply_kernelINS1_18TensorListMetadataILi1EEENS1_21BinaryOpScalarFunctorIdLi1ELi1ELi0EEEJSt10multipliesIdEdEEEvT_T0_DpT1_
; %bb.0:
	v_mov_b32_e32 v1, s2
	global_load_ubyte v1, v1, s[0:1] offset:1760
	s_add_u32 s3, s0, s2
	s_mul_hi_u32 s4, s2, 3
	s_mul_i32 s2, s2, 3
	s_addc_u32 s5, s1, 0
	s_add_u32 s2, s3, s2
	s_addc_u32 s3, s5, s4
	s_load_dword s2, s[2:3], 0x820
	s_mov_b32 s7, 0
	s_waitcnt vmcnt(0)
	v_readfirstlane_b32 s3, v1
	s_lshl_b32 s3, s3, 3
	s_load_dwordx2 s[8:9], s[0:1], 0xd30
	s_load_dwordx2 s[4:5], s[0:1], s3 offset:0x370
	s_load_dwordx2 s[10:11], s[0:1], s3 offset:0x0
	s_waitcnt lgkmcnt(0)
	s_ashr_i32 s3, s2, 31
	s_lshl_b64 s[12:13], s[2:3], 19
	s_lshl_b64 s[2:3], s[2:3], 16
	s_and_b32 s6, s10, 31
	s_sub_u32 s14, s4, s2
	s_subb_u32 s15, s5, s3
	s_and_b32 s2, s4, 3
	s_mov_b32 s3, s7
	s_or_b64 s[2:3], s[6:7], s[2:3]
	s_cmp_eq_u64 s[2:3], 0
	s_cbranch_scc1 .LBB29_21
; %bb.1:
	v_cmp_lt_i64_e64 s[2:3], s[14:15], 1
	s_and_b64 vcc, exec, s[2:3]
	s_cbranch_vccnz .LBB29_20
; %bb.2:
	s_load_dword s2, s[0:1], 0xd44
	v_mov_b64_e32 v[2:3], 0x10000
	v_cmp_lt_i64_e32 vcc, s[14:15], v[2:3]
	s_and_b64 s[4:5], vcc, exec
	s_cselect_b32 s5, s15, 0
	s_cselect_b32 s4, s14, 0x10000
	s_waitcnt lgkmcnt(0)
	s_and_b32 s2, s2, 0xffff
	v_cmp_lt_u64_e32 vcc, s[14:15], v[2:3]
	s_and_b64 s[6:7], vcc, exec
	s_mov_b32 s3, 0
	v_mov_b32_e32 v1, 0
	s_cselect_b32 s17, s15, 0
	s_cselect_b32 s16, s14, 0x10000
	s_lshl_b32 s6, s2, 1
	s_lshl_b32 s28, s2, 2
	s_add_u32 s24, s10, s12
	v_lshl_add_u64 v[8:9], v[0:1], 0, s[2:3]
	s_mov_b32 s7, s3
	s_mul_i32 s22, s2, 3
	s_mov_b32 s23, s3
	v_lshlrev_b32_e32 v2, 3, v0
	v_mov_b32_e32 v3, v1
	s_addc_u32 s25, s11, s13
	v_lshlrev_b32_e32 v10, 3, v8
	v_mov_b32_e32 v11, v1
	v_lshl_add_u64 v[2:3], s[24:25], 0, v[2:3]
	s_lshl_b32 s18, s2, 5
	s_mov_b32 s19, s3
	s_mul_i32 s20, s2, 24
	s_mov_b32 s21, s3
	v_lshl_add_u64 v[4:5], s[22:23], 0, v[0:1]
	s_lshl_b32 s22, s2, 4
	v_lshl_add_u64 v[6:7], s[6:7], 0, v[0:1]
	v_lshl_add_u64 v[10:11], s[24:25], 0, v[10:11]
	s_mov_b64 s[24:25], 0
	v_mov_b64_e32 v[12:13], s[4:5]
	s_branch .LBB29_4
.LBB29_3:                               ;   in Loop: Header=BB29_4 Depth=1
	s_or_b64 exec, exec, s[2:3]
	s_add_u32 s24, s24, s28
	s_addc_u32 s25, s25, 0
	v_cmp_lt_i64_e32 vcc, s[24:25], v[12:13]
	v_lshl_add_u64 v[2:3], v[2:3], 0, s[18:19]
	v_lshl_add_u64 v[10:11], v[10:11], 0, s[18:19]
	s_cbranch_vccz .LBB29_20
.LBB29_4:                               ; =>This Inner Loop Header: Depth=1
	s_waitcnt vmcnt(0)
	v_lshl_add_u64 v[14:15], v[0:1], 0, s[24:25]
	v_cmp_gt_u64_e32 vcc, s[16:17], v[14:15]
	v_mov_b64_e32 v[14:15], 0
	v_mov_b64_e32 v[18:19], 0
	s_and_saveexec_b64 s[2:3], vcc
	s_cbranch_execz .LBB29_6
; %bb.5:                                ;   in Loop: Header=BB29_4 Depth=1
	global_load_dwordx2 v[18:19], v[2:3], off
.LBB29_6:                               ;   in Loop: Header=BB29_4 Depth=1
	s_or_b64 exec, exec, s[2:3]
	v_lshl_add_u64 v[16:17], v[8:9], 0, s[24:25]
	v_cmp_gt_u64_e64 s[2:3], s[16:17], v[16:17]
	s_and_saveexec_b64 s[4:5], s[2:3]
	s_cbranch_execz .LBB29_8
; %bb.7:                                ;   in Loop: Header=BB29_4 Depth=1
	global_load_dwordx2 v[14:15], v[10:11], off
.LBB29_8:                               ;   in Loop: Header=BB29_4 Depth=1
	s_or_b64 exec, exec, s[4:5]
	v_lshl_add_u64 v[16:17], v[6:7], 0, s[24:25]
	v_cmp_gt_u64_e64 s[4:5], s[16:17], v[16:17]
	v_mov_b64_e32 v[16:17], 0
	v_lshl_add_u64 v[20:21], v[2:3], 0, s[22:23]
	v_mov_b64_e32 v[22:23], 0
	s_and_saveexec_b64 s[6:7], s[4:5]
	s_cbranch_execz .LBB29_10
; %bb.9:                                ;   in Loop: Header=BB29_4 Depth=1
	global_load_dwordx2 v[22:23], v[20:21], off
.LBB29_10:                              ;   in Loop: Header=BB29_4 Depth=1
	s_or_b64 exec, exec, s[6:7]
	v_lshl_add_u64 v[24:25], v[4:5], 0, s[24:25]
	v_cmp_gt_u64_e64 s[6:7], s[16:17], v[24:25]
	v_lshl_add_u64 v[24:25], v[2:3], 0, s[20:21]
	s_and_saveexec_b64 s[26:27], s[6:7]
	s_cbranch_execnz .LBB29_15
; %bb.11:                               ;   in Loop: Header=BB29_4 Depth=1
	s_or_b64 exec, exec, s[26:27]
	s_and_saveexec_b64 s[26:27], vcc
	s_cbranch_execnz .LBB29_16
.LBB29_12:                              ;   in Loop: Header=BB29_4 Depth=1
	s_or_b64 exec, exec, s[26:27]
	s_and_saveexec_b64 s[26:27], s[2:3]
	s_cbranch_execnz .LBB29_17
.LBB29_13:                              ;   in Loop: Header=BB29_4 Depth=1
	s_or_b64 exec, exec, s[26:27]
	s_and_saveexec_b64 s[2:3], s[4:5]
	s_cbranch_execnz .LBB29_18
.LBB29_14:                              ;   in Loop: Header=BB29_4 Depth=1
	s_or_b64 exec, exec, s[2:3]
	s_and_saveexec_b64 s[2:3], s[6:7]
	s_cbranch_execz .LBB29_3
	s_branch .LBB29_19
.LBB29_15:                              ;   in Loop: Header=BB29_4 Depth=1
	global_load_dwordx2 v[16:17], v[24:25], off
	s_or_b64 exec, exec, s[26:27]
	s_and_saveexec_b64 s[26:27], vcc
	s_cbranch_execz .LBB29_12
.LBB29_16:                              ;   in Loop: Header=BB29_4 Depth=1
	s_waitcnt vmcnt(0)
	v_mul_f64 v[18:19], s[8:9], v[18:19]
	global_store_dwordx2 v[2:3], v[18:19], off
	s_or_b64 exec, exec, s[26:27]
	s_and_saveexec_b64 s[26:27], s[2:3]
	s_cbranch_execz .LBB29_13
.LBB29_17:                              ;   in Loop: Header=BB29_4 Depth=1
	s_waitcnt vmcnt(0)
	v_mul_f64 v[14:15], s[8:9], v[14:15]
	global_store_dwordx2 v[10:11], v[14:15], off
	s_or_b64 exec, exec, s[26:27]
	s_and_saveexec_b64 s[2:3], s[4:5]
	s_cbranch_execz .LBB29_14
.LBB29_18:                              ;   in Loop: Header=BB29_4 Depth=1
	s_waitcnt vmcnt(0)
	v_mul_f64 v[14:15], s[8:9], v[22:23]
	global_store_dwordx2 v[20:21], v[14:15], off
	s_or_b64 exec, exec, s[2:3]
	s_and_saveexec_b64 s[2:3], s[6:7]
	s_cbranch_execz .LBB29_3
.LBB29_19:                              ;   in Loop: Header=BB29_4 Depth=1
	s_waitcnt vmcnt(0)
	v_mul_f64 v[14:15], s[8:9], v[16:17]
	global_store_dwordx2 v[24:25], v[14:15], off
	s_branch .LBB29_3
.LBB29_20:
	s_cbranch_execz .LBB29_22
	s_branch .LBB29_25
.LBB29_21:
.LBB29_22:
	v_mov_b64_e32 v[4:5], 0x10000
	v_cmp_lt_i64_e32 vcc, s[14:15], v[4:5]
	s_and_b64 s[4:5], vcc, exec
	v_mov_b32_e32 v3, 0
	s_cselect_b32 s5, s15, 0
	s_cselect_b32 s4, s14, 0x10000
	v_lshlrev_b32_e32 v2, 2, v0
	s_mov_b32 s3, 0
	v_cmp_gt_i64_e32 vcc, s[4:5], v[2:3]
	s_and_saveexec_b64 s[6:7], vcc
	s_cbranch_execz .LBB29_25
; %bb.23:
	s_load_dword s0, s[0:1], 0xd44
	v_lshlrev_b32_e32 v2, 5, v0
	v_mov_b32_e32 v1, v3
	s_mov_b32 s1, s3
	s_waitcnt lgkmcnt(0)
	s_and_b32 s2, s0, 0xffff
	s_add_u32 s6, s10, s12
	s_addc_u32 s7, s11, s13
	v_lshl_add_u64 v[2:3], s[6:7], 0, v[2:3]
	s_lshl_b32 s0, s2, 5
	v_lshl_add_u64 v[2:3], v[2:3], 0, 16
	s_mov_b64 s[6:7], 0
.LBB29_24:                              ; =>This Inner Loop Header: Depth=1
	global_load_dwordx4 v[4:7], v[2:3], off offset:-16
	global_load_dwordx4 v[8:11], v[2:3], off
	v_lshl_add_u64 v[0:1], v[0:1], 0, s[2:3]
	v_lshlrev_b64 v[12:13], 2, v[0:1]
	v_cmp_le_i64_e32 vcc, s[4:5], v[12:13]
	s_or_b64 s[6:7], vcc, s[6:7]
	s_waitcnt vmcnt(1)
	v_mul_f64 v[4:5], s[8:9], v[4:5]
	v_mul_f64 v[6:7], s[8:9], v[6:7]
	s_waitcnt vmcnt(0)
	v_mul_f64 v[8:9], s[8:9], v[8:9]
	v_mul_f64 v[10:11], s[8:9], v[10:11]
	global_store_dwordx4 v[2:3], v[4:7], off offset:-16
	global_store_dwordx4 v[2:3], v[8:11], off
	v_lshl_add_u64 v[2:3], v[2:3], 0, s[0:1]
	s_andn2_b64 exec, exec, s[6:7]
	s_cbranch_execnz .LBB29_24
.LBB29_25:
	s_endpgm
	.section	.rodata,"a",@progbits
	.p2align	6, 0x0
	.amdhsa_kernel _ZN2at6native12_GLOBAL__N_125multi_tensor_apply_kernelINS1_18TensorListMetadataILi1EEENS1_21BinaryOpScalarFunctorIdLi1ELi1ELi0EEEJSt10multipliesIdEdEEEvT_T0_DpT1_
		.amdhsa_group_segment_fixed_size 0
		.amdhsa_private_segment_fixed_size 0
		.amdhsa_kernarg_size 3640
		.amdhsa_user_sgpr_count 2
		.amdhsa_user_sgpr_dispatch_ptr 0
		.amdhsa_user_sgpr_queue_ptr 0
		.amdhsa_user_sgpr_kernarg_segment_ptr 1
		.amdhsa_user_sgpr_dispatch_id 0
		.amdhsa_user_sgpr_kernarg_preload_length 0
		.amdhsa_user_sgpr_kernarg_preload_offset 0
		.amdhsa_user_sgpr_private_segment_size 0
		.amdhsa_uses_dynamic_stack 0
		.amdhsa_enable_private_segment 0
		.amdhsa_system_sgpr_workgroup_id_x 1
		.amdhsa_system_sgpr_workgroup_id_y 0
		.amdhsa_system_sgpr_workgroup_id_z 0
		.amdhsa_system_sgpr_workgroup_info 0
		.amdhsa_system_vgpr_workitem_id 0
		.amdhsa_next_free_vgpr 26
		.amdhsa_next_free_sgpr 29
		.amdhsa_accum_offset 28
		.amdhsa_reserve_vcc 1
		.amdhsa_float_round_mode_32 0
		.amdhsa_float_round_mode_16_64 0
		.amdhsa_float_denorm_mode_32 3
		.amdhsa_float_denorm_mode_16_64 3
		.amdhsa_dx10_clamp 1
		.amdhsa_ieee_mode 1
		.amdhsa_fp16_overflow 0
		.amdhsa_tg_split 0
		.amdhsa_exception_fp_ieee_invalid_op 0
		.amdhsa_exception_fp_denorm_src 0
		.amdhsa_exception_fp_ieee_div_zero 0
		.amdhsa_exception_fp_ieee_overflow 0
		.amdhsa_exception_fp_ieee_underflow 0
		.amdhsa_exception_fp_ieee_inexact 0
		.amdhsa_exception_int_div_zero 0
	.end_amdhsa_kernel
	.section	.text._ZN2at6native12_GLOBAL__N_125multi_tensor_apply_kernelINS1_18TensorListMetadataILi1EEENS1_21BinaryOpScalarFunctorIdLi1ELi1ELi0EEEJSt10multipliesIdEdEEEvT_T0_DpT1_,"axG",@progbits,_ZN2at6native12_GLOBAL__N_125multi_tensor_apply_kernelINS1_18TensorListMetadataILi1EEENS1_21BinaryOpScalarFunctorIdLi1ELi1ELi0EEEJSt10multipliesIdEdEEEvT_T0_DpT1_,comdat
.Lfunc_end29:
	.size	_ZN2at6native12_GLOBAL__N_125multi_tensor_apply_kernelINS1_18TensorListMetadataILi1EEENS1_21BinaryOpScalarFunctorIdLi1ELi1ELi0EEEJSt10multipliesIdEdEEEvT_T0_DpT1_, .Lfunc_end29-_ZN2at6native12_GLOBAL__N_125multi_tensor_apply_kernelINS1_18TensorListMetadataILi1EEENS1_21BinaryOpScalarFunctorIdLi1ELi1ELi0EEEJSt10multipliesIdEdEEEvT_T0_DpT1_
                                        ; -- End function
	.set _ZN2at6native12_GLOBAL__N_125multi_tensor_apply_kernelINS1_18TensorListMetadataILi1EEENS1_21BinaryOpScalarFunctorIdLi1ELi1ELi0EEEJSt10multipliesIdEdEEEvT_T0_DpT1_.num_vgpr, 26
	.set _ZN2at6native12_GLOBAL__N_125multi_tensor_apply_kernelINS1_18TensorListMetadataILi1EEENS1_21BinaryOpScalarFunctorIdLi1ELi1ELi0EEEJSt10multipliesIdEdEEEvT_T0_DpT1_.num_agpr, 0
	.set _ZN2at6native12_GLOBAL__N_125multi_tensor_apply_kernelINS1_18TensorListMetadataILi1EEENS1_21BinaryOpScalarFunctorIdLi1ELi1ELi0EEEJSt10multipliesIdEdEEEvT_T0_DpT1_.numbered_sgpr, 29
	.set _ZN2at6native12_GLOBAL__N_125multi_tensor_apply_kernelINS1_18TensorListMetadataILi1EEENS1_21BinaryOpScalarFunctorIdLi1ELi1ELi0EEEJSt10multipliesIdEdEEEvT_T0_DpT1_.num_named_barrier, 0
	.set _ZN2at6native12_GLOBAL__N_125multi_tensor_apply_kernelINS1_18TensorListMetadataILi1EEENS1_21BinaryOpScalarFunctorIdLi1ELi1ELi0EEEJSt10multipliesIdEdEEEvT_T0_DpT1_.private_seg_size, 0
	.set _ZN2at6native12_GLOBAL__N_125multi_tensor_apply_kernelINS1_18TensorListMetadataILi1EEENS1_21BinaryOpScalarFunctorIdLi1ELi1ELi0EEEJSt10multipliesIdEdEEEvT_T0_DpT1_.uses_vcc, 1
	.set _ZN2at6native12_GLOBAL__N_125multi_tensor_apply_kernelINS1_18TensorListMetadataILi1EEENS1_21BinaryOpScalarFunctorIdLi1ELi1ELi0EEEJSt10multipliesIdEdEEEvT_T0_DpT1_.uses_flat_scratch, 0
	.set _ZN2at6native12_GLOBAL__N_125multi_tensor_apply_kernelINS1_18TensorListMetadataILi1EEENS1_21BinaryOpScalarFunctorIdLi1ELi1ELi0EEEJSt10multipliesIdEdEEEvT_T0_DpT1_.has_dyn_sized_stack, 0
	.set _ZN2at6native12_GLOBAL__N_125multi_tensor_apply_kernelINS1_18TensorListMetadataILi1EEENS1_21BinaryOpScalarFunctorIdLi1ELi1ELi0EEEJSt10multipliesIdEdEEEvT_T0_DpT1_.has_recursion, 0
	.set _ZN2at6native12_GLOBAL__N_125multi_tensor_apply_kernelINS1_18TensorListMetadataILi1EEENS1_21BinaryOpScalarFunctorIdLi1ELi1ELi0EEEJSt10multipliesIdEdEEEvT_T0_DpT1_.has_indirect_call, 0
	.section	.AMDGPU.csdata,"",@progbits
; Kernel info:
; codeLenInByte = 972
; TotalNumSgprs: 35
; NumVgprs: 26
; NumAgprs: 0
; TotalNumVgprs: 26
; ScratchSize: 0
; MemoryBound: 0
; FloatMode: 240
; IeeeMode: 1
; LDSByteSize: 0 bytes/workgroup (compile time only)
; SGPRBlocks: 4
; VGPRBlocks: 3
; NumSGPRsForWavesPerEU: 35
; NumVGPRsForWavesPerEU: 26
; AccumOffset: 28
; Occupancy: 8
; WaveLimiterHint : 0
; COMPUTE_PGM_RSRC2:SCRATCH_EN: 0
; COMPUTE_PGM_RSRC2:USER_SGPR: 2
; COMPUTE_PGM_RSRC2:TRAP_HANDLER: 0
; COMPUTE_PGM_RSRC2:TGID_X_EN: 1
; COMPUTE_PGM_RSRC2:TGID_Y_EN: 0
; COMPUTE_PGM_RSRC2:TGID_Z_EN: 0
; COMPUTE_PGM_RSRC2:TIDIG_COMP_CNT: 0
; COMPUTE_PGM_RSRC3_GFX90A:ACCUM_OFFSET: 6
; COMPUTE_PGM_RSRC3_GFX90A:TG_SPLIT: 0
	.section	.text._ZN2at6native12_GLOBAL__N_125multi_tensor_apply_kernelINS1_18TensorListMetadataILi1EEENS1_21BinaryOpScalarFunctorIfLi1ELi1ELi0EEEJSt10multipliesIfEfEEEvT_T0_DpT1_,"axG",@progbits,_ZN2at6native12_GLOBAL__N_125multi_tensor_apply_kernelINS1_18TensorListMetadataILi1EEENS1_21BinaryOpScalarFunctorIfLi1ELi1ELi0EEEJSt10multipliesIfEfEEEvT_T0_DpT1_,comdat
	.globl	_ZN2at6native12_GLOBAL__N_125multi_tensor_apply_kernelINS1_18TensorListMetadataILi1EEENS1_21BinaryOpScalarFunctorIfLi1ELi1ELi0EEEJSt10multipliesIfEfEEEvT_T0_DpT1_ ; -- Begin function _ZN2at6native12_GLOBAL__N_125multi_tensor_apply_kernelINS1_18TensorListMetadataILi1EEENS1_21BinaryOpScalarFunctorIfLi1ELi1ELi0EEEJSt10multipliesIfEfEEEvT_T0_DpT1_
	.p2align	8
	.type	_ZN2at6native12_GLOBAL__N_125multi_tensor_apply_kernelINS1_18TensorListMetadataILi1EEENS1_21BinaryOpScalarFunctorIfLi1ELi1ELi0EEEJSt10multipliesIfEfEEEvT_T0_DpT1_,@function
_ZN2at6native12_GLOBAL__N_125multi_tensor_apply_kernelINS1_18TensorListMetadataILi1EEENS1_21BinaryOpScalarFunctorIfLi1ELi1ELi0EEEJSt10multipliesIfEfEEEvT_T0_DpT1_: ; @_ZN2at6native12_GLOBAL__N_125multi_tensor_apply_kernelINS1_18TensorListMetadataILi1EEENS1_21BinaryOpScalarFunctorIfLi1ELi1ELi0EEEJSt10multipliesIfEfEEEvT_T0_DpT1_
; %bb.0:
	v_mov_b32_e32 v1, s2
	global_load_ubyte v1, v1, s[0:1] offset:1760
	s_add_u32 s3, s0, s2
	s_mul_hi_u32 s4, s2, 3
	s_mul_i32 s2, s2, 3
	s_addc_u32 s5, s1, 0
	s_add_u32 s2, s3, s2
	s_addc_u32 s3, s5, s4
	s_load_dword s2, s[2:3], 0x820
	s_mov_b32 s7, 0
	s_waitcnt vmcnt(0)
	v_readfirstlane_b32 s3, v1
	s_lshl_b32 s3, s3, 3
	s_load_dword s10, s[0:1], 0xd2c
	s_load_dwordx2 s[4:5], s[0:1], s3 offset:0x370
	s_load_dwordx2 s[8:9], s[0:1], s3 offset:0x0
	s_waitcnt lgkmcnt(0)
	s_ashr_i32 s3, s2, 31
	s_lshl_b64 s[12:13], s[2:3], 18
	s_lshl_b64 s[2:3], s[2:3], 16
	s_and_b32 s6, s8, 15
	s_sub_u32 s14, s4, s2
	s_subb_u32 s15, s5, s3
	s_and_b32 s2, s4, 3
	s_mov_b32 s3, s7
	s_or_b64 s[2:3], s[6:7], s[2:3]
	s_cmp_eq_u64 s[2:3], 0
	s_cbranch_scc1 .LBB30_21
; %bb.1:
	v_cmp_lt_i64_e64 s[2:3], s[14:15], 1
	s_and_b64 vcc, exec, s[2:3]
	s_cbranch_vccnz .LBB30_20
; %bb.2:
	s_load_dword s2, s[0:1], 0xd3c
	v_mov_b64_e32 v[2:3], 0x10000
	v_cmp_lt_i64_e32 vcc, s[14:15], v[2:3]
	s_and_b64 s[4:5], vcc, exec
	s_cselect_b32 s5, s15, 0
	s_cselect_b32 s4, s14, 0x10000
	s_waitcnt lgkmcnt(0)
	s_and_b32 s2, s2, 0xffff
	v_cmp_lt_u64_e32 vcc, s[14:15], v[2:3]
	s_and_b64 s[6:7], vcc, exec
	s_mov_b32 s3, 0
	v_mov_b32_e32 v1, 0
	s_cselect_b32 s17, s15, 0
	s_cselect_b32 s16, s14, 0x10000
	s_lshl_b32 s6, s2, 1
	s_lshl_b32 s11, s2, 2
	s_add_u32 s24, s8, s12
	v_lshl_add_u64 v[8:9], v[0:1], 0, s[2:3]
	s_mov_b32 s7, s3
	s_mul_i32 s22, s2, 3
	s_mov_b32 s23, s3
	v_lshlrev_b32_e32 v2, 2, v0
	v_mov_b32_e32 v3, v1
	s_addc_u32 s25, s9, s13
	v_lshlrev_b32_e32 v10, 2, v8
	v_mov_b32_e32 v11, v1
	v_lshl_add_u64 v[2:3], s[24:25], 0, v[2:3]
	s_lshl_b32 s18, s2, 4
	s_mov_b32 s19, s3
	s_mul_i32 s20, s2, 12
	s_mov_b32 s21, s3
	v_lshl_add_u64 v[4:5], s[22:23], 0, v[0:1]
	s_lshl_b32 s22, s2, 3
	v_lshl_add_u64 v[6:7], s[6:7], 0, v[0:1]
	v_lshl_add_u64 v[10:11], s[24:25], 0, v[10:11]
	s_mov_b64 s[24:25], 0
	v_mov_b64_e32 v[12:13], s[4:5]
	s_branch .LBB30_4
.LBB30_3:                               ;   in Loop: Header=BB30_4 Depth=1
	s_or_b64 exec, exec, s[2:3]
	s_add_u32 s24, s24, s11
	s_addc_u32 s25, s25, 0
	v_cmp_lt_i64_e32 vcc, s[24:25], v[12:13]
	v_lshl_add_u64 v[2:3], v[2:3], 0, s[18:19]
	v_lshl_add_u64 v[10:11], v[10:11], 0, s[18:19]
	s_cbranch_vccz .LBB30_20
.LBB30_4:                               ; =>This Inner Loop Header: Depth=1
	v_lshl_add_u64 v[14:15], v[0:1], 0, s[24:25]
	v_cmp_gt_u64_e32 vcc, s[16:17], v[14:15]
	s_waitcnt vmcnt(0)
	v_mov_b32_e32 v19, 0
	s_and_saveexec_b64 s[2:3], vcc
	s_cbranch_execz .LBB30_6
; %bb.5:                                ;   in Loop: Header=BB30_4 Depth=1
	global_load_dword v19, v[2:3], off
.LBB30_6:                               ;   in Loop: Header=BB30_4 Depth=1
	s_or_b64 exec, exec, s[2:3]
	v_lshl_add_u64 v[14:15], v[8:9], 0, s[24:25]
	v_cmp_gt_u64_e64 s[2:3], s[16:17], v[14:15]
	v_mov_b32_e32 v18, 0
	v_mov_b32_e32 v20, 0
	s_and_saveexec_b64 s[4:5], s[2:3]
	s_cbranch_execz .LBB30_8
; %bb.7:                                ;   in Loop: Header=BB30_4 Depth=1
	global_load_dword v20, v[10:11], off
.LBB30_8:                               ;   in Loop: Header=BB30_4 Depth=1
	s_or_b64 exec, exec, s[4:5]
	v_lshl_add_u64 v[14:15], v[6:7], 0, s[24:25]
	v_cmp_gt_u64_e64 s[4:5], s[16:17], v[14:15]
	v_lshl_add_u64 v[14:15], v[2:3], 0, s[22:23]
	s_and_saveexec_b64 s[6:7], s[4:5]
	s_cbranch_execz .LBB30_10
; %bb.9:                                ;   in Loop: Header=BB30_4 Depth=1
	global_load_dword v18, v[14:15], off
.LBB30_10:                              ;   in Loop: Header=BB30_4 Depth=1
	s_or_b64 exec, exec, s[6:7]
	v_lshl_add_u64 v[16:17], v[4:5], 0, s[24:25]
	v_cmp_gt_u64_e64 s[6:7], s[16:17], v[16:17]
	v_mov_b32_e32 v21, 0
	v_lshl_add_u64 v[16:17], v[2:3], 0, s[20:21]
	s_and_saveexec_b64 s[26:27], s[6:7]
	s_cbranch_execnz .LBB30_15
; %bb.11:                               ;   in Loop: Header=BB30_4 Depth=1
	s_or_b64 exec, exec, s[26:27]
	s_and_saveexec_b64 s[26:27], vcc
	s_cbranch_execnz .LBB30_16
.LBB30_12:                              ;   in Loop: Header=BB30_4 Depth=1
	s_or_b64 exec, exec, s[26:27]
	s_and_saveexec_b64 s[26:27], s[2:3]
	s_cbranch_execnz .LBB30_17
.LBB30_13:                              ;   in Loop: Header=BB30_4 Depth=1
	s_or_b64 exec, exec, s[26:27]
	s_and_saveexec_b64 s[2:3], s[4:5]
	s_cbranch_execnz .LBB30_18
.LBB30_14:                              ;   in Loop: Header=BB30_4 Depth=1
	s_or_b64 exec, exec, s[2:3]
	s_and_saveexec_b64 s[2:3], s[6:7]
	s_cbranch_execz .LBB30_3
	s_branch .LBB30_19
.LBB30_15:                              ;   in Loop: Header=BB30_4 Depth=1
	global_load_dword v21, v[16:17], off
	s_or_b64 exec, exec, s[26:27]
	s_and_saveexec_b64 s[26:27], vcc
	s_cbranch_execz .LBB30_12
.LBB30_16:                              ;   in Loop: Header=BB30_4 Depth=1
	s_waitcnt vmcnt(0)
	v_mul_f32_e32 v19, s10, v19
	global_store_dword v[2:3], v19, off
	s_or_b64 exec, exec, s[26:27]
	s_and_saveexec_b64 s[26:27], s[2:3]
	s_cbranch_execz .LBB30_13
.LBB30_17:                              ;   in Loop: Header=BB30_4 Depth=1
	s_waitcnt vmcnt(0)
	v_mul_f32_e32 v19, s10, v20
	global_store_dword v[10:11], v19, off
	s_or_b64 exec, exec, s[26:27]
	s_and_saveexec_b64 s[2:3], s[4:5]
	s_cbranch_execz .LBB30_14
.LBB30_18:                              ;   in Loop: Header=BB30_4 Depth=1
	s_waitcnt vmcnt(0)
	v_mul_f32_e32 v18, s10, v18
	global_store_dword v[14:15], v18, off
	s_or_b64 exec, exec, s[2:3]
	s_and_saveexec_b64 s[2:3], s[6:7]
	s_cbranch_execz .LBB30_3
.LBB30_19:                              ;   in Loop: Header=BB30_4 Depth=1
	s_waitcnt vmcnt(0)
	v_mul_f32_e32 v14, s10, v21
	global_store_dword v[16:17], v14, off
	s_branch .LBB30_3
.LBB30_20:
	s_cbranch_execz .LBB30_22
	s_branch .LBB30_32
.LBB30_21:
.LBB30_22:
	v_mov_b64_e32 v[4:5], 0x10000
	v_cmp_lt_i64_e32 vcc, s[14:15], v[4:5]
	s_and_b64 s[2:3], vcc, exec
	v_mov_b32_e32 v3, 0
	s_cselect_b32 s3, s15, 0
	s_cselect_b32 s2, s14, 0x10000
	v_lshlrev_b32_e32 v2, 2, v0
	s_mov_b32 s4, 0
	v_cmp_gt_i64_e32 vcc, s[2:3], v[2:3]
	s_and_saveexec_b64 s[6:7], vcc
	s_cbranch_execz .LBB30_32
; %bb.23:
	v_add_u32_e32 v4, 4, v2
	v_mov_b32_e32 v5, v3
	v_mov_b32_e32 v6, s3
	v_cmp_gt_i64_e32 vcc, s[2:3], v[4:5]
	s_load_dword s0, s[0:1], 0xd3c
	v_mov_b32_e32 v1, v3
	v_cndmask_b32_e32 v5, 0, v6, vcc
	v_mov_b32_e32 v6, s2
	v_cndmask_b32_e32 v4, v4, v6, vcc
	v_lshl_add_u64 v[4:5], v[4:5], 0, -4
	v_cmp_ne_u64_e32 vcc, v[4:5], v[2:3]
	s_waitcnt lgkmcnt(0)
	s_and_b32 s0, s0, 0xffff
	v_mov_b32_e32 v7, s4
	v_cndmask_b32_e64 v6, 0, 1, vcc
	v_or_b32_e32 v2, v2, v6
	v_sub_co_u32_e32 v2, vcc, v4, v2
	s_cmp_lg_u32 s0, 1
	s_nop 0
	v_subbrev_co_u32_e32 v3, vcc, 0, v5, vcc
	v_lshrrev_b64 v[2:3], 2, v[2:3]
	v_lshl_add_u64 v[4:5], v[2:3], 0, v[6:7]
	v_cmp_eq_u64_e32 vcc, 0, v[4:5]
	s_cselect_b64 s[6:7], -1, 0
	s_mov_b64 s[4:5], 0
	s_or_b64 s[6:7], vcc, s[6:7]
	s_and_saveexec_b64 s[14:15], s[6:7]
	s_xor_b64 s[6:7], exec, s[14:15]
	s_cbranch_execnz .LBB30_26
; %bb.24:
	s_or_saveexec_b64 s[6:7], s[6:7]
	v_mov_b64_e32 v[2:3], s[10:11]
	s_xor_b64 exec, exec, s[6:7]
	s_cbranch_execnz .LBB30_27
.LBB30_25:
	s_or_b64 exec, exec, s[6:7]
	s_and_b64 exec, exec, s[4:5]
	s_cbranch_execnz .LBB30_30
	s_branch .LBB30_32
.LBB30_26:
	s_mov_b64 s[4:5], exec
                                        ; implicit-def: $vgpr4_vgpr5
	s_or_saveexec_b64 s[6:7], s[6:7]
	v_mov_b64_e32 v[2:3], s[10:11]
	s_xor_b64 exec, exec, s[6:7]
	s_cbranch_execz .LBB30_25
.LBB30_27:
	s_add_u32 s14, s8, s12
	v_lshl_add_u64 v[2:3], v[4:5], 0, 1
	v_lshlrev_b32_e32 v6, 4, v0
	v_mov_b32_e32 v7, 0
	s_addc_u32 s15, s9, s13
	v_and_b32_e32 v4, -2, v2
	v_mov_b32_e32 v5, v3
	v_lshl_add_u64 v[6:7], s[14:15], 0, v[6:7]
	s_mov_b32 s11, s10
	v_lshl_add_u64 v[6:7], v[6:7], 0, 28
	s_mov_b64 s[14:15], 0
	v_mov_b64_e32 v[8:9], v[4:5]
.LBB30_28:                              ; =>This Inner Loop Header: Depth=1
	global_load_dwordx4 v[10:13], v[6:7], off offset:-28
	global_load_dwordx4 v[14:17], v[6:7], off offset:-12
	v_lshl_add_u64 v[8:9], v[8:9], 0, -2
	v_cmp_eq_u64_e32 vcc, 0, v[8:9]
	s_or_b64 s[14:15], vcc, s[14:15]
	s_waitcnt vmcnt(1)
	v_mov_b32_e32 v18, v10
	s_waitcnt vmcnt(0)
	v_mov_b32_e32 v19, v14
	v_mov_b32_e32 v14, v11
	;; [unrolled: 1-line block ×5, first 2 shown]
	v_pk_mul_f32 v[18:19], s[10:11], v[18:19]
	v_pk_mul_f32 v[10:11], s[10:11], v[14:15]
	;; [unrolled: 1-line block ×4, first 2 shown]
	v_mov_b32_e32 v14, v18
	v_mov_b32_e32 v15, v10
	;; [unrolled: 1-line block ×6, first 2 shown]
	global_store_dwordx4 v[6:7], v[14:17], off offset:-28
	global_store_dwordx4 v[6:7], v[10:13], off offset:-12
	v_lshl_add_u64 v[6:7], v[6:7], 0, 32
	s_andn2_b64 exec, exec, s[14:15]
	s_cbranch_execnz .LBB30_28
; %bb.29:
	s_or_b64 exec, exec, s[14:15]
	v_cmp_ne_u64_e32 vcc, v[2:3], v[4:5]
	s_andn2_b64 s[4:5], s[4:5], exec
	s_and_b64 s[14:15], vcc, exec
	v_lshl_add_u64 v[0:1], v[4:5], 0, v[0:1]
	v_mov_b64_e32 v[2:3], s[10:11]
	s_or_b64 s[4:5], s[4:5], s[14:15]
	s_or_b64 exec, exec, s[6:7]
	s_and_b64 exec, exec, s[4:5]
	s_cbranch_execz .LBB30_32
.LBB30_30:
	s_add_u32 s4, s8, s12
	s_addc_u32 s5, s9, s13
	s_mov_b32 s1, 0
	v_lshl_add_u64 v[4:5], v[0:1], 4, s[4:5]
	v_mov_b32_e32 v3, s10
	v_lshl_add_u64 v[4:5], v[4:5], 0, 8
	s_lshl_b32 s4, s0, 4
	s_mov_b32 s5, s1
	s_mov_b64 s[6:7], 0
.LBB30_31:                              ; =>This Inner Loop Header: Depth=1
	global_load_dwordx4 v[6:9], v[4:5], off offset:-8
	v_lshl_add_u64 v[0:1], v[0:1], 0, s[0:1]
	v_lshlrev_b64 v[10:11], 2, v[0:1]
	v_cmp_le_i64_e32 vcc, s[2:3], v[10:11]
	s_or_b64 s[6:7], vcc, s[6:7]
	s_waitcnt vmcnt(0)
	v_pk_mul_f32 v[6:7], v[2:3], v[6:7]
	v_pk_mul_f32 v[8:9], v[2:3], v[8:9]
	global_store_dwordx4 v[4:5], v[6:9], off offset:-8
	v_lshl_add_u64 v[4:5], v[4:5], 0, s[4:5]
	s_andn2_b64 exec, exec, s[6:7]
	s_cbranch_execnz .LBB30_31
.LBB30_32:
	s_endpgm
	.section	.rodata,"a",@progbits
	.p2align	6, 0x0
	.amdhsa_kernel _ZN2at6native12_GLOBAL__N_125multi_tensor_apply_kernelINS1_18TensorListMetadataILi1EEENS1_21BinaryOpScalarFunctorIfLi1ELi1ELi0EEEJSt10multipliesIfEfEEEvT_T0_DpT1_
		.amdhsa_group_segment_fixed_size 0
		.amdhsa_private_segment_fixed_size 0
		.amdhsa_kernarg_size 3632
		.amdhsa_user_sgpr_count 2
		.amdhsa_user_sgpr_dispatch_ptr 0
		.amdhsa_user_sgpr_queue_ptr 0
		.amdhsa_user_sgpr_kernarg_segment_ptr 1
		.amdhsa_user_sgpr_dispatch_id 0
		.amdhsa_user_sgpr_kernarg_preload_length 0
		.amdhsa_user_sgpr_kernarg_preload_offset 0
		.amdhsa_user_sgpr_private_segment_size 0
		.amdhsa_uses_dynamic_stack 0
		.amdhsa_enable_private_segment 0
		.amdhsa_system_sgpr_workgroup_id_x 1
		.amdhsa_system_sgpr_workgroup_id_y 0
		.amdhsa_system_sgpr_workgroup_id_z 0
		.amdhsa_system_sgpr_workgroup_info 0
		.amdhsa_system_vgpr_workitem_id 0
		.amdhsa_next_free_vgpr 22
		.amdhsa_next_free_sgpr 28
		.amdhsa_accum_offset 24
		.amdhsa_reserve_vcc 1
		.amdhsa_float_round_mode_32 0
		.amdhsa_float_round_mode_16_64 0
		.amdhsa_float_denorm_mode_32 3
		.amdhsa_float_denorm_mode_16_64 3
		.amdhsa_dx10_clamp 1
		.amdhsa_ieee_mode 1
		.amdhsa_fp16_overflow 0
		.amdhsa_tg_split 0
		.amdhsa_exception_fp_ieee_invalid_op 0
		.amdhsa_exception_fp_denorm_src 0
		.amdhsa_exception_fp_ieee_div_zero 0
		.amdhsa_exception_fp_ieee_overflow 0
		.amdhsa_exception_fp_ieee_underflow 0
		.amdhsa_exception_fp_ieee_inexact 0
		.amdhsa_exception_int_div_zero 0
	.end_amdhsa_kernel
	.section	.text._ZN2at6native12_GLOBAL__N_125multi_tensor_apply_kernelINS1_18TensorListMetadataILi1EEENS1_21BinaryOpScalarFunctorIfLi1ELi1ELi0EEEJSt10multipliesIfEfEEEvT_T0_DpT1_,"axG",@progbits,_ZN2at6native12_GLOBAL__N_125multi_tensor_apply_kernelINS1_18TensorListMetadataILi1EEENS1_21BinaryOpScalarFunctorIfLi1ELi1ELi0EEEJSt10multipliesIfEfEEEvT_T0_DpT1_,comdat
.Lfunc_end30:
	.size	_ZN2at6native12_GLOBAL__N_125multi_tensor_apply_kernelINS1_18TensorListMetadataILi1EEENS1_21BinaryOpScalarFunctorIfLi1ELi1ELi0EEEJSt10multipliesIfEfEEEvT_T0_DpT1_, .Lfunc_end30-_ZN2at6native12_GLOBAL__N_125multi_tensor_apply_kernelINS1_18TensorListMetadataILi1EEENS1_21BinaryOpScalarFunctorIfLi1ELi1ELi0EEEJSt10multipliesIfEfEEEvT_T0_DpT1_
                                        ; -- End function
	.set _ZN2at6native12_GLOBAL__N_125multi_tensor_apply_kernelINS1_18TensorListMetadataILi1EEENS1_21BinaryOpScalarFunctorIfLi1ELi1ELi0EEEJSt10multipliesIfEfEEEvT_T0_DpT1_.num_vgpr, 22
	.set _ZN2at6native12_GLOBAL__N_125multi_tensor_apply_kernelINS1_18TensorListMetadataILi1EEENS1_21BinaryOpScalarFunctorIfLi1ELi1ELi0EEEJSt10multipliesIfEfEEEvT_T0_DpT1_.num_agpr, 0
	.set _ZN2at6native12_GLOBAL__N_125multi_tensor_apply_kernelINS1_18TensorListMetadataILi1EEENS1_21BinaryOpScalarFunctorIfLi1ELi1ELi0EEEJSt10multipliesIfEfEEEvT_T0_DpT1_.numbered_sgpr, 28
	.set _ZN2at6native12_GLOBAL__N_125multi_tensor_apply_kernelINS1_18TensorListMetadataILi1EEENS1_21BinaryOpScalarFunctorIfLi1ELi1ELi0EEEJSt10multipliesIfEfEEEvT_T0_DpT1_.num_named_barrier, 0
	.set _ZN2at6native12_GLOBAL__N_125multi_tensor_apply_kernelINS1_18TensorListMetadataILi1EEENS1_21BinaryOpScalarFunctorIfLi1ELi1ELi0EEEJSt10multipliesIfEfEEEvT_T0_DpT1_.private_seg_size, 0
	.set _ZN2at6native12_GLOBAL__N_125multi_tensor_apply_kernelINS1_18TensorListMetadataILi1EEENS1_21BinaryOpScalarFunctorIfLi1ELi1ELi0EEEJSt10multipliesIfEfEEEvT_T0_DpT1_.uses_vcc, 1
	.set _ZN2at6native12_GLOBAL__N_125multi_tensor_apply_kernelINS1_18TensorListMetadataILi1EEENS1_21BinaryOpScalarFunctorIfLi1ELi1ELi0EEEJSt10multipliesIfEfEEEvT_T0_DpT1_.uses_flat_scratch, 0
	.set _ZN2at6native12_GLOBAL__N_125multi_tensor_apply_kernelINS1_18TensorListMetadataILi1EEENS1_21BinaryOpScalarFunctorIfLi1ELi1ELi0EEEJSt10multipliesIfEfEEEvT_T0_DpT1_.has_dyn_sized_stack, 0
	.set _ZN2at6native12_GLOBAL__N_125multi_tensor_apply_kernelINS1_18TensorListMetadataILi1EEENS1_21BinaryOpScalarFunctorIfLi1ELi1ELi0EEEJSt10multipliesIfEfEEEvT_T0_DpT1_.has_recursion, 0
	.set _ZN2at6native12_GLOBAL__N_125multi_tensor_apply_kernelINS1_18TensorListMetadataILi1EEENS1_21BinaryOpScalarFunctorIfLi1ELi1ELi0EEEJSt10multipliesIfEfEEEvT_T0_DpT1_.has_indirect_call, 0
	.section	.AMDGPU.csdata,"",@progbits
; Kernel info:
; codeLenInByte = 1348
; TotalNumSgprs: 34
; NumVgprs: 22
; NumAgprs: 0
; TotalNumVgprs: 22
; ScratchSize: 0
; MemoryBound: 0
; FloatMode: 240
; IeeeMode: 1
; LDSByteSize: 0 bytes/workgroup (compile time only)
; SGPRBlocks: 4
; VGPRBlocks: 2
; NumSGPRsForWavesPerEU: 34
; NumVGPRsForWavesPerEU: 22
; AccumOffset: 24
; Occupancy: 8
; WaveLimiterHint : 0
; COMPUTE_PGM_RSRC2:SCRATCH_EN: 0
; COMPUTE_PGM_RSRC2:USER_SGPR: 2
; COMPUTE_PGM_RSRC2:TRAP_HANDLER: 0
; COMPUTE_PGM_RSRC2:TGID_X_EN: 1
; COMPUTE_PGM_RSRC2:TGID_Y_EN: 0
; COMPUTE_PGM_RSRC2:TGID_Z_EN: 0
; COMPUTE_PGM_RSRC2:TIDIG_COMP_CNT: 0
; COMPUTE_PGM_RSRC3_GFX90A:ACCUM_OFFSET: 5
; COMPUTE_PGM_RSRC3_GFX90A:TG_SPLIT: 0
	.section	.text._ZN2at6native12_GLOBAL__N_125multi_tensor_apply_kernelINS1_18TensorListMetadataILi1EEENS1_21BinaryOpScalarFunctorIN3c107complexIdEELi1ELi1ELi0EEEJSt10multipliesIS8_ES8_EEEvT_T0_DpT1_,"axG",@progbits,_ZN2at6native12_GLOBAL__N_125multi_tensor_apply_kernelINS1_18TensorListMetadataILi1EEENS1_21BinaryOpScalarFunctorIN3c107complexIdEELi1ELi1ELi0EEEJSt10multipliesIS8_ES8_EEEvT_T0_DpT1_,comdat
	.globl	_ZN2at6native12_GLOBAL__N_125multi_tensor_apply_kernelINS1_18TensorListMetadataILi1EEENS1_21BinaryOpScalarFunctorIN3c107complexIdEELi1ELi1ELi0EEEJSt10multipliesIS8_ES8_EEEvT_T0_DpT1_ ; -- Begin function _ZN2at6native12_GLOBAL__N_125multi_tensor_apply_kernelINS1_18TensorListMetadataILi1EEENS1_21BinaryOpScalarFunctorIN3c107complexIdEELi1ELi1ELi0EEEJSt10multipliesIS8_ES8_EEEvT_T0_DpT1_
	.p2align	8
	.type	_ZN2at6native12_GLOBAL__N_125multi_tensor_apply_kernelINS1_18TensorListMetadataILi1EEENS1_21BinaryOpScalarFunctorIN3c107complexIdEELi1ELi1ELi0EEEJSt10multipliesIS8_ES8_EEEvT_T0_DpT1_,@function
_ZN2at6native12_GLOBAL__N_125multi_tensor_apply_kernelINS1_18TensorListMetadataILi1EEENS1_21BinaryOpScalarFunctorIN3c107complexIdEELi1ELi1ELi0EEEJSt10multipliesIS8_ES8_EEEvT_T0_DpT1_: ; @_ZN2at6native12_GLOBAL__N_125multi_tensor_apply_kernelINS1_18TensorListMetadataILi1EEENS1_21BinaryOpScalarFunctorIN3c107complexIdEELi1ELi1ELi0EEEJSt10multipliesIS8_ES8_EEEvT_T0_DpT1_
; %bb.0:
	v_mov_b32_e32 v1, s2
	global_load_ubyte v1, v1, s[0:1] offset:1760
	s_add_u32 s3, s0, s2
	s_mul_hi_u32 s4, s2, 3
	s_mul_i32 s2, s2, 3
	s_addc_u32 s5, s1, 0
	s_add_u32 s2, s3, s2
	s_addc_u32 s3, s5, s4
	s_load_dwordx4 s[8:11], s[0:1], 0xd30
	s_load_dword s4, s[2:3], 0x820
	s_mov_b32 s7, 0
	s_waitcnt vmcnt(0)
	v_readfirstlane_b32 s2, v1
	s_lshl_b32 s5, s2, 3
	s_load_dwordx2 s[12:13], s[0:1], s5 offset:0x0
	s_load_dwordx2 s[2:3], s[0:1], s5 offset:0x370
	s_waitcnt lgkmcnt(0)
	s_ashr_i32 s5, s4, 31
	s_lshl_b64 s[14:15], s[4:5], 20
	s_add_u32 s18, s12, s14
	s_addc_u32 s19, s13, s15
	s_and_b32 s6, s18, 63
	s_lshl_b64 s[4:5], s[4:5], 16
	s_sub_u32 s16, s2, s4
	s_subb_u32 s17, s3, s5
	s_and_b32 s2, s2, 3
	s_mov_b32 s3, s7
	s_or_b64 s[2:3], s[6:7], s[2:3]
	s_cmp_eq_u64 s[2:3], 0
	s_cbranch_scc1 .LBB31_21
; %bb.1:
	v_cmp_lt_i64_e64 s[2:3], s[16:17], 1
	s_and_b64 vcc, exec, s[2:3]
	s_cbranch_vccnz .LBB31_20
; %bb.2:
	s_load_dword s2, s[0:1], 0xd4c
	v_mov_b64_e32 v[2:3], 0x10000
	v_cmp_lt_i64_e32 vcc, s[16:17], v[2:3]
	s_and_b64 s[4:5], vcc, exec
	s_cselect_b32 s21, s17, 0
	s_cselect_b32 s20, s16, 0x10000
	v_mov_b32_e32 v1, 0
	s_waitcnt lgkmcnt(0)
	s_and_b32 s2, s2, 0xffff
	v_cmp_lt_u64_e32 vcc, s[16:17], v[2:3]
	s_mov_b32 s3, 0
	s_and_b64 s[4:5], vcc, exec
	v_lshlrev_b32_e32 v18, 4, v0
	v_mov_b32_e32 v19, v1
	s_cselect_b32 s23, s17, 0
	s_cselect_b32 s22, s16, 0x10000
	s_lshl_b32 s4, s2, 1
	s_mul_i32 s6, s2, 3
	s_lshl_b32 s28, s2, 2
	s_lshl_b32 s29, s2, 6
	v_lshl_add_u64 v[20:21], v[0:1], 0, s[2:3]
	v_mad_u64_u32 v[22:23], s[24:25], s2, 48, v[18:19]
	s_lshl_b32 s2, s2, 5
	s_mov_b32 s5, s3
	s_mov_b32 s7, s3
	v_lshl_add_u64 v[28:29], s[2:3], 0, v[18:19]
	v_or_b32_e32 v22, 8, v22
	v_lshl_add_u64 v[24:25], s[6:7], 0, v[0:1]
	v_lshlrev_b32_e32 v26, 4, v20
	v_mov_b32_e32 v27, v1
	v_or_b32_e32 v28, 8, v28
	v_lshl_add_u64 v[30:31], s[4:5], 0, v[0:1]
	s_mov_b64 s[24:25], 0
	s_branch .LBB31_4
.LBB31_3:                               ;   in Loop: Header=BB31_4 Depth=1
	s_or_b64 exec, exec, s[2:3]
	s_add_u32 s24, s24, s28
	s_addc_u32 s25, s25, 0
	s_waitcnt vmcnt(0)
	v_mov_b64_e32 v[2:3], s[20:21]
	s_add_u32 s18, s18, s29
	v_cmp_lt_i64_e32 vcc, s[24:25], v[2:3]
	s_addc_u32 s19, s19, 0
	s_cbranch_vccz .LBB31_20
.LBB31_4:                               ; =>This Inner Loop Header: Depth=1
	v_lshl_add_u64 v[2:3], v[0:1], 0, s[24:25]
	v_cmp_gt_u64_e32 vcc, s[22:23], v[2:3]
	v_mov_b64_e32 v[4:5], 0
	v_lshl_add_u64 v[32:33], s[18:19], 0, v[18:19]
	v_mov_b64_e32 v[12:13], 0
	v_mov_b64_e32 v[10:11], 0
	s_and_saveexec_b64 s[2:3], vcc
	s_cbranch_execz .LBB31_6
; %bb.5:                                ;   in Loop: Header=BB31_4 Depth=1
	global_load_dwordx4 v[10:13], v[32:33], off
.LBB31_6:                               ;   in Loop: Header=BB31_4 Depth=1
	s_or_b64 exec, exec, s[2:3]
	v_lshl_add_u64 v[2:3], v[20:21], 0, s[24:25]
	v_cmp_gt_u64_e64 s[2:3], s[22:23], v[2:3]
	v_lshl_add_u64 v[34:35], s[18:19], 0, v[26:27]
	v_mov_b64_e32 v[2:3], 0
	s_and_saveexec_b64 s[4:5], s[2:3]
	s_cbranch_execz .LBB31_8
; %bb.7:                                ;   in Loop: Header=BB31_4 Depth=1
	global_load_dwordx4 v[2:5], v[34:35], off
.LBB31_8:                               ;   in Loop: Header=BB31_4 Depth=1
	s_or_b64 exec, exec, s[4:5]
	v_lshl_add_u64 v[6:7], v[30:31], 0, s[24:25]
	v_cmp_gt_u64_e64 s[4:5], s[22:23], v[6:7]
	v_mov_b64_e32 v[8:9], 0
	v_lshl_add_u64 v[36:37], s[18:19], 0, v[28:29]
	v_mov_b64_e32 v[16:17], 0
	v_mov_b64_e32 v[14:15], 0
	s_and_saveexec_b64 s[6:7], s[4:5]
	s_cbranch_execz .LBB31_10
; %bb.9:                                ;   in Loop: Header=BB31_4 Depth=1
	global_load_dwordx4 v[14:17], v[36:37], off offset:-8
.LBB31_10:                              ;   in Loop: Header=BB31_4 Depth=1
	s_or_b64 exec, exec, s[6:7]
	v_lshl_add_u64 v[6:7], v[24:25], 0, s[24:25]
	v_cmp_gt_u64_e64 s[6:7], s[22:23], v[6:7]
	v_lshl_add_u64 v[38:39], s[18:19], 0, v[22:23]
	v_mov_b64_e32 v[6:7], 0
	s_and_saveexec_b64 s[26:27], s[6:7]
	s_cbranch_execnz .LBB31_15
; %bb.11:                               ;   in Loop: Header=BB31_4 Depth=1
	s_or_b64 exec, exec, s[26:27]
	s_and_saveexec_b64 s[26:27], vcc
	s_cbranch_execnz .LBB31_16
.LBB31_12:                              ;   in Loop: Header=BB31_4 Depth=1
	s_or_b64 exec, exec, s[26:27]
	s_and_saveexec_b64 s[26:27], s[2:3]
	s_cbranch_execnz .LBB31_17
.LBB31_13:                              ;   in Loop: Header=BB31_4 Depth=1
	s_or_b64 exec, exec, s[26:27]
	s_and_saveexec_b64 s[2:3], s[4:5]
	s_cbranch_execnz .LBB31_18
.LBB31_14:                              ;   in Loop: Header=BB31_4 Depth=1
	s_or_b64 exec, exec, s[2:3]
	s_and_saveexec_b64 s[2:3], s[6:7]
	s_cbranch_execz .LBB31_3
	s_branch .LBB31_19
.LBB31_15:                              ;   in Loop: Header=BB31_4 Depth=1
	global_load_dwordx4 v[6:9], v[38:39], off offset:-8
	s_or_b64 exec, exec, s[26:27]
	s_and_saveexec_b64 s[26:27], vcc
	s_cbranch_execz .LBB31_12
.LBB31_16:                              ;   in Loop: Header=BB31_4 Depth=1
	s_waitcnt vmcnt(0)
	v_mul_f64 v[40:41], s[10:11], v[12:13]
	v_mul_f64 v[42:43], s[10:11], v[10:11]
	v_fma_f64 v[40:41], s[8:9], v[10:11], -v[40:41]
	v_fmac_f64_e32 v[42:43], s[8:9], v[12:13]
	global_store_dwordx4 v[32:33], v[40:43], off
	s_or_b64 exec, exec, s[26:27]
	s_and_saveexec_b64 s[26:27], s[2:3]
	s_cbranch_execz .LBB31_13
.LBB31_17:                              ;   in Loop: Header=BB31_4 Depth=1
	s_waitcnt vmcnt(0)
	v_mul_f64 v[10:11], s[10:11], v[4:5]
	v_mul_f64 v[12:13], s[10:11], v[2:3]
	v_fma_f64 v[10:11], s[8:9], v[2:3], -v[10:11]
	v_fmac_f64_e32 v[12:13], s[8:9], v[4:5]
	global_store_dwordx4 v[34:35], v[10:13], off
	s_or_b64 exec, exec, s[26:27]
	s_and_saveexec_b64 s[2:3], s[4:5]
	s_cbranch_execz .LBB31_14
.LBB31_18:                              ;   in Loop: Header=BB31_4 Depth=1
	s_waitcnt vmcnt(0)
	v_mul_f64 v[2:3], s[10:11], v[16:17]
	v_mul_f64 v[4:5], s[10:11], v[14:15]
	v_fma_f64 v[2:3], s[8:9], v[14:15], -v[2:3]
	v_fmac_f64_e32 v[4:5], s[8:9], v[16:17]
	global_store_dwordx4 v[36:37], v[2:5], off offset:-8
	s_or_b64 exec, exec, s[2:3]
	s_and_saveexec_b64 s[2:3], s[6:7]
	s_cbranch_execz .LBB31_3
.LBB31_19:                              ;   in Loop: Header=BB31_4 Depth=1
	s_waitcnt vmcnt(0)
	v_mul_f64 v[2:3], s[10:11], v[8:9]
	v_mul_f64 v[4:5], s[10:11], v[6:7]
	v_fma_f64 v[2:3], s[8:9], v[6:7], -v[2:3]
	v_fmac_f64_e32 v[4:5], s[8:9], v[8:9]
	global_store_dwordx4 v[38:39], v[2:5], off offset:-8
	s_branch .LBB31_3
.LBB31_20:
	s_cbranch_execz .LBB31_22
	s_branch .LBB31_25
.LBB31_21:
.LBB31_22:
	v_mov_b64_e32 v[4:5], 0x10000
	v_cmp_lt_i64_e32 vcc, s[16:17], v[4:5]
	s_and_b64 s[4:5], vcc, exec
	v_mov_b32_e32 v3, 0
	s_cselect_b32 s5, s17, 0
	s_cselect_b32 s4, s16, 0x10000
	v_lshlrev_b32_e32 v2, 2, v0
	s_mov_b32 s3, 0
	v_cmp_gt_i64_e32 vcc, s[4:5], v[2:3]
	s_and_saveexec_b64 s[6:7], vcc
	s_cbranch_execz .LBB31_25
; %bb.23:
	s_load_dword s0, s[0:1], 0xd4c
	v_lshlrev_b32_e32 v2, 6, v0
	v_mov_b32_e32 v1, v3
	s_mov_b32 s1, s3
	s_waitcnt lgkmcnt(0)
	s_and_b32 s2, s0, 0xffff
	s_add_u32 s6, s12, s14
	s_addc_u32 s7, s13, s15
	s_lshl_b32 s0, s2, 6
	v_lshl_add_u64 v[2:3], s[6:7], 0, v[2:3]
	s_mov_b64 s[6:7], 0
.LBB31_24:                              ; =>This Inner Loop Header: Depth=1
	global_load_dwordx4 v[4:7], v[2:3], off
	global_load_dwordx4 v[8:11], v[2:3], off offset:16
	global_load_dwordx4 v[12:15], v[2:3], off offset:32
	;; [unrolled: 1-line block ×3, first 2 shown]
	v_lshl_add_u64 v[0:1], v[0:1], 0, s[2:3]
	v_lshlrev_b64 v[20:21], 2, v[0:1]
	v_cmp_le_i64_e32 vcc, s[4:5], v[20:21]
	s_or_b64 s[6:7], vcc, s[6:7]
	s_waitcnt vmcnt(3)
	v_mul_f64 v[22:23], s[10:11], v[6:7]
	v_mul_f64 v[20:21], s[8:9], v[6:7]
	s_waitcnt vmcnt(2)
	v_mul_f64 v[24:25], s[10:11], v[10:11]
	v_mul_f64 v[6:7], s[8:9], v[10:11]
	;; [unrolled: 3-line block ×4, first 2 shown]
	v_fma_f64 v[18:19], s[8:9], v[4:5], -v[22:23]
	v_fmac_f64_e32 v[20:21], s[10:11], v[4:5]
	v_fma_f64 v[4:5], s[8:9], v[8:9], -v[24:25]
	v_fmac_f64_e32 v[6:7], s[10:11], v[8:9]
	;; [unrolled: 2-line block ×4, first 2 shown]
	global_store_dwordx4 v[2:3], v[18:21], off
	global_store_dwordx4 v[2:3], v[4:7], off offset:16
	global_store_dwordx4 v[2:3], v[8:11], off offset:32
	global_store_dwordx4 v[2:3], v[12:15], off offset:48
	v_lshl_add_u64 v[2:3], v[2:3], 0, s[0:1]
	s_andn2_b64 exec, exec, s[6:7]
	s_cbranch_execnz .LBB31_24
.LBB31_25:
	s_endpgm
	.section	.rodata,"a",@progbits
	.p2align	6, 0x0
	.amdhsa_kernel _ZN2at6native12_GLOBAL__N_125multi_tensor_apply_kernelINS1_18TensorListMetadataILi1EEENS1_21BinaryOpScalarFunctorIN3c107complexIdEELi1ELi1ELi0EEEJSt10multipliesIS8_ES8_EEEvT_T0_DpT1_
		.amdhsa_group_segment_fixed_size 0
		.amdhsa_private_segment_fixed_size 0
		.amdhsa_kernarg_size 3648
		.amdhsa_user_sgpr_count 2
		.amdhsa_user_sgpr_dispatch_ptr 0
		.amdhsa_user_sgpr_queue_ptr 0
		.amdhsa_user_sgpr_kernarg_segment_ptr 1
		.amdhsa_user_sgpr_dispatch_id 0
		.amdhsa_user_sgpr_kernarg_preload_length 0
		.amdhsa_user_sgpr_kernarg_preload_offset 0
		.amdhsa_user_sgpr_private_segment_size 0
		.amdhsa_uses_dynamic_stack 0
		.amdhsa_enable_private_segment 0
		.amdhsa_system_sgpr_workgroup_id_x 1
		.amdhsa_system_sgpr_workgroup_id_y 0
		.amdhsa_system_sgpr_workgroup_id_z 0
		.amdhsa_system_sgpr_workgroup_info 0
		.amdhsa_system_vgpr_workitem_id 0
		.amdhsa_next_free_vgpr 44
		.amdhsa_next_free_sgpr 30
		.amdhsa_accum_offset 44
		.amdhsa_reserve_vcc 1
		.amdhsa_float_round_mode_32 0
		.amdhsa_float_round_mode_16_64 0
		.amdhsa_float_denorm_mode_32 3
		.amdhsa_float_denorm_mode_16_64 3
		.amdhsa_dx10_clamp 1
		.amdhsa_ieee_mode 1
		.amdhsa_fp16_overflow 0
		.amdhsa_tg_split 0
		.amdhsa_exception_fp_ieee_invalid_op 0
		.amdhsa_exception_fp_denorm_src 0
		.amdhsa_exception_fp_ieee_div_zero 0
		.amdhsa_exception_fp_ieee_overflow 0
		.amdhsa_exception_fp_ieee_underflow 0
		.amdhsa_exception_fp_ieee_inexact 0
		.amdhsa_exception_int_div_zero 0
	.end_amdhsa_kernel
	.section	.text._ZN2at6native12_GLOBAL__N_125multi_tensor_apply_kernelINS1_18TensorListMetadataILi1EEENS1_21BinaryOpScalarFunctorIN3c107complexIdEELi1ELi1ELi0EEEJSt10multipliesIS8_ES8_EEEvT_T0_DpT1_,"axG",@progbits,_ZN2at6native12_GLOBAL__N_125multi_tensor_apply_kernelINS1_18TensorListMetadataILi1EEENS1_21BinaryOpScalarFunctorIN3c107complexIdEELi1ELi1ELi0EEEJSt10multipliesIS8_ES8_EEEvT_T0_DpT1_,comdat
.Lfunc_end31:
	.size	_ZN2at6native12_GLOBAL__N_125multi_tensor_apply_kernelINS1_18TensorListMetadataILi1EEENS1_21BinaryOpScalarFunctorIN3c107complexIdEELi1ELi1ELi0EEEJSt10multipliesIS8_ES8_EEEvT_T0_DpT1_, .Lfunc_end31-_ZN2at6native12_GLOBAL__N_125multi_tensor_apply_kernelINS1_18TensorListMetadataILi1EEENS1_21BinaryOpScalarFunctorIN3c107complexIdEELi1ELi1ELi0EEEJSt10multipliesIS8_ES8_EEEvT_T0_DpT1_
                                        ; -- End function
	.set _ZN2at6native12_GLOBAL__N_125multi_tensor_apply_kernelINS1_18TensorListMetadataILi1EEENS1_21BinaryOpScalarFunctorIN3c107complexIdEELi1ELi1ELi0EEEJSt10multipliesIS8_ES8_EEEvT_T0_DpT1_.num_vgpr, 44
	.set _ZN2at6native12_GLOBAL__N_125multi_tensor_apply_kernelINS1_18TensorListMetadataILi1EEENS1_21BinaryOpScalarFunctorIN3c107complexIdEELi1ELi1ELi0EEEJSt10multipliesIS8_ES8_EEEvT_T0_DpT1_.num_agpr, 0
	.set _ZN2at6native12_GLOBAL__N_125multi_tensor_apply_kernelINS1_18TensorListMetadataILi1EEENS1_21BinaryOpScalarFunctorIN3c107complexIdEELi1ELi1ELi0EEEJSt10multipliesIS8_ES8_EEEvT_T0_DpT1_.numbered_sgpr, 30
	.set _ZN2at6native12_GLOBAL__N_125multi_tensor_apply_kernelINS1_18TensorListMetadataILi1EEENS1_21BinaryOpScalarFunctorIN3c107complexIdEELi1ELi1ELi0EEEJSt10multipliesIS8_ES8_EEEvT_T0_DpT1_.num_named_barrier, 0
	.set _ZN2at6native12_GLOBAL__N_125multi_tensor_apply_kernelINS1_18TensorListMetadataILi1EEENS1_21BinaryOpScalarFunctorIN3c107complexIdEELi1ELi1ELi0EEEJSt10multipliesIS8_ES8_EEEvT_T0_DpT1_.private_seg_size, 0
	.set _ZN2at6native12_GLOBAL__N_125multi_tensor_apply_kernelINS1_18TensorListMetadataILi1EEENS1_21BinaryOpScalarFunctorIN3c107complexIdEELi1ELi1ELi0EEEJSt10multipliesIS8_ES8_EEEvT_T0_DpT1_.uses_vcc, 1
	.set _ZN2at6native12_GLOBAL__N_125multi_tensor_apply_kernelINS1_18TensorListMetadataILi1EEENS1_21BinaryOpScalarFunctorIN3c107complexIdEELi1ELi1ELi0EEEJSt10multipliesIS8_ES8_EEEvT_T0_DpT1_.uses_flat_scratch, 0
	.set _ZN2at6native12_GLOBAL__N_125multi_tensor_apply_kernelINS1_18TensorListMetadataILi1EEENS1_21BinaryOpScalarFunctorIN3c107complexIdEELi1ELi1ELi0EEEJSt10multipliesIS8_ES8_EEEvT_T0_DpT1_.has_dyn_sized_stack, 0
	.set _ZN2at6native12_GLOBAL__N_125multi_tensor_apply_kernelINS1_18TensorListMetadataILi1EEENS1_21BinaryOpScalarFunctorIN3c107complexIdEELi1ELi1ELi0EEEJSt10multipliesIS8_ES8_EEEvT_T0_DpT1_.has_recursion, 0
	.set _ZN2at6native12_GLOBAL__N_125multi_tensor_apply_kernelINS1_18TensorListMetadataILi1EEENS1_21BinaryOpScalarFunctorIN3c107complexIdEELi1ELi1ELi0EEEJSt10multipliesIS8_ES8_EEEvT_T0_DpT1_.has_indirect_call, 0
	.section	.AMDGPU.csdata,"",@progbits
; Kernel info:
; codeLenInByte = 1184
; TotalNumSgprs: 36
; NumVgprs: 44
; NumAgprs: 0
; TotalNumVgprs: 44
; ScratchSize: 0
; MemoryBound: 1
; FloatMode: 240
; IeeeMode: 1
; LDSByteSize: 0 bytes/workgroup (compile time only)
; SGPRBlocks: 4
; VGPRBlocks: 5
; NumSGPRsForWavesPerEU: 36
; NumVGPRsForWavesPerEU: 44
; AccumOffset: 44
; Occupancy: 8
; WaveLimiterHint : 0
; COMPUTE_PGM_RSRC2:SCRATCH_EN: 0
; COMPUTE_PGM_RSRC2:USER_SGPR: 2
; COMPUTE_PGM_RSRC2:TRAP_HANDLER: 0
; COMPUTE_PGM_RSRC2:TGID_X_EN: 1
; COMPUTE_PGM_RSRC2:TGID_Y_EN: 0
; COMPUTE_PGM_RSRC2:TGID_Z_EN: 0
; COMPUTE_PGM_RSRC2:TIDIG_COMP_CNT: 0
; COMPUTE_PGM_RSRC3_GFX90A:ACCUM_OFFSET: 10
; COMPUTE_PGM_RSRC3_GFX90A:TG_SPLIT: 0
	.section	.text._ZN2at6native12_GLOBAL__N_125multi_tensor_apply_kernelINS1_18TensorListMetadataILi1EEENS1_21BinaryOpScalarFunctorIN3c107complexIfEELi1ELi1ELi0EEEJSt10multipliesIS8_ES8_EEEvT_T0_DpT1_,"axG",@progbits,_ZN2at6native12_GLOBAL__N_125multi_tensor_apply_kernelINS1_18TensorListMetadataILi1EEENS1_21BinaryOpScalarFunctorIN3c107complexIfEELi1ELi1ELi0EEEJSt10multipliesIS8_ES8_EEEvT_T0_DpT1_,comdat
	.globl	_ZN2at6native12_GLOBAL__N_125multi_tensor_apply_kernelINS1_18TensorListMetadataILi1EEENS1_21BinaryOpScalarFunctorIN3c107complexIfEELi1ELi1ELi0EEEJSt10multipliesIS8_ES8_EEEvT_T0_DpT1_ ; -- Begin function _ZN2at6native12_GLOBAL__N_125multi_tensor_apply_kernelINS1_18TensorListMetadataILi1EEENS1_21BinaryOpScalarFunctorIN3c107complexIfEELi1ELi1ELi0EEEJSt10multipliesIS8_ES8_EEEvT_T0_DpT1_
	.p2align	8
	.type	_ZN2at6native12_GLOBAL__N_125multi_tensor_apply_kernelINS1_18TensorListMetadataILi1EEENS1_21BinaryOpScalarFunctorIN3c107complexIfEELi1ELi1ELi0EEEJSt10multipliesIS8_ES8_EEEvT_T0_DpT1_,@function
_ZN2at6native12_GLOBAL__N_125multi_tensor_apply_kernelINS1_18TensorListMetadataILi1EEENS1_21BinaryOpScalarFunctorIN3c107complexIfEELi1ELi1ELi0EEEJSt10multipliesIS8_ES8_EEEvT_T0_DpT1_: ; @_ZN2at6native12_GLOBAL__N_125multi_tensor_apply_kernelINS1_18TensorListMetadataILi1EEENS1_21BinaryOpScalarFunctorIN3c107complexIfEELi1ELi1ELi0EEEJSt10multipliesIS8_ES8_EEEvT_T0_DpT1_
; %bb.0:
	v_mov_b32_e32 v1, s2
	global_load_ubyte v1, v1, s[0:1] offset:1760
	s_add_u32 s3, s0, s2
	s_mul_hi_u32 s4, s2, 3
	s_mul_i32 s2, s2, 3
	s_addc_u32 s5, s1, 0
	s_add_u32 s2, s3, s2
	s_addc_u32 s3, s5, s4
	s_load_dword s2, s[2:3], 0x820
	s_mov_b32 s7, 0
	s_waitcnt vmcnt(0)
	v_readfirstlane_b32 s3, v1
	s_lshl_b32 s3, s3, 3
	s_load_dwordx2 s[8:9], s[0:1], 0xd30
	s_load_dwordx2 s[10:11], s[0:1], s3 offset:0x0
	s_load_dwordx2 s[4:5], s[0:1], s3 offset:0x370
	s_waitcnt lgkmcnt(0)
	s_ashr_i32 s3, s2, 31
	s_lshl_b64 s[12:13], s[2:3], 19
	s_add_u32 s16, s10, s12
	s_addc_u32 s17, s11, s13
	s_and_b32 s6, s16, 31
	s_lshl_b64 s[2:3], s[2:3], 16
	s_sub_u32 s14, s4, s2
	s_subb_u32 s15, s5, s3
	s_and_b32 s2, s4, 3
	s_mov_b32 s3, s7
	s_or_b64 s[2:3], s[6:7], s[2:3]
	s_cmp_eq_u64 s[2:3], 0
	s_cbranch_scc1 .LBB32_20
; %bb.1:
	v_cmp_lt_i64_e64 s[2:3], s[14:15], 1
	s_and_b64 vcc, exec, s[2:3]
	s_cbranch_vccnz .LBB32_18
; %bb.2:
	s_mov_b64 s[2:3], src_private_base
	s_load_dword s2, s[0:1], 0xd44
	v_mov_b64_e32 v[2:3], 0x10000
	v_cmp_lt_i64_e32 vcc, s[14:15], v[2:3]
	s_and_b64 s[6:7], vcc, exec
	s_mov_b32 s5, 0
	s_cselect_b32 s19, s15, 0
	s_cselect_b32 s18, s14, 0x10000
	s_waitcnt lgkmcnt(0)
	s_and_b32 s4, s2, 0xffff
	v_cmp_lt_u64_e32 vcc, s[14:15], v[2:3]
	v_mov_b32_e32 v1, 0
	s_and_b64 s[6:7], vcc, exec
	s_mul_i32 s24, s4, 3
	s_mov_b32 s25, s5
	s_cselect_b32 s21, s15, 0
	s_cselect_b32 s20, s14, 0x10000
	s_lshl_b32 s6, s4, 1
	s_mov_b32 s7, s5
	v_lshlrev_b32_e32 v2, 3, v0
	v_mov_b32_e32 v3, v1
	v_lshl_add_u64 v[6:7], s[24:25], 0, v[0:1]
	s_lshl_b32 s24, s4, 4
	v_lshl_add_u64 v[12:13], v[0:1], 0, s[4:5]
	s_lshl_b32 s28, s4, 2
	s_mov_b32 s22, s9
	s_mov_b32 s23, s8
	s_lshl_b32 s29, s4, 5
	v_mad_u64_u32 v[4:5], s[26:27], s4, 24, v[2:3]
	v_lshl_add_u64 v[8:9], s[24:25], 0, v[2:3]
	v_lshl_add_u64 v[10:11], s[6:7], 0, v[0:1]
	v_lshlrev_b32_e32 v14, 3, v12
	v_mov_b32_e32 v15, v1
	s_mov_b64 s[24:25], 0
	v_mov_b32_e32 v34, v1
	v_mov_b32_e32 v35, v1
	;; [unrolled: 1-line block ×4, first 2 shown]
	s_branch .LBB32_4
.LBB32_3:                               ;   in Loop: Header=BB32_4 Depth=1
	s_or_b64 exec, exec, s[2:3]
	s_add_u32 s24, s24, s28
	s_addc_u32 s25, s25, 0
	v_mov_b64_e32 v[16:17], s[18:19]
	s_add_u32 s16, s16, s29
	v_cmp_ge_i64_e32 vcc, s[24:25], v[16:17]
	s_addc_u32 s17, s17, 0
	s_cbranch_vccnz .LBB32_18
.LBB32_4:                               ; =>This Inner Loop Header: Depth=1
	v_lshl_add_u64 v[16:17], v[0:1], 0, s[24:25]
	v_cmp_gt_u64_e32 vcc, s[20:21], v[16:17]
	v_lshl_add_u64 v[16:17], s[16:17], 0, v[2:3]
	v_mov_b32_e32 v20, 0
	v_mov_b32_e32 v21, 0
	s_and_saveexec_b64 s[2:3], vcc
	s_cbranch_execz .LBB32_6
; %bb.5:                                ;   in Loop: Header=BB32_4 Depth=1
	global_load_dwordx2 v[20:21], v[16:17], off
.LBB32_6:                               ;   in Loop: Header=BB32_4 Depth=1
	s_or_b64 exec, exec, s[2:3]
	v_lshl_add_u64 v[18:19], v[12:13], 0, s[24:25]
	v_cmp_gt_u64_e64 s[2:3], s[20:21], v[18:19]
	v_mov_b32_e32 v22, 0
	v_lshl_add_u64 v[18:19], s[16:17], 0, v[14:15]
	v_mov_b32_e32 v23, 0
	s_and_saveexec_b64 s[4:5], s[2:3]
	s_cbranch_execz .LBB32_8
; %bb.7:                                ;   in Loop: Header=BB32_4 Depth=1
	global_load_dwordx2 v[22:23], v[18:19], off
.LBB32_8:                               ;   in Loop: Header=BB32_4 Depth=1
	s_or_b64 exec, exec, s[4:5]
	v_lshl_add_u64 v[24:25], v[10:11], 0, s[24:25]
	v_cmp_gt_u64_e64 s[4:5], s[20:21], v[24:25]
	v_mov_b64_e32 v[26:27], 0
	v_lshl_add_u64 v[24:25], s[16:17], 0, v[8:9]
	s_and_saveexec_b64 s[6:7], s[4:5]
	s_cbranch_execz .LBB32_10
; %bb.9:                                ;   in Loop: Header=BB32_4 Depth=1
	global_load_dwordx2 v[26:27], v[24:25], off
.LBB32_10:                              ;   in Loop: Header=BB32_4 Depth=1
	s_or_b64 exec, exec, s[6:7]
	v_lshl_add_u64 v[30:31], v[6:7], 0, s[24:25]
	v_lshl_add_u64 v[28:29], s[16:17], 0, v[4:5]
	v_cmp_gt_u64_e64 s[6:7], s[20:21], v[30:31]
	scratch_store_dwordx2 off, v[34:35], off
	s_nop 0
	v_cndmask_b32_e64 v31, v32, v29, s[6:7]
	v_cndmask_b32_e64 v30, v33, v28, s[6:7]
	flat_load_dwordx2 v[36:37], v[30:31]
	s_waitcnt vmcnt(0) lgkmcnt(0)
	v_pk_mul_f32 v[38:39], s[22:23], v[36:37] op_sel:[0,1]
	s_nop 0
	v_pk_fma_f32 v[30:31], v[36:37], s[8:9], v[38:39] neg_lo:[0,0,1] neg_hi:[0,0,1]
	v_pk_fma_f32 v[36:37], v[36:37], s[8:9], v[38:39] op_sel_hi:[0,1,1]
	v_mov_b32_e32 v31, v37
	scratch_store_dwordx2 off, v[30:31], off
	s_and_saveexec_b64 s[26:27], vcc
	s_cbranch_execnz .LBB32_14
; %bb.11:                               ;   in Loop: Header=BB32_4 Depth=1
	s_or_b64 exec, exec, s[26:27]
	s_and_saveexec_b64 s[26:27], s[2:3]
	s_cbranch_execnz .LBB32_15
.LBB32_12:                              ;   in Loop: Header=BB32_4 Depth=1
	s_or_b64 exec, exec, s[26:27]
	s_and_saveexec_b64 s[2:3], s[4:5]
	s_cbranch_execnz .LBB32_16
.LBB32_13:                              ;   in Loop: Header=BB32_4 Depth=1
	s_or_b64 exec, exec, s[2:3]
	s_and_saveexec_b64 s[2:3], s[6:7]
	s_cbranch_execz .LBB32_3
	s_branch .LBB32_17
.LBB32_14:                              ;   in Loop: Header=BB32_4 Depth=1
	v_pk_mul_f32 v[36:37], v[20:21], s[22:23] op_sel:[1,0]
	s_nop 0
	v_pk_fma_f32 v[38:39], v[20:21], s[8:9], v[36:37] neg_lo:[0,0,1] neg_hi:[0,0,1]
	v_pk_fma_f32 v[20:21], v[20:21], s[8:9], v[36:37] op_sel_hi:[0,1,1]
	v_mov_b32_e32 v39, v21
	global_store_dwordx2 v[16:17], v[38:39], off
	s_or_b64 exec, exec, s[26:27]
	s_and_saveexec_b64 s[26:27], s[2:3]
	s_cbranch_execz .LBB32_12
.LBB32_15:                              ;   in Loop: Header=BB32_4 Depth=1
	v_pk_mul_f32 v[16:17], v[22:23], s[22:23] op_sel:[1,0]
	s_nop 0
	v_pk_fma_f32 v[20:21], v[22:23], s[8:9], v[16:17] neg_lo:[0,0,1] neg_hi:[0,0,1]
	v_pk_fma_f32 v[16:17], v[22:23], s[8:9], v[16:17] op_sel_hi:[0,1,1]
	v_mov_b32_e32 v21, v17
	global_store_dwordx2 v[18:19], v[20:21], off
	s_or_b64 exec, exec, s[26:27]
	s_and_saveexec_b64 s[2:3], s[4:5]
	s_cbranch_execz .LBB32_13
.LBB32_16:                              ;   in Loop: Header=BB32_4 Depth=1
	v_pk_mul_f32 v[16:17], s[22:23], v[26:27] op_sel:[0,1]
	s_nop 0
	v_pk_fma_f32 v[18:19], v[26:27], s[8:9], v[16:17] neg_lo:[0,0,1] neg_hi:[0,0,1]
	v_pk_fma_f32 v[16:17], v[26:27], s[8:9], v[16:17] op_sel_hi:[0,1,1]
	v_mov_b32_e32 v19, v17
	global_store_dwordx2 v[24:25], v[18:19], off
	s_or_b64 exec, exec, s[2:3]
	s_and_saveexec_b64 s[2:3], s[6:7]
	s_cbranch_execz .LBB32_3
.LBB32_17:                              ;   in Loop: Header=BB32_4 Depth=1
	global_store_dwordx2 v[28:29], v[30:31], off
	s_branch .LBB32_3
.LBB32_18:
	s_cbranch_execz .LBB32_21
.LBB32_19:
	s_endpgm
.LBB32_20:
.LBB32_21:
	v_mov_b64_e32 v[4:5], 0x10000
	v_cmp_lt_i64_e32 vcc, s[14:15], v[4:5]
	s_and_b64 s[4:5], vcc, exec
	v_mov_b32_e32 v3, 0
	s_cselect_b32 s5, s15, 0
	s_cselect_b32 s4, s14, 0x10000
	v_lshlrev_b32_e32 v2, 2, v0
	s_mov_b32 s3, 0
	v_cmp_gt_i64_e32 vcc, s[4:5], v[2:3]
	s_and_saveexec_b64 s[6:7], vcc
	s_cbranch_execz .LBB32_19
; %bb.22:
	s_load_dword s2, s[0:1], 0xd44
	v_lshlrev_b32_e32 v2, 5, v0
	v_mov_b32_e32 v1, v3
	s_mov_b32 s0, s9
	s_mov_b32 s1, s8
	s_waitcnt lgkmcnt(0)
	s_and_b32 s2, s2, 0xffff
	s_add_u32 s6, s10, s12
	s_addc_u32 s7, s11, s13
	v_lshl_add_u64 v[6:7], s[6:7], 0, v[2:3]
	s_lshl_b32 s6, s2, 5
	s_mov_b32 s7, s3
	s_mov_b64 s[10:11], 0
.LBB32_23:                              ; =>This Inner Loop Header: Depth=1
	global_load_dwordx4 v[8:11], v[6:7], off offset:16
	global_load_dwordx4 v[12:15], v[6:7], off
	v_lshl_add_u64 v[0:1], v[0:1], 0, s[2:3]
	v_lshlrev_b64 v[2:3], 2, v[0:1]
	v_cmp_le_i64_e32 vcc, s[4:5], v[2:3]
	s_or_b64 s[10:11], vcc, s[10:11]
	s_waitcnt vmcnt(1)
	v_pk_mul_f32 v[2:3], s[0:1], v[10:11] op_sel:[0,1]
	s_waitcnt vmcnt(0)
	v_mov_b32_e32 v18, v15
	v_pk_mul_f32 v[20:21], v[8:9], s[0:1] op_sel:[1,0]
	v_pk_mul_f32 v[16:17], v[12:13], s[0:1] op_sel:[1,0]
	v_pk_fma_f32 v[4:5], v[10:11], s[8:9], v[2:3] neg_lo:[0,0,1] neg_hi:[0,0,1]
	v_pk_fma_f32 v[22:23], v[10:11], s[8:9], v[2:3] op_sel_hi:[0,1,1]
	v_pk_mul_f32 v[18:19], v[18:19], s[0:1] op_sel_hi:[0,1]
	v_pk_fma_f32 v[2:3], v[8:9], s[8:9], v[20:21] neg_lo:[0,0,1] neg_hi:[0,0,1]
	v_pk_fma_f32 v[8:9], v[8:9], s[8:9], v[20:21] op_sel_hi:[0,1,1]
	v_pk_fma_f32 v[10:11], v[12:13], s[8:9], v[16:17] neg_lo:[0,0,1] neg_hi:[0,0,1]
	v_pk_fma_f32 v[16:17], v[12:13], s[8:9], v[16:17] op_sel_hi:[0,1,1]
	v_mov_b32_e32 v5, v23
	v_pk_fma_f32 v[12:13], v[14:15], s[8:9], v[18:19] neg_lo:[0,0,1] neg_hi:[0,0,1]
	v_pk_fma_f32 v[14:15], v[14:15], s[8:9], v[18:19] op_sel_hi:[0,1,1]
	v_mov_b32_e32 v3, v9
	v_mov_b32_e32 v11, v17
	;; [unrolled: 1-line block ×3, first 2 shown]
	global_store_dwordx4 v[6:7], v[2:5], off offset:16
	global_store_dwordx4 v[6:7], v[10:13], off
	v_lshl_add_u64 v[6:7], v[6:7], 0, s[6:7]
	s_andn2_b64 exec, exec, s[10:11]
	s_cbranch_execnz .LBB32_23
; %bb.24:
	s_or_b64 exec, exec, s[10:11]
	scratch_store_dwordx2 off, v[4:5], off
	s_endpgm
	.section	.rodata,"a",@progbits
	.p2align	6, 0x0
	.amdhsa_kernel _ZN2at6native12_GLOBAL__N_125multi_tensor_apply_kernelINS1_18TensorListMetadataILi1EEENS1_21BinaryOpScalarFunctorIN3c107complexIfEELi1ELi1ELi0EEEJSt10multipliesIS8_ES8_EEEvT_T0_DpT1_
		.amdhsa_group_segment_fixed_size 0
		.amdhsa_private_segment_fixed_size 16
		.amdhsa_kernarg_size 3640
		.amdhsa_user_sgpr_count 2
		.amdhsa_user_sgpr_dispatch_ptr 0
		.amdhsa_user_sgpr_queue_ptr 0
		.amdhsa_user_sgpr_kernarg_segment_ptr 1
		.amdhsa_user_sgpr_dispatch_id 0
		.amdhsa_user_sgpr_kernarg_preload_length 0
		.amdhsa_user_sgpr_kernarg_preload_offset 0
		.amdhsa_user_sgpr_private_segment_size 0
		.amdhsa_uses_dynamic_stack 0
		.amdhsa_enable_private_segment 1
		.amdhsa_system_sgpr_workgroup_id_x 1
		.amdhsa_system_sgpr_workgroup_id_y 0
		.amdhsa_system_sgpr_workgroup_id_z 0
		.amdhsa_system_sgpr_workgroup_info 0
		.amdhsa_system_vgpr_workitem_id 0
		.amdhsa_next_free_vgpr 40
		.amdhsa_next_free_sgpr 30
		.amdhsa_accum_offset 40
		.amdhsa_reserve_vcc 1
		.amdhsa_float_round_mode_32 0
		.amdhsa_float_round_mode_16_64 0
		.amdhsa_float_denorm_mode_32 3
		.amdhsa_float_denorm_mode_16_64 3
		.amdhsa_dx10_clamp 1
		.amdhsa_ieee_mode 1
		.amdhsa_fp16_overflow 0
		.amdhsa_tg_split 0
		.amdhsa_exception_fp_ieee_invalid_op 0
		.amdhsa_exception_fp_denorm_src 0
		.amdhsa_exception_fp_ieee_div_zero 0
		.amdhsa_exception_fp_ieee_overflow 0
		.amdhsa_exception_fp_ieee_underflow 0
		.amdhsa_exception_fp_ieee_inexact 0
		.amdhsa_exception_int_div_zero 0
	.end_amdhsa_kernel
	.section	.text._ZN2at6native12_GLOBAL__N_125multi_tensor_apply_kernelINS1_18TensorListMetadataILi1EEENS1_21BinaryOpScalarFunctorIN3c107complexIfEELi1ELi1ELi0EEEJSt10multipliesIS8_ES8_EEEvT_T0_DpT1_,"axG",@progbits,_ZN2at6native12_GLOBAL__N_125multi_tensor_apply_kernelINS1_18TensorListMetadataILi1EEENS1_21BinaryOpScalarFunctorIN3c107complexIfEELi1ELi1ELi0EEEJSt10multipliesIS8_ES8_EEEvT_T0_DpT1_,comdat
.Lfunc_end32:
	.size	_ZN2at6native12_GLOBAL__N_125multi_tensor_apply_kernelINS1_18TensorListMetadataILi1EEENS1_21BinaryOpScalarFunctorIN3c107complexIfEELi1ELi1ELi0EEEJSt10multipliesIS8_ES8_EEEvT_T0_DpT1_, .Lfunc_end32-_ZN2at6native12_GLOBAL__N_125multi_tensor_apply_kernelINS1_18TensorListMetadataILi1EEENS1_21BinaryOpScalarFunctorIN3c107complexIfEELi1ELi1ELi0EEEJSt10multipliesIS8_ES8_EEEvT_T0_DpT1_
                                        ; -- End function
	.set _ZN2at6native12_GLOBAL__N_125multi_tensor_apply_kernelINS1_18TensorListMetadataILi1EEENS1_21BinaryOpScalarFunctorIN3c107complexIfEELi1ELi1ELi0EEEJSt10multipliesIS8_ES8_EEEvT_T0_DpT1_.num_vgpr, 40
	.set _ZN2at6native12_GLOBAL__N_125multi_tensor_apply_kernelINS1_18TensorListMetadataILi1EEENS1_21BinaryOpScalarFunctorIN3c107complexIfEELi1ELi1ELi0EEEJSt10multipliesIS8_ES8_EEEvT_T0_DpT1_.num_agpr, 0
	.set _ZN2at6native12_GLOBAL__N_125multi_tensor_apply_kernelINS1_18TensorListMetadataILi1EEENS1_21BinaryOpScalarFunctorIN3c107complexIfEELi1ELi1ELi0EEEJSt10multipliesIS8_ES8_EEEvT_T0_DpT1_.numbered_sgpr, 30
	.set _ZN2at6native12_GLOBAL__N_125multi_tensor_apply_kernelINS1_18TensorListMetadataILi1EEENS1_21BinaryOpScalarFunctorIN3c107complexIfEELi1ELi1ELi0EEEJSt10multipliesIS8_ES8_EEEvT_T0_DpT1_.num_named_barrier, 0
	.set _ZN2at6native12_GLOBAL__N_125multi_tensor_apply_kernelINS1_18TensorListMetadataILi1EEENS1_21BinaryOpScalarFunctorIN3c107complexIfEELi1ELi1ELi0EEEJSt10multipliesIS8_ES8_EEEvT_T0_DpT1_.private_seg_size, 16
	.set _ZN2at6native12_GLOBAL__N_125multi_tensor_apply_kernelINS1_18TensorListMetadataILi1EEENS1_21BinaryOpScalarFunctorIN3c107complexIfEELi1ELi1ELi0EEEJSt10multipliesIS8_ES8_EEEvT_T0_DpT1_.uses_vcc, 1
	.set _ZN2at6native12_GLOBAL__N_125multi_tensor_apply_kernelINS1_18TensorListMetadataILi1EEENS1_21BinaryOpScalarFunctorIN3c107complexIfEELi1ELi1ELi0EEEJSt10multipliesIS8_ES8_EEEvT_T0_DpT1_.uses_flat_scratch, 0
	.set _ZN2at6native12_GLOBAL__N_125multi_tensor_apply_kernelINS1_18TensorListMetadataILi1EEENS1_21BinaryOpScalarFunctorIN3c107complexIfEELi1ELi1ELi0EEEJSt10multipliesIS8_ES8_EEEvT_T0_DpT1_.has_dyn_sized_stack, 0
	.set _ZN2at6native12_GLOBAL__N_125multi_tensor_apply_kernelINS1_18TensorListMetadataILi1EEENS1_21BinaryOpScalarFunctorIN3c107complexIfEELi1ELi1ELi0EEEJSt10multipliesIS8_ES8_EEEvT_T0_DpT1_.has_recursion, 0
	.set _ZN2at6native12_GLOBAL__N_125multi_tensor_apply_kernelINS1_18TensorListMetadataILi1EEENS1_21BinaryOpScalarFunctorIN3c107complexIfEELi1ELi1ELi0EEEJSt10multipliesIS8_ES8_EEEvT_T0_DpT1_.has_indirect_call, 0
	.section	.AMDGPU.csdata,"",@progbits
; Kernel info:
; codeLenInByte = 1188
; TotalNumSgprs: 36
; NumVgprs: 40
; NumAgprs: 0
; TotalNumVgprs: 40
; ScratchSize: 16
; MemoryBound: 0
; FloatMode: 240
; IeeeMode: 1
; LDSByteSize: 0 bytes/workgroup (compile time only)
; SGPRBlocks: 4
; VGPRBlocks: 4
; NumSGPRsForWavesPerEU: 36
; NumVGPRsForWavesPerEU: 40
; AccumOffset: 40
; Occupancy: 8
; WaveLimiterHint : 0
; COMPUTE_PGM_RSRC2:SCRATCH_EN: 1
; COMPUTE_PGM_RSRC2:USER_SGPR: 2
; COMPUTE_PGM_RSRC2:TRAP_HANDLER: 0
; COMPUTE_PGM_RSRC2:TGID_X_EN: 1
; COMPUTE_PGM_RSRC2:TGID_Y_EN: 0
; COMPUTE_PGM_RSRC2:TGID_Z_EN: 0
; COMPUTE_PGM_RSRC2:TIDIG_COMP_CNT: 0
; COMPUTE_PGM_RSRC3_GFX90A:ACCUM_OFFSET: 9
; COMPUTE_PGM_RSRC3_GFX90A:TG_SPLIT: 0
	.section	.text._ZN2at6native12_GLOBAL__N_125multi_tensor_apply_kernelINS1_18TensorListMetadataILi1EEENS1_21BinaryOpScalarFunctorIbLi1ELi1ELi0EEEJSt10multipliesIbEbEEEvT_T0_DpT1_,"axG",@progbits,_ZN2at6native12_GLOBAL__N_125multi_tensor_apply_kernelINS1_18TensorListMetadataILi1EEENS1_21BinaryOpScalarFunctorIbLi1ELi1ELi0EEEJSt10multipliesIbEbEEEvT_T0_DpT1_,comdat
	.globl	_ZN2at6native12_GLOBAL__N_125multi_tensor_apply_kernelINS1_18TensorListMetadataILi1EEENS1_21BinaryOpScalarFunctorIbLi1ELi1ELi0EEEJSt10multipliesIbEbEEEvT_T0_DpT1_ ; -- Begin function _ZN2at6native12_GLOBAL__N_125multi_tensor_apply_kernelINS1_18TensorListMetadataILi1EEENS1_21BinaryOpScalarFunctorIbLi1ELi1ELi0EEEJSt10multipliesIbEbEEEvT_T0_DpT1_
	.p2align	8
	.type	_ZN2at6native12_GLOBAL__N_125multi_tensor_apply_kernelINS1_18TensorListMetadataILi1EEENS1_21BinaryOpScalarFunctorIbLi1ELi1ELi0EEEJSt10multipliesIbEbEEEvT_T0_DpT1_,@function
_ZN2at6native12_GLOBAL__N_125multi_tensor_apply_kernelINS1_18TensorListMetadataILi1EEENS1_21BinaryOpScalarFunctorIbLi1ELi1ELi0EEEJSt10multipliesIbEbEEEvT_T0_DpT1_: ; @_ZN2at6native12_GLOBAL__N_125multi_tensor_apply_kernelINS1_18TensorListMetadataILi1EEENS1_21BinaryOpScalarFunctorIbLi1ELi1ELi0EEEJSt10multipliesIbEbEEEvT_T0_DpT1_
; %bb.0:
	v_mov_b32_e32 v1, s2
	global_load_ubyte v1, v1, s[0:1] offset:1760
	s_load_dword s3, s[0:1], 0xd28
	s_mul_hi_u32 s4, s2, 3
	s_mul_i32 s5, s2, 3
	s_waitcnt lgkmcnt(0)
	s_bitcmp1_b32 s3, 16
	s_cselect_b64 s[10:11], -1, 0
	s_add_u32 s2, s0, s2
	s_addc_u32 s3, s1, 0
	s_add_u32 s2, s2, s5
	s_addc_u32 s3, s3, s4
	s_load_dword s2, s[2:3], 0x820
	s_waitcnt vmcnt(0)
	v_readfirstlane_b32 s3, v1
	s_lshl_b32 s3, s3, 3
	s_load_dwordx2 s[4:5], s[0:1], s3 offset:0x370
	s_load_dwordx2 s[12:13], s[0:1], s3 offset:0x0
	s_waitcnt lgkmcnt(0)
	s_ashr_i32 s3, s2, 31
	s_lshl_b64 s[14:15], s[2:3], 16
	s_sub_u32 s16, s4, s14
	s_subb_u32 s17, s5, s15
	s_or_b32 s2, s4, s12
	s_and_b32 s2, s2, 3
	s_cmp_eq_u32 s2, 0
	s_cbranch_scc1 .LBB33_21
; %bb.1:
	v_cmp_lt_i64_e64 s[2:3], s[16:17], 1
	s_and_b64 vcc, exec, s[2:3]
	s_cbranch_vccnz .LBB33_20
; %bb.2:
	s_load_dword s2, s[0:1], 0xd3c
	v_mov_b64_e32 v[2:3], 0x10000
	v_cmp_lt_i64_e32 vcc, s[16:17], v[2:3]
	s_and_b64 s[4:5], vcc, exec
	s_cselect_b32 s5, s17, 0
	s_cselect_b32 s4, s16, 0x10000
	s_waitcnt lgkmcnt(0)
	s_and_b32 s2, s2, 0xffff
	v_cmp_lt_u64_e32 vcc, s[16:17], v[2:3]
	s_and_b64 s[6:7], vcc, exec
	s_cselect_b32 s19, s17, 0
	s_cselect_b32 s18, s16, 0x10000
	s_lshl_b32 s6, s2, 1
	s_mul_i32 s8, s2, 3
	s_lshl_b32 s30, s2, 2
	s_add_u32 s20, s14, s8
	s_addc_u32 s21, s15, 0
	s_mov_b32 s3, 0
	s_add_u32 s20, s12, s20
	v_mov_b32_e32 v1, 0
	s_mov_b32 s9, s3
	s_addc_u32 s21, s13, s21
	v_lshl_add_u64 v[6:7], s[8:9], 0, v[0:1]
	s_add_u32 s8, s14, s6
	s_addc_u32 s9, s15, 0
	s_add_u32 s8, s12, s8
	s_mov_b32 s7, s3
	s_addc_u32 s9, s13, s9
	v_lshl_add_u64 v[10:11], s[6:7], 0, v[0:1]
	s_add_u32 s6, s12, s2
	v_lshl_add_u64 v[12:13], s[14:15], 0, v[0:1]
	s_addc_u32 s7, s13, 0
	v_lshl_add_u64 v[2:3], s[12:13], 0, v[12:13]
	v_lshl_add_u64 v[4:5], s[20:21], 0, v[0:1]
	;; [unrolled: 1-line block ×5, first 2 shown]
	s_mov_b64 s[20:21], 0
	v_mov_b64_e32 v[16:17], s[4:5]
	s_branch .LBB33_4
.LBB33_3:                               ;   in Loop: Header=BB33_4 Depth=1
	s_or_b64 exec, exec, s[2:3]
	s_add_u32 s20, s20, s30
	s_addc_u32 s21, s21, 0
	v_cmp_lt_i64_e32 vcc, s[20:21], v[16:17]
	s_cbranch_vccz .LBB33_20
.LBB33_4:                               ; =>This Inner Loop Header: Depth=1
	v_lshl_add_u64 v[18:19], v[0:1], 0, s[20:21]
	v_cmp_gt_u64_e32 vcc, s[18:19], v[18:19]
	v_lshl_add_u64 v[18:19], v[2:3], 0, s[20:21]
	s_mov_b64 s[24:25], 0
	s_and_saveexec_b64 s[4:5], vcc
	s_cbranch_execz .LBB33_6
; %bb.5:                                ;   in Loop: Header=BB33_4 Depth=1
	global_load_ubyte v20, v[18:19], off
	s_waitcnt vmcnt(0)
	v_cmp_ne_u16_e64 s[2:3], 0, v20
	s_and_b64 s[24:25], s[2:3], exec
.LBB33_6:                               ;   in Loop: Header=BB33_4 Depth=1
	s_or_b64 exec, exec, s[4:5]
	v_lshl_add_u64 v[20:21], v[14:15], 0, s[20:21]
	v_cmp_gt_u64_e64 s[2:3], s[18:19], v[20:21]
	s_mov_b64 s[22:23], 0
	v_lshl_add_u64 v[20:21], v[12:13], 0, s[20:21]
	s_mov_b64 s[26:27], 0
	s_and_saveexec_b64 s[6:7], s[2:3]
	s_cbranch_execz .LBB33_8
; %bb.7:                                ;   in Loop: Header=BB33_4 Depth=1
	global_load_ubyte v22, v[20:21], off
	s_waitcnt vmcnt(0)
	v_cmp_ne_u16_e64 s[4:5], 0, v22
	s_and_b64 s[26:27], s[4:5], exec
.LBB33_8:                               ;   in Loop: Header=BB33_4 Depth=1
	s_or_b64 exec, exec, s[6:7]
	v_lshl_add_u64 v[22:23], v[10:11], 0, s[20:21]
	v_cmp_gt_u64_e64 s[4:5], s[18:19], v[22:23]
	v_lshl_add_u64 v[22:23], v[8:9], 0, s[20:21]
	s_and_saveexec_b64 s[8:9], s[4:5]
	s_cbranch_execz .LBB33_10
; %bb.9:                                ;   in Loop: Header=BB33_4 Depth=1
	global_load_ubyte v24, v[22:23], off
	s_waitcnt vmcnt(0)
	v_cmp_ne_u16_e64 s[6:7], 0, v24
	s_and_b64 s[22:23], s[6:7], exec
.LBB33_10:                              ;   in Loop: Header=BB33_4 Depth=1
	s_or_b64 exec, exec, s[8:9]
	v_lshl_add_u64 v[24:25], v[6:7], 0, s[20:21]
	v_cmp_gt_u64_e64 s[6:7], s[18:19], v[24:25]
	s_mov_b64 s[8:9], 0
	v_lshl_add_u64 v[24:25], v[4:5], 0, s[20:21]
	s_and_saveexec_b64 s[28:29], s[6:7]
	s_cbranch_execnz .LBB33_15
; %bb.11:                               ;   in Loop: Header=BB33_4 Depth=1
	s_or_b64 exec, exec, s[28:29]
	s_and_saveexec_b64 s[28:29], vcc
	s_cbranch_execnz .LBB33_16
.LBB33_12:                              ;   in Loop: Header=BB33_4 Depth=1
	s_or_b64 exec, exec, s[28:29]
	s_and_saveexec_b64 s[24:25], s[2:3]
	s_cbranch_execnz .LBB33_17
.LBB33_13:                              ;   in Loop: Header=BB33_4 Depth=1
	s_or_b64 exec, exec, s[24:25]
	s_and_saveexec_b64 s[2:3], s[4:5]
	s_cbranch_execnz .LBB33_18
.LBB33_14:                              ;   in Loop: Header=BB33_4 Depth=1
	s_or_b64 exec, exec, s[2:3]
	s_and_saveexec_b64 s[2:3], s[6:7]
	s_cbranch_execz .LBB33_3
	s_branch .LBB33_19
.LBB33_15:                              ;   in Loop: Header=BB33_4 Depth=1
	global_load_ubyte v26, v[24:25], off
	s_waitcnt vmcnt(0)
	v_cmp_ne_u16_e64 s[8:9], 0, v26
	s_and_b64 s[8:9], s[8:9], exec
	s_or_b64 exec, exec, s[28:29]
	s_and_saveexec_b64 s[28:29], vcc
	s_cbranch_execz .LBB33_12
.LBB33_16:                              ;   in Loop: Header=BB33_4 Depth=1
	s_and_b64 s[24:25], s[10:11], s[24:25]
	v_cndmask_b32_e64 v26, 0, 1, s[24:25]
	global_store_byte v[18:19], v26, off
	s_or_b64 exec, exec, s[28:29]
	s_and_saveexec_b64 s[24:25], s[2:3]
	s_cbranch_execz .LBB33_13
.LBB33_17:                              ;   in Loop: Header=BB33_4 Depth=1
	s_and_b64 s[2:3], s[10:11], s[26:27]
	v_cndmask_b32_e64 v18, 0, 1, s[2:3]
	global_store_byte v[20:21], v18, off
	s_or_b64 exec, exec, s[24:25]
	s_and_saveexec_b64 s[2:3], s[4:5]
	s_cbranch_execz .LBB33_14
.LBB33_18:                              ;   in Loop: Header=BB33_4 Depth=1
	s_and_b64 s[4:5], s[10:11], s[22:23]
	v_cndmask_b32_e64 v18, 0, 1, s[4:5]
	global_store_byte v[22:23], v18, off
	s_or_b64 exec, exec, s[2:3]
	s_and_saveexec_b64 s[2:3], s[6:7]
	s_cbranch_execz .LBB33_3
.LBB33_19:                              ;   in Loop: Header=BB33_4 Depth=1
	s_and_b64 s[4:5], s[10:11], s[8:9]
	v_cndmask_b32_e64 v18, 0, 1, s[4:5]
	global_store_byte v[24:25], v18, off
	s_branch .LBB33_3
.LBB33_20:
	s_cbranch_execz .LBB33_22
	s_branch .LBB33_25
.LBB33_21:
.LBB33_22:
	v_mov_b64_e32 v[4:5], 0x10000
	v_cmp_lt_i64_e32 vcc, s[16:17], v[4:5]
	s_and_b64 s[2:3], vcc, exec
	v_mov_b32_e32 v3, 0
	s_cselect_b32 s9, s17, 0
	s_cselect_b32 s8, s16, 0x10000
	v_lshlrev_b32_e32 v2, 2, v0
	s_mov_b32 s7, 0
	v_cmp_gt_i64_e32 vcc, s[8:9], v[2:3]
	s_and_saveexec_b64 s[2:3], vcc
	s_cbranch_execz .LBB33_25
; %bb.23:
	s_load_dword s0, s[0:1], 0xd3c
	v_mov_b32_e32 v1, v3
	s_mov_b32 s17, s7
	s_mov_b64 s[18:19], 0
	s_waitcnt lgkmcnt(0)
	s_and_b32 s6, s0, 0xffff
	s_add_u32 s0, s12, s14
	s_addc_u32 s1, s13, s15
	s_lshl_b32 s16, s6, 2
	v_lshl_add_u64 v[4:5], s[0:1], 0, v[2:3]
	s_mov_b32 s12, 0xffffff
.LBB33_24:                              ; =>This Inner Loop Header: Depth=1
	global_load_dword v2, v[4:5], off
	v_lshl_add_u64 v[0:1], v[0:1], 0, s[6:7]
	v_lshlrev_b64 v[6:7], 2, v[0:1]
	v_cmp_le_i64_e32 vcc, s[8:9], v[6:7]
	s_waitcnt vmcnt(0)
	v_cmp_ne_u32_sdwa s[2:3], v2, v3 src0_sel:BYTE_0 src1_sel:DWORD
	v_and_b32_e32 v6, 0xff00, v2
	v_cmp_lt_u32_e64 s[0:1], s12, v2
	s_and_b64 s[2:3], s[10:11], s[2:3]
	v_and_b32_e32 v7, 0xff0000, v2
	v_cndmask_b32_e64 v2, 0, 1, s[2:3]
	v_cmp_ne_u32_e64 s[2:3], 0, v6
	s_and_b64 s[0:1], s[10:11], s[0:1]
	v_cmp_ne_u32_e64 s[4:5], 0, v7
	v_cndmask_b32_e64 v6, 0, 1, s[0:1]
	s_and_b64 s[0:1], s[10:11], s[2:3]
	v_cndmask_b32_e64 v7, 0, 1, s[0:1]
	s_and_b64 s[0:1], s[10:11], s[4:5]
	v_cndmask_b32_e64 v8, 0, 1, s[0:1]
	v_lshlrev_b16_e32 v6, 8, v6
	v_lshlrev_b16_e32 v7, 8, v7
	v_or_b32_sdwa v6, v8, v6 dst_sel:WORD_1 dst_unused:UNUSED_PAD src0_sel:DWORD src1_sel:DWORD
	v_or_b32_e32 v2, v2, v7
	v_or_b32_sdwa v2, v2, v6 dst_sel:DWORD dst_unused:UNUSED_PAD src0_sel:WORD_0 src1_sel:DWORD
	s_or_b64 s[18:19], vcc, s[18:19]
	global_store_dword v[4:5], v2, off
	v_lshl_add_u64 v[4:5], v[4:5], 0, s[16:17]
	s_andn2_b64 exec, exec, s[18:19]
	s_cbranch_execnz .LBB33_24
.LBB33_25:
	s_endpgm
	.section	.rodata,"a",@progbits
	.p2align	6, 0x0
	.amdhsa_kernel _ZN2at6native12_GLOBAL__N_125multi_tensor_apply_kernelINS1_18TensorListMetadataILi1EEENS1_21BinaryOpScalarFunctorIbLi1ELi1ELi0EEEJSt10multipliesIbEbEEEvT_T0_DpT1_
		.amdhsa_group_segment_fixed_size 0
		.amdhsa_private_segment_fixed_size 0
		.amdhsa_kernarg_size 3632
		.amdhsa_user_sgpr_count 2
		.amdhsa_user_sgpr_dispatch_ptr 0
		.amdhsa_user_sgpr_queue_ptr 0
		.amdhsa_user_sgpr_kernarg_segment_ptr 1
		.amdhsa_user_sgpr_dispatch_id 0
		.amdhsa_user_sgpr_kernarg_preload_length 0
		.amdhsa_user_sgpr_kernarg_preload_offset 0
		.amdhsa_user_sgpr_private_segment_size 0
		.amdhsa_uses_dynamic_stack 0
		.amdhsa_enable_private_segment 0
		.amdhsa_system_sgpr_workgroup_id_x 1
		.amdhsa_system_sgpr_workgroup_id_y 0
		.amdhsa_system_sgpr_workgroup_id_z 0
		.amdhsa_system_sgpr_workgroup_info 0
		.amdhsa_system_vgpr_workitem_id 0
		.amdhsa_next_free_vgpr 27
		.amdhsa_next_free_sgpr 31
		.amdhsa_accum_offset 28
		.amdhsa_reserve_vcc 1
		.amdhsa_float_round_mode_32 0
		.amdhsa_float_round_mode_16_64 0
		.amdhsa_float_denorm_mode_32 3
		.amdhsa_float_denorm_mode_16_64 3
		.amdhsa_dx10_clamp 1
		.amdhsa_ieee_mode 1
		.amdhsa_fp16_overflow 0
		.amdhsa_tg_split 0
		.amdhsa_exception_fp_ieee_invalid_op 0
		.amdhsa_exception_fp_denorm_src 0
		.amdhsa_exception_fp_ieee_div_zero 0
		.amdhsa_exception_fp_ieee_overflow 0
		.amdhsa_exception_fp_ieee_underflow 0
		.amdhsa_exception_fp_ieee_inexact 0
		.amdhsa_exception_int_div_zero 0
	.end_amdhsa_kernel
	.section	.text._ZN2at6native12_GLOBAL__N_125multi_tensor_apply_kernelINS1_18TensorListMetadataILi1EEENS1_21BinaryOpScalarFunctorIbLi1ELi1ELi0EEEJSt10multipliesIbEbEEEvT_T0_DpT1_,"axG",@progbits,_ZN2at6native12_GLOBAL__N_125multi_tensor_apply_kernelINS1_18TensorListMetadataILi1EEENS1_21BinaryOpScalarFunctorIbLi1ELi1ELi0EEEJSt10multipliesIbEbEEEvT_T0_DpT1_,comdat
.Lfunc_end33:
	.size	_ZN2at6native12_GLOBAL__N_125multi_tensor_apply_kernelINS1_18TensorListMetadataILi1EEENS1_21BinaryOpScalarFunctorIbLi1ELi1ELi0EEEJSt10multipliesIbEbEEEvT_T0_DpT1_, .Lfunc_end33-_ZN2at6native12_GLOBAL__N_125multi_tensor_apply_kernelINS1_18TensorListMetadataILi1EEENS1_21BinaryOpScalarFunctorIbLi1ELi1ELi0EEEJSt10multipliesIbEbEEEvT_T0_DpT1_
                                        ; -- End function
	.set _ZN2at6native12_GLOBAL__N_125multi_tensor_apply_kernelINS1_18TensorListMetadataILi1EEENS1_21BinaryOpScalarFunctorIbLi1ELi1ELi0EEEJSt10multipliesIbEbEEEvT_T0_DpT1_.num_vgpr, 27
	.set _ZN2at6native12_GLOBAL__N_125multi_tensor_apply_kernelINS1_18TensorListMetadataILi1EEENS1_21BinaryOpScalarFunctorIbLi1ELi1ELi0EEEJSt10multipliesIbEbEEEvT_T0_DpT1_.num_agpr, 0
	.set _ZN2at6native12_GLOBAL__N_125multi_tensor_apply_kernelINS1_18TensorListMetadataILi1EEENS1_21BinaryOpScalarFunctorIbLi1ELi1ELi0EEEJSt10multipliesIbEbEEEvT_T0_DpT1_.numbered_sgpr, 31
	.set _ZN2at6native12_GLOBAL__N_125multi_tensor_apply_kernelINS1_18TensorListMetadataILi1EEENS1_21BinaryOpScalarFunctorIbLi1ELi1ELi0EEEJSt10multipliesIbEbEEEvT_T0_DpT1_.num_named_barrier, 0
	.set _ZN2at6native12_GLOBAL__N_125multi_tensor_apply_kernelINS1_18TensorListMetadataILi1EEENS1_21BinaryOpScalarFunctorIbLi1ELi1ELi0EEEJSt10multipliesIbEbEEEvT_T0_DpT1_.private_seg_size, 0
	.set _ZN2at6native12_GLOBAL__N_125multi_tensor_apply_kernelINS1_18TensorListMetadataILi1EEENS1_21BinaryOpScalarFunctorIbLi1ELi1ELi0EEEJSt10multipliesIbEbEEEvT_T0_DpT1_.uses_vcc, 1
	.set _ZN2at6native12_GLOBAL__N_125multi_tensor_apply_kernelINS1_18TensorListMetadataILi1EEENS1_21BinaryOpScalarFunctorIbLi1ELi1ELi0EEEJSt10multipliesIbEbEEEvT_T0_DpT1_.uses_flat_scratch, 0
	.set _ZN2at6native12_GLOBAL__N_125multi_tensor_apply_kernelINS1_18TensorListMetadataILi1EEENS1_21BinaryOpScalarFunctorIbLi1ELi1ELi0EEEJSt10multipliesIbEbEEEvT_T0_DpT1_.has_dyn_sized_stack, 0
	.set _ZN2at6native12_GLOBAL__N_125multi_tensor_apply_kernelINS1_18TensorListMetadataILi1EEENS1_21BinaryOpScalarFunctorIbLi1ELi1ELi0EEEJSt10multipliesIbEbEEEvT_T0_DpT1_.has_recursion, 0
	.set _ZN2at6native12_GLOBAL__N_125multi_tensor_apply_kernelINS1_18TensorListMetadataILi1EEENS1_21BinaryOpScalarFunctorIbLi1ELi1ELi0EEEJSt10multipliesIbEbEEEvT_T0_DpT1_.has_indirect_call, 0
	.section	.AMDGPU.csdata,"",@progbits
; Kernel info:
; codeLenInByte = 1116
; TotalNumSgprs: 37
; NumVgprs: 27
; NumAgprs: 0
; TotalNumVgprs: 27
; ScratchSize: 0
; MemoryBound: 0
; FloatMode: 240
; IeeeMode: 1
; LDSByteSize: 0 bytes/workgroup (compile time only)
; SGPRBlocks: 4
; VGPRBlocks: 3
; NumSGPRsForWavesPerEU: 37
; NumVGPRsForWavesPerEU: 27
; AccumOffset: 28
; Occupancy: 8
; WaveLimiterHint : 0
; COMPUTE_PGM_RSRC2:SCRATCH_EN: 0
; COMPUTE_PGM_RSRC2:USER_SGPR: 2
; COMPUTE_PGM_RSRC2:TRAP_HANDLER: 0
; COMPUTE_PGM_RSRC2:TGID_X_EN: 1
; COMPUTE_PGM_RSRC2:TGID_Y_EN: 0
; COMPUTE_PGM_RSRC2:TGID_Z_EN: 0
; COMPUTE_PGM_RSRC2:TIDIG_COMP_CNT: 0
; COMPUTE_PGM_RSRC3_GFX90A:ACCUM_OFFSET: 6
; COMPUTE_PGM_RSRC3_GFX90A:TG_SPLIT: 0
	.section	.text._ZN2at6native12_GLOBAL__N_125multi_tensor_apply_kernelINS1_18TensorListMetadataILi1EEENS1_21BinaryOpScalarFunctorIN3c104HalfELi1ELi1ELi0EEEJSt10multipliesIfEfEEEvT_T0_DpT1_,"axG",@progbits,_ZN2at6native12_GLOBAL__N_125multi_tensor_apply_kernelINS1_18TensorListMetadataILi1EEENS1_21BinaryOpScalarFunctorIN3c104HalfELi1ELi1ELi0EEEJSt10multipliesIfEfEEEvT_T0_DpT1_,comdat
	.globl	_ZN2at6native12_GLOBAL__N_125multi_tensor_apply_kernelINS1_18TensorListMetadataILi1EEENS1_21BinaryOpScalarFunctorIN3c104HalfELi1ELi1ELi0EEEJSt10multipliesIfEfEEEvT_T0_DpT1_ ; -- Begin function _ZN2at6native12_GLOBAL__N_125multi_tensor_apply_kernelINS1_18TensorListMetadataILi1EEENS1_21BinaryOpScalarFunctorIN3c104HalfELi1ELi1ELi0EEEJSt10multipliesIfEfEEEvT_T0_DpT1_
	.p2align	8
	.type	_ZN2at6native12_GLOBAL__N_125multi_tensor_apply_kernelINS1_18TensorListMetadataILi1EEENS1_21BinaryOpScalarFunctorIN3c104HalfELi1ELi1ELi0EEEJSt10multipliesIfEfEEEvT_T0_DpT1_,@function
_ZN2at6native12_GLOBAL__N_125multi_tensor_apply_kernelINS1_18TensorListMetadataILi1EEENS1_21BinaryOpScalarFunctorIN3c104HalfELi1ELi1ELi0EEEJSt10multipliesIfEfEEEvT_T0_DpT1_: ; @_ZN2at6native12_GLOBAL__N_125multi_tensor_apply_kernelINS1_18TensorListMetadataILi1EEENS1_21BinaryOpScalarFunctorIN3c104HalfELi1ELi1ELi0EEEJSt10multipliesIfEfEEEvT_T0_DpT1_
; %bb.0:
	v_mov_b32_e32 v1, s2
	global_load_ubyte v1, v1, s[0:1] offset:1760
	s_add_u32 s3, s0, s2
	s_mul_hi_u32 s4, s2, 3
	s_mul_i32 s2, s2, 3
	s_addc_u32 s5, s1, 0
	s_add_u32 s2, s3, s2
	s_addc_u32 s3, s5, s4
	s_load_dword s2, s[2:3], 0x820
	s_mov_b32 s7, 0
	s_waitcnt vmcnt(0)
	v_readfirstlane_b32 s3, v1
	s_lshl_b32 s3, s3, 3
	s_load_dword s8, s[0:1], 0xd2c
	s_load_dwordx2 s[4:5], s[0:1], s3 offset:0x370
	s_load_dwordx2 s[10:11], s[0:1], s3 offset:0x0
	s_waitcnt lgkmcnt(0)
	s_ashr_i32 s3, s2, 31
	s_lshl_b64 s[12:13], s[2:3], 17
	s_lshl_b64 s[2:3], s[2:3], 16
	s_and_b32 s6, s10, 7
	s_sub_u32 s14, s4, s2
	s_subb_u32 s15, s5, s3
	s_and_b32 s2, s4, 3
	s_mov_b32 s3, s7
	s_or_b64 s[2:3], s[6:7], s[2:3]
	s_cmp_eq_u64 s[2:3], 0
	s_cbranch_scc1 .LBB34_21
; %bb.1:
	v_cmp_lt_i64_e64 s[2:3], s[14:15], 1
	s_and_b64 vcc, exec, s[2:3]
	s_cbranch_vccnz .LBB34_20
; %bb.2:
	s_load_dword s2, s[0:1], 0xd3c
	v_mov_b64_e32 v[2:3], 0x10000
	v_cmp_lt_i64_e32 vcc, s[14:15], v[2:3]
	s_and_b64 s[4:5], vcc, exec
	s_cselect_b32 s5, s15, 0
	s_cselect_b32 s4, s14, 0x10000
	s_waitcnt lgkmcnt(0)
	s_and_b32 s2, s2, 0xffff
	v_cmp_lt_u64_e32 vcc, s[14:15], v[2:3]
	s_and_b64 s[6:7], vcc, exec
	s_mov_b32 s3, 0
	v_mov_b32_e32 v1, 0
	s_cselect_b32 s17, s15, 0
	s_cselect_b32 s16, s14, 0x10000
	s_lshl_b32 s6, s2, 1
	s_lshl_b32 s18, s2, 2
	s_add_u32 s26, s10, s12
	v_lshl_add_u64 v[8:9], v[0:1], 0, s[2:3]
	s_mov_b32 s7, s3
	s_mul_i32 s24, s2, 3
	s_mov_b32 s25, s3
	v_lshlrev_b32_e32 v2, 1, v0
	v_mov_b32_e32 v3, v1
	s_addc_u32 s27, s11, s13
	v_lshlrev_b32_e32 v10, 1, v8
	v_mov_b32_e32 v11, v1
	s_mov_b32 s19, s3
	v_lshl_add_u64 v[2:3], s[26:27], 0, v[2:3]
	s_lshl_b32 s20, s2, 3
	s_mov_b32 s21, s3
	s_mul_i32 s22, s2, 6
	s_mov_b32 s23, s3
	v_lshl_add_u64 v[4:5], s[24:25], 0, v[0:1]
	v_lshl_add_u64 v[6:7], s[6:7], 0, v[0:1]
	;; [unrolled: 1-line block ×3, first 2 shown]
	s_mov_b64 s[24:25], 0
	v_mov_b64_e32 v[12:13], s[4:5]
	s_branch .LBB34_4
.LBB34_3:                               ;   in Loop: Header=BB34_4 Depth=1
	s_or_b64 exec, exec, s[2:3]
	s_add_u32 s24, s24, s18
	s_addc_u32 s25, s25, 0
	v_cmp_lt_i64_e32 vcc, s[24:25], v[12:13]
	v_lshl_add_u64 v[2:3], v[2:3], 0, s[20:21]
	v_lshl_add_u64 v[10:11], v[10:11], 0, s[20:21]
	s_cbranch_vccz .LBB34_20
.LBB34_4:                               ; =>This Inner Loop Header: Depth=1
	v_lshl_add_u64 v[14:15], v[0:1], 0, s[24:25]
	v_cmp_gt_u64_e32 vcc, s[16:17], v[14:15]
	v_mov_b32_e32 v19, 0
	s_and_saveexec_b64 s[2:3], vcc
	s_cbranch_execz .LBB34_6
; %bb.5:                                ;   in Loop: Header=BB34_4 Depth=1
	global_load_ushort v14, v[2:3], off
	s_waitcnt vmcnt(0)
	v_cvt_f32_f16_e32 v19, v14
.LBB34_6:                               ;   in Loop: Header=BB34_4 Depth=1
	s_or_b64 exec, exec, s[2:3]
	v_lshl_add_u64 v[14:15], v[8:9], 0, s[24:25]
	v_cmp_gt_u64_e64 s[2:3], s[16:17], v[14:15]
	v_mov_b32_e32 v18, 0
	v_mov_b32_e32 v20, 0
	s_and_saveexec_b64 s[4:5], s[2:3]
	s_cbranch_execz .LBB34_8
; %bb.7:                                ;   in Loop: Header=BB34_4 Depth=1
	global_load_ushort v14, v[10:11], off
	s_waitcnt vmcnt(0)
	v_cvt_f32_f16_e32 v20, v14
.LBB34_8:                               ;   in Loop: Header=BB34_4 Depth=1
	s_or_b64 exec, exec, s[4:5]
	v_lshl_add_u64 v[14:15], v[6:7], 0, s[24:25]
	v_cmp_gt_u64_e64 s[4:5], s[16:17], v[14:15]
	v_lshl_add_u64 v[14:15], v[2:3], 0, s[18:19]
	s_and_saveexec_b64 s[6:7], s[4:5]
	s_cbranch_execz .LBB34_10
; %bb.9:                                ;   in Loop: Header=BB34_4 Depth=1
	global_load_ushort v16, v[14:15], off
	s_waitcnt vmcnt(0)
	v_cvt_f32_f16_e32 v18, v16
.LBB34_10:                              ;   in Loop: Header=BB34_4 Depth=1
	s_or_b64 exec, exec, s[6:7]
	v_lshl_add_u64 v[16:17], v[4:5], 0, s[24:25]
	v_cmp_gt_u64_e64 s[6:7], s[16:17], v[16:17]
	v_mov_b32_e32 v21, 0
	v_lshl_add_u64 v[16:17], v[2:3], 0, s[22:23]
	s_and_saveexec_b64 s[26:27], s[6:7]
	s_cbranch_execnz .LBB34_15
; %bb.11:                               ;   in Loop: Header=BB34_4 Depth=1
	s_or_b64 exec, exec, s[26:27]
	s_and_saveexec_b64 s[26:27], vcc
	s_cbranch_execnz .LBB34_16
.LBB34_12:                              ;   in Loop: Header=BB34_4 Depth=1
	s_or_b64 exec, exec, s[26:27]
	s_and_saveexec_b64 s[26:27], s[2:3]
	s_cbranch_execnz .LBB34_17
.LBB34_13:                              ;   in Loop: Header=BB34_4 Depth=1
	s_or_b64 exec, exec, s[26:27]
	s_and_saveexec_b64 s[2:3], s[4:5]
	s_cbranch_execnz .LBB34_18
.LBB34_14:                              ;   in Loop: Header=BB34_4 Depth=1
	s_or_b64 exec, exec, s[2:3]
	s_and_saveexec_b64 s[2:3], s[6:7]
	s_cbranch_execz .LBB34_3
	s_branch .LBB34_19
.LBB34_15:                              ;   in Loop: Header=BB34_4 Depth=1
	global_load_ushort v21, v[16:17], off
	s_waitcnt vmcnt(0)
	v_cvt_f32_f16_e32 v21, v21
	s_or_b64 exec, exec, s[26:27]
	s_and_saveexec_b64 s[26:27], vcc
	s_cbranch_execz .LBB34_12
.LBB34_16:                              ;   in Loop: Header=BB34_4 Depth=1
	v_fma_mixlo_f16 v19, s8, v19, 0
	global_store_short v[2:3], v19, off
	s_or_b64 exec, exec, s[26:27]
	s_and_saveexec_b64 s[26:27], s[2:3]
	s_cbranch_execz .LBB34_13
.LBB34_17:                              ;   in Loop: Header=BB34_4 Depth=1
	v_fma_mixlo_f16 v19, s8, v20, 0
	global_store_short v[10:11], v19, off
	s_or_b64 exec, exec, s[26:27]
	s_and_saveexec_b64 s[2:3], s[4:5]
	s_cbranch_execz .LBB34_14
.LBB34_18:                              ;   in Loop: Header=BB34_4 Depth=1
	v_fma_mixlo_f16 v18, s8, v18, 0
	global_store_short v[14:15], v18, off
	s_or_b64 exec, exec, s[2:3]
	s_and_saveexec_b64 s[2:3], s[6:7]
	s_cbranch_execz .LBB34_3
.LBB34_19:                              ;   in Loop: Header=BB34_4 Depth=1
	v_fma_mixlo_f16 v14, s8, v21, 0
	global_store_short v[16:17], v14, off
	s_branch .LBB34_3
.LBB34_20:
	s_cbranch_execz .LBB34_22
	s_branch .LBB34_25
.LBB34_21:
.LBB34_22:
	v_mov_b64_e32 v[4:5], 0x10000
	v_cmp_lt_i64_e32 vcc, s[14:15], v[4:5]
	s_and_b64 s[4:5], vcc, exec
	v_mov_b32_e32 v3, 0
	s_cselect_b32 s5, s15, 0
	s_cselect_b32 s4, s14, 0x10000
	v_lshlrev_b32_e32 v2, 2, v0
	s_mov_b32 s3, 0
	v_cmp_gt_i64_e32 vcc, s[4:5], v[2:3]
	s_and_saveexec_b64 s[6:7], vcc
	s_cbranch_execz .LBB34_25
; %bb.23:
	s_load_dword s2, s[0:1], 0xd3c
	v_lshlrev_b32_e32 v2, 3, v0
	v_mov_b32_e32 v1, v3
	s_mov_b32 s9, s8
	s_mov_b32 s0, s8
	s_waitcnt lgkmcnt(0)
	s_and_b32 s2, s2, 0xffff
	s_add_u32 s6, s10, s12
	s_addc_u32 s7, s11, s13
	s_mov_b32 s1, s8
	v_lshl_add_u64 v[2:3], s[6:7], 0, v[2:3]
	s_lshl_b32 s6, s2, 3
	s_mov_b32 s7, s3
	s_mov_b64 s[10:11], 0
.LBB34_24:                              ; =>This Inner Loop Header: Depth=1
	global_load_dwordx2 v[4:5], v[2:3], off
	v_lshl_add_u64 v[0:1], v[0:1], 0, s[2:3]
	v_lshlrev_b64 v[6:7], 2, v[0:1]
	v_cmp_le_i64_e32 vcc, s[4:5], v[6:7]
	s_or_b64 s[10:11], vcc, s[10:11]
	s_waitcnt vmcnt(0)
	v_cvt_f32_f16_sdwa v9, v4 dst_sel:DWORD dst_unused:UNUSED_PAD src0_sel:WORD_1
	v_cvt_f32_f16_sdwa v11, v5 dst_sel:DWORD dst_unused:UNUSED_PAD src0_sel:WORD_1
	v_cvt_f32_f16_e32 v10, v5
	v_cvt_f32_f16_e32 v8, v4
	v_pk_mul_f32 v[4:5], s[0:1], v[10:11]
	v_pk_mul_f32 v[6:7], s[8:9], v[8:9]
	v_cvt_pk_f16_f32 v5, v4, v5
	v_cvt_pk_f16_f32 v4, v6, v7
	global_store_dwordx2 v[2:3], v[4:5], off
	v_lshl_add_u64 v[2:3], v[2:3], 0, s[6:7]
	s_andn2_b64 exec, exec, s[10:11]
	s_cbranch_execnz .LBB34_24
.LBB34_25:
	s_endpgm
	.section	.rodata,"a",@progbits
	.p2align	6, 0x0
	.amdhsa_kernel _ZN2at6native12_GLOBAL__N_125multi_tensor_apply_kernelINS1_18TensorListMetadataILi1EEENS1_21BinaryOpScalarFunctorIN3c104HalfELi1ELi1ELi0EEEJSt10multipliesIfEfEEEvT_T0_DpT1_
		.amdhsa_group_segment_fixed_size 0
		.amdhsa_private_segment_fixed_size 0
		.amdhsa_kernarg_size 3632
		.amdhsa_user_sgpr_count 2
		.amdhsa_user_sgpr_dispatch_ptr 0
		.amdhsa_user_sgpr_queue_ptr 0
		.amdhsa_user_sgpr_kernarg_segment_ptr 1
		.amdhsa_user_sgpr_dispatch_id 0
		.amdhsa_user_sgpr_kernarg_preload_length 0
		.amdhsa_user_sgpr_kernarg_preload_offset 0
		.amdhsa_user_sgpr_private_segment_size 0
		.amdhsa_uses_dynamic_stack 0
		.amdhsa_enable_private_segment 0
		.amdhsa_system_sgpr_workgroup_id_x 1
		.amdhsa_system_sgpr_workgroup_id_y 0
		.amdhsa_system_sgpr_workgroup_id_z 0
		.amdhsa_system_sgpr_workgroup_info 0
		.amdhsa_system_vgpr_workitem_id 0
		.amdhsa_next_free_vgpr 22
		.amdhsa_next_free_sgpr 28
		.amdhsa_accum_offset 24
		.amdhsa_reserve_vcc 1
		.amdhsa_float_round_mode_32 0
		.amdhsa_float_round_mode_16_64 0
		.amdhsa_float_denorm_mode_32 3
		.amdhsa_float_denorm_mode_16_64 3
		.amdhsa_dx10_clamp 1
		.amdhsa_ieee_mode 1
		.amdhsa_fp16_overflow 0
		.amdhsa_tg_split 0
		.amdhsa_exception_fp_ieee_invalid_op 0
		.amdhsa_exception_fp_denorm_src 0
		.amdhsa_exception_fp_ieee_div_zero 0
		.amdhsa_exception_fp_ieee_overflow 0
		.amdhsa_exception_fp_ieee_underflow 0
		.amdhsa_exception_fp_ieee_inexact 0
		.amdhsa_exception_int_div_zero 0
	.end_amdhsa_kernel
	.section	.text._ZN2at6native12_GLOBAL__N_125multi_tensor_apply_kernelINS1_18TensorListMetadataILi1EEENS1_21BinaryOpScalarFunctorIN3c104HalfELi1ELi1ELi0EEEJSt10multipliesIfEfEEEvT_T0_DpT1_,"axG",@progbits,_ZN2at6native12_GLOBAL__N_125multi_tensor_apply_kernelINS1_18TensorListMetadataILi1EEENS1_21BinaryOpScalarFunctorIN3c104HalfELi1ELi1ELi0EEEJSt10multipliesIfEfEEEvT_T0_DpT1_,comdat
.Lfunc_end34:
	.size	_ZN2at6native12_GLOBAL__N_125multi_tensor_apply_kernelINS1_18TensorListMetadataILi1EEENS1_21BinaryOpScalarFunctorIN3c104HalfELi1ELi1ELi0EEEJSt10multipliesIfEfEEEvT_T0_DpT1_, .Lfunc_end34-_ZN2at6native12_GLOBAL__N_125multi_tensor_apply_kernelINS1_18TensorListMetadataILi1EEENS1_21BinaryOpScalarFunctorIN3c104HalfELi1ELi1ELi0EEEJSt10multipliesIfEfEEEvT_T0_DpT1_
                                        ; -- End function
	.set _ZN2at6native12_GLOBAL__N_125multi_tensor_apply_kernelINS1_18TensorListMetadataILi1EEENS1_21BinaryOpScalarFunctorIN3c104HalfELi1ELi1ELi0EEEJSt10multipliesIfEfEEEvT_T0_DpT1_.num_vgpr, 22
	.set _ZN2at6native12_GLOBAL__N_125multi_tensor_apply_kernelINS1_18TensorListMetadataILi1EEENS1_21BinaryOpScalarFunctorIN3c104HalfELi1ELi1ELi0EEEJSt10multipliesIfEfEEEvT_T0_DpT1_.num_agpr, 0
	.set _ZN2at6native12_GLOBAL__N_125multi_tensor_apply_kernelINS1_18TensorListMetadataILi1EEENS1_21BinaryOpScalarFunctorIN3c104HalfELi1ELi1ELi0EEEJSt10multipliesIfEfEEEvT_T0_DpT1_.numbered_sgpr, 28
	.set _ZN2at6native12_GLOBAL__N_125multi_tensor_apply_kernelINS1_18TensorListMetadataILi1EEENS1_21BinaryOpScalarFunctorIN3c104HalfELi1ELi1ELi0EEEJSt10multipliesIfEfEEEvT_T0_DpT1_.num_named_barrier, 0
	.set _ZN2at6native12_GLOBAL__N_125multi_tensor_apply_kernelINS1_18TensorListMetadataILi1EEENS1_21BinaryOpScalarFunctorIN3c104HalfELi1ELi1ELi0EEEJSt10multipliesIfEfEEEvT_T0_DpT1_.private_seg_size, 0
	.set _ZN2at6native12_GLOBAL__N_125multi_tensor_apply_kernelINS1_18TensorListMetadataILi1EEENS1_21BinaryOpScalarFunctorIN3c104HalfELi1ELi1ELi0EEEJSt10multipliesIfEfEEEvT_T0_DpT1_.uses_vcc, 1
	.set _ZN2at6native12_GLOBAL__N_125multi_tensor_apply_kernelINS1_18TensorListMetadataILi1EEENS1_21BinaryOpScalarFunctorIN3c104HalfELi1ELi1ELi0EEEJSt10multipliesIfEfEEEvT_T0_DpT1_.uses_flat_scratch, 0
	.set _ZN2at6native12_GLOBAL__N_125multi_tensor_apply_kernelINS1_18TensorListMetadataILi1EEENS1_21BinaryOpScalarFunctorIN3c104HalfELi1ELi1ELi0EEEJSt10multipliesIfEfEEEvT_T0_DpT1_.has_dyn_sized_stack, 0
	.set _ZN2at6native12_GLOBAL__N_125multi_tensor_apply_kernelINS1_18TensorListMetadataILi1EEENS1_21BinaryOpScalarFunctorIN3c104HalfELi1ELi1ELi0EEEJSt10multipliesIfEfEEEvT_T0_DpT1_.has_recursion, 0
	.set _ZN2at6native12_GLOBAL__N_125multi_tensor_apply_kernelINS1_18TensorListMetadataILi1EEENS1_21BinaryOpScalarFunctorIN3c104HalfELi1ELi1ELi0EEEJSt10multipliesIfEfEEEvT_T0_DpT1_.has_indirect_call, 0
	.section	.AMDGPU.csdata,"",@progbits
; Kernel info:
; codeLenInByte = 992
; TotalNumSgprs: 34
; NumVgprs: 22
; NumAgprs: 0
; TotalNumVgprs: 22
; ScratchSize: 0
; MemoryBound: 0
; FloatMode: 240
; IeeeMode: 1
; LDSByteSize: 0 bytes/workgroup (compile time only)
; SGPRBlocks: 4
; VGPRBlocks: 2
; NumSGPRsForWavesPerEU: 34
; NumVGPRsForWavesPerEU: 22
; AccumOffset: 24
; Occupancy: 8
; WaveLimiterHint : 0
; COMPUTE_PGM_RSRC2:SCRATCH_EN: 0
; COMPUTE_PGM_RSRC2:USER_SGPR: 2
; COMPUTE_PGM_RSRC2:TRAP_HANDLER: 0
; COMPUTE_PGM_RSRC2:TGID_X_EN: 1
; COMPUTE_PGM_RSRC2:TGID_Y_EN: 0
; COMPUTE_PGM_RSRC2:TGID_Z_EN: 0
; COMPUTE_PGM_RSRC2:TIDIG_COMP_CNT: 0
; COMPUTE_PGM_RSRC3_GFX90A:ACCUM_OFFSET: 5
; COMPUTE_PGM_RSRC3_GFX90A:TG_SPLIT: 0
	.section	.text._ZN2at6native12_GLOBAL__N_125multi_tensor_apply_kernelINS1_18TensorListMetadataILi1EEENS1_21BinaryOpScalarFunctorIN3c108BFloat16ELi1ELi1ELi0EEEJSt10multipliesIfEfEEEvT_T0_DpT1_,"axG",@progbits,_ZN2at6native12_GLOBAL__N_125multi_tensor_apply_kernelINS1_18TensorListMetadataILi1EEENS1_21BinaryOpScalarFunctorIN3c108BFloat16ELi1ELi1ELi0EEEJSt10multipliesIfEfEEEvT_T0_DpT1_,comdat
	.globl	_ZN2at6native12_GLOBAL__N_125multi_tensor_apply_kernelINS1_18TensorListMetadataILi1EEENS1_21BinaryOpScalarFunctorIN3c108BFloat16ELi1ELi1ELi0EEEJSt10multipliesIfEfEEEvT_T0_DpT1_ ; -- Begin function _ZN2at6native12_GLOBAL__N_125multi_tensor_apply_kernelINS1_18TensorListMetadataILi1EEENS1_21BinaryOpScalarFunctorIN3c108BFloat16ELi1ELi1ELi0EEEJSt10multipliesIfEfEEEvT_T0_DpT1_
	.p2align	8
	.type	_ZN2at6native12_GLOBAL__N_125multi_tensor_apply_kernelINS1_18TensorListMetadataILi1EEENS1_21BinaryOpScalarFunctorIN3c108BFloat16ELi1ELi1ELi0EEEJSt10multipliesIfEfEEEvT_T0_DpT1_,@function
_ZN2at6native12_GLOBAL__N_125multi_tensor_apply_kernelINS1_18TensorListMetadataILi1EEENS1_21BinaryOpScalarFunctorIN3c108BFloat16ELi1ELi1ELi0EEEJSt10multipliesIfEfEEEvT_T0_DpT1_: ; @_ZN2at6native12_GLOBAL__N_125multi_tensor_apply_kernelINS1_18TensorListMetadataILi1EEENS1_21BinaryOpScalarFunctorIN3c108BFloat16ELi1ELi1ELi0EEEJSt10multipliesIfEfEEEvT_T0_DpT1_
; %bb.0:
	v_mov_b32_e32 v1, s2
	global_load_ubyte v1, v1, s[0:1] offset:1760
	s_add_u32 s3, s0, s2
	s_mul_hi_u32 s4, s2, 3
	s_mul_i32 s2, s2, 3
	s_addc_u32 s5, s1, 0
	s_add_u32 s2, s3, s2
	s_addc_u32 s3, s5, s4
	s_load_dword s2, s[2:3], 0x820
	s_mov_b32 s7, 0
	s_waitcnt vmcnt(0)
	v_readfirstlane_b32 s3, v1
	s_lshl_b32 s3, s3, 3
	s_load_dword s26, s[0:1], 0xd2c
	s_load_dwordx2 s[4:5], s[0:1], s3 offset:0x370
	s_load_dwordx2 s[8:9], s[0:1], s3 offset:0x0
	s_waitcnt lgkmcnt(0)
	s_ashr_i32 s3, s2, 31
	s_lshl_b64 s[10:11], s[2:3], 17
	s_lshl_b64 s[2:3], s[2:3], 16
	s_and_b32 s6, s8, 7
	s_sub_u32 s12, s4, s2
	s_subb_u32 s13, s5, s3
	s_and_b32 s2, s4, 3
	s_mov_b32 s3, s7
	s_or_b64 s[2:3], s[6:7], s[2:3]
	s_cmp_eq_u64 s[2:3], 0
	s_cbranch_scc1 .LBB35_21
; %bb.1:
	v_cmp_lt_i64_e64 s[2:3], s[12:13], 1
	s_and_b64 vcc, exec, s[2:3]
	s_cbranch_vccnz .LBB35_20
; %bb.2:
	s_load_dword s2, s[0:1], 0xd3c
	v_mov_b64_e32 v[2:3], 0x10000
	v_cmp_lt_i64_e32 vcc, s[12:13], v[2:3]
	s_and_b64 s[4:5], vcc, exec
	s_cselect_b32 s5, s13, 0
	s_cselect_b32 s4, s12, 0x10000
	s_waitcnt lgkmcnt(0)
	s_and_b32 s2, s2, 0xffff
	v_cmp_lt_u64_e32 vcc, s[12:13], v[2:3]
	s_and_b64 s[6:7], vcc, exec
	s_mov_b32 s3, 0
	v_mov_b32_e32 v1, 0
	s_cselect_b32 s15, s13, 0
	s_cselect_b32 s14, s12, 0x10000
	s_lshl_b32 s6, s2, 1
	s_lshl_b32 s16, s2, 2
	s_add_u32 s24, s8, s10
	v_lshl_add_u64 v[8:9], v[0:1], 0, s[2:3]
	s_mov_b32 s7, s3
	s_mul_i32 s22, s2, 3
	s_mov_b32 s23, s3
	v_lshlrev_b32_e32 v2, 1, v0
	v_mov_b32_e32 v3, v1
	s_addc_u32 s25, s9, s11
	v_lshlrev_b32_e32 v10, 1, v8
	v_mov_b32_e32 v11, v1
	s_mov_b32 s17, s3
	v_lshl_add_u64 v[2:3], s[24:25], 0, v[2:3]
	s_lshl_b32 s18, s2, 3
	s_mov_b32 s19, s3
	s_mul_i32 s20, s2, 6
	s_mov_b32 s21, s3
	v_lshl_add_u64 v[4:5], s[22:23], 0, v[0:1]
	v_lshl_add_u64 v[6:7], s[6:7], 0, v[0:1]
	;; [unrolled: 1-line block ×3, first 2 shown]
	s_mov_b64 s[22:23], 0
	s_movk_i32 s27, 0x7fff
	v_mov_b64_e32 v[12:13], s[4:5]
	v_mov_b32_e32 v18, 0x7fc0
	s_branch .LBB35_4
.LBB35_3:                               ;   in Loop: Header=BB35_4 Depth=1
	s_or_b64 exec, exec, s[2:3]
	s_add_u32 s22, s22, s16
	s_addc_u32 s23, s23, 0
	v_cmp_lt_i64_e32 vcc, s[22:23], v[12:13]
	v_lshl_add_u64 v[2:3], v[2:3], 0, s[18:19]
	v_lshl_add_u64 v[10:11], v[10:11], 0, s[18:19]
	s_cbranch_vccz .LBB35_20
.LBB35_4:                               ; =>This Inner Loop Header: Depth=1
	v_lshl_add_u64 v[14:15], v[0:1], 0, s[22:23]
	v_cmp_gt_u64_e32 vcc, s[14:15], v[14:15]
	v_mov_b32_e32 v20, 0
	s_and_saveexec_b64 s[2:3], vcc
	s_cbranch_execz .LBB35_6
; %bb.5:                                ;   in Loop: Header=BB35_4 Depth=1
	global_load_ushort v14, v[2:3], off
	s_waitcnt vmcnt(0)
	v_lshlrev_b32_e32 v20, 16, v14
.LBB35_6:                               ;   in Loop: Header=BB35_4 Depth=1
	s_or_b64 exec, exec, s[2:3]
	v_lshl_add_u64 v[14:15], v[8:9], 0, s[22:23]
	v_cmp_gt_u64_e64 s[2:3], s[14:15], v[14:15]
	v_mov_b32_e32 v19, 0
	v_mov_b32_e32 v21, 0
	s_and_saveexec_b64 s[4:5], s[2:3]
	s_cbranch_execz .LBB35_8
; %bb.7:                                ;   in Loop: Header=BB35_4 Depth=1
	global_load_ushort v14, v[10:11], off
	s_waitcnt vmcnt(0)
	v_lshlrev_b32_e32 v21, 16, v14
.LBB35_8:                               ;   in Loop: Header=BB35_4 Depth=1
	s_or_b64 exec, exec, s[4:5]
	v_lshl_add_u64 v[14:15], v[6:7], 0, s[22:23]
	v_cmp_gt_u64_e64 s[4:5], s[14:15], v[14:15]
	v_lshl_add_u64 v[14:15], v[2:3], 0, s[16:17]
	s_and_saveexec_b64 s[6:7], s[4:5]
	s_cbranch_execz .LBB35_10
; %bb.9:                                ;   in Loop: Header=BB35_4 Depth=1
	global_load_ushort v16, v[14:15], off
	s_waitcnt vmcnt(0)
	v_lshlrev_b32_e32 v19, 16, v16
.LBB35_10:                              ;   in Loop: Header=BB35_4 Depth=1
	s_or_b64 exec, exec, s[6:7]
	v_lshl_add_u64 v[16:17], v[4:5], 0, s[22:23]
	v_cmp_gt_u64_e64 s[6:7], s[14:15], v[16:17]
	v_mov_b32_e32 v22, 0
	v_lshl_add_u64 v[16:17], v[2:3], 0, s[20:21]
	s_and_saveexec_b64 s[24:25], s[6:7]
	s_cbranch_execnz .LBB35_15
; %bb.11:                               ;   in Loop: Header=BB35_4 Depth=1
	s_or_b64 exec, exec, s[24:25]
	s_and_saveexec_b64 s[24:25], vcc
	s_cbranch_execnz .LBB35_16
.LBB35_12:                              ;   in Loop: Header=BB35_4 Depth=1
	s_or_b64 exec, exec, s[24:25]
	s_and_saveexec_b64 s[24:25], s[2:3]
	s_cbranch_execnz .LBB35_17
.LBB35_13:                              ;   in Loop: Header=BB35_4 Depth=1
	s_or_b64 exec, exec, s[24:25]
	s_and_saveexec_b64 s[2:3], s[4:5]
	s_cbranch_execnz .LBB35_18
.LBB35_14:                              ;   in Loop: Header=BB35_4 Depth=1
	s_or_b64 exec, exec, s[2:3]
	s_and_saveexec_b64 s[2:3], s[6:7]
	s_cbranch_execz .LBB35_3
	s_branch .LBB35_19
.LBB35_15:                              ;   in Loop: Header=BB35_4 Depth=1
	global_load_ushort v22, v[16:17], off
	s_waitcnt vmcnt(0)
	v_lshlrev_b32_e32 v22, 16, v22
	s_or_b64 exec, exec, s[24:25]
	s_and_saveexec_b64 s[24:25], vcc
	s_cbranch_execz .LBB35_12
.LBB35_16:                              ;   in Loop: Header=BB35_4 Depth=1
	v_mul_f32_e32 v20, s26, v20
	v_bfe_u32 v23, v20, 16, 1
	v_add3_u32 v23, v20, v23, s27
	v_cmp_o_f32_e32 vcc, v20, v20
	s_nop 1
	v_cndmask_b32_sdwa v20, v18, v23, vcc dst_sel:DWORD dst_unused:UNUSED_PAD src0_sel:DWORD src1_sel:WORD_1
	global_store_short v[2:3], v20, off
	s_or_b64 exec, exec, s[24:25]
	s_and_saveexec_b64 s[24:25], s[2:3]
	s_cbranch_execz .LBB35_13
.LBB35_17:                              ;   in Loop: Header=BB35_4 Depth=1
	v_mul_f32_e32 v20, s26, v21
	v_bfe_u32 v21, v20, 16, 1
	v_add3_u32 v21, v20, v21, s27
	v_cmp_o_f32_e32 vcc, v20, v20
	s_nop 1
	v_cndmask_b32_sdwa v20, v18, v21, vcc dst_sel:DWORD dst_unused:UNUSED_PAD src0_sel:DWORD src1_sel:WORD_1
	global_store_short v[10:11], v20, off
	s_or_b64 exec, exec, s[24:25]
	s_and_saveexec_b64 s[2:3], s[4:5]
	s_cbranch_execz .LBB35_14
.LBB35_18:                              ;   in Loop: Header=BB35_4 Depth=1
	v_mul_f32_e32 v19, s26, v19
	v_bfe_u32 v20, v19, 16, 1
	v_add3_u32 v20, v19, v20, s27
	v_cmp_o_f32_e32 vcc, v19, v19
	s_nop 1
	v_cndmask_b32_sdwa v19, v18, v20, vcc dst_sel:DWORD dst_unused:UNUSED_PAD src0_sel:DWORD src1_sel:WORD_1
	global_store_short v[14:15], v19, off
	s_or_b64 exec, exec, s[2:3]
	s_and_saveexec_b64 s[2:3], s[6:7]
	s_cbranch_execz .LBB35_3
.LBB35_19:                              ;   in Loop: Header=BB35_4 Depth=1
	v_mul_f32_e32 v14, s26, v22
	v_bfe_u32 v15, v14, 16, 1
	v_add3_u32 v15, v14, v15, s27
	v_cmp_o_f32_e32 vcc, v14, v14
	s_nop 1
	v_cndmask_b32_sdwa v14, v18, v15, vcc dst_sel:DWORD dst_unused:UNUSED_PAD src0_sel:DWORD src1_sel:WORD_1
	global_store_short v[16:17], v14, off
	s_branch .LBB35_3
.LBB35_20:
	s_cbranch_execz .LBB35_22
	s_branch .LBB35_25
.LBB35_21:
.LBB35_22:
	v_mov_b64_e32 v[4:5], 0x10000
	v_cmp_lt_i64_e32 vcc, s[12:13], v[4:5]
	s_and_b64 s[4:5], vcc, exec
	v_mov_b32_e32 v3, 0
	s_cselect_b32 s5, s13, 0
	s_cselect_b32 s4, s12, 0x10000
	v_lshlrev_b32_e32 v2, 2, v0
	s_mov_b32 s3, 0
	v_cmp_gt_i64_e32 vcc, s[4:5], v[2:3]
	s_and_saveexec_b64 s[6:7], vcc
	s_cbranch_execz .LBB35_25
; %bb.23:
	s_load_dword s0, s[0:1], 0xd3c
	v_lshlrev_b32_e32 v2, 3, v0
	v_mov_b32_e32 v1, v3
	s_mov_b32 s1, s3
	v_mov_b32_e32 v4, 0x7fc00000
	s_waitcnt lgkmcnt(0)
	s_and_b32 s2, s0, 0xffff
	s_add_u32 s6, s8, s10
	s_addc_u32 s7, s9, s11
	s_lshl_b32 s0, s2, 3
	v_lshl_add_u64 v[2:3], s[6:7], 0, v[2:3]
	s_mov_b64 s[6:7], 0
	s_movk_i32 s8, 0x7fff
	v_mov_b32_e32 v5, 0x7fc0
.LBB35_24:                              ; =>This Inner Loop Header: Depth=1
	global_load_dwordx2 v[6:7], v[2:3], off
	v_lshl_add_u64 v[0:1], v[0:1], 0, s[2:3]
	v_lshlrev_b64 v[8:9], 2, v[0:1]
	v_cmp_le_i64_e32 vcc, s[4:5], v[8:9]
	s_or_b64 s[6:7], vcc, s[6:7]
	s_waitcnt vmcnt(0)
	v_lshlrev_b32_e32 v8, 16, v6
	v_and_b32_e32 v9, 0xffff0000, v6
	v_alignbit_b32 v6, v7, v6, 16
	v_and_b32_e32 v7, 0xffff0000, v7
	v_mul_f32_e32 v7, s26, v7
	v_mul_f32_e32 v9, s26, v9
	v_bfe_u32 v12, v7, 16, 1
	v_mul_f32_e32 v8, s26, v8
	v_and_b32_e32 v6, 0xffff0000, v6
	v_bfe_u32 v11, v9, 16, 1
	v_add3_u32 v12, v7, v12, s8
	v_bfe_u32 v10, v8, 16, 1
	v_mul_f32_e32 v6, s26, v6
	v_add3_u32 v11, v9, v11, s8
	v_and_b32_e32 v12, 0xffff0000, v12
	v_cmp_o_f32_e32 vcc, v7, v7
	v_add3_u32 v10, v8, v10, s8
	v_bfe_u32 v13, v6, 16, 1
	v_and_b32_e32 v11, 0xffff0000, v11
	v_cndmask_b32_e32 v7, v4, v12, vcc
	v_cmp_o_f32_e32 vcc, v9, v9
	v_lshrrev_b32_e32 v10, 16, v10
	v_add3_u32 v13, v6, v13, s8
	v_cndmask_b32_e32 v9, v4, v11, vcc
	v_cmp_o_f32_e32 vcc, v8, v8
	v_lshrrev_b32_e32 v13, 16, v13
	s_nop 0
	v_cndmask_b32_e32 v8, v5, v10, vcc
	v_cmp_o_f32_e32 vcc, v6, v6
	v_or_b32_e32 v8, v8, v9
	s_nop 0
	v_cndmask_b32_e32 v6, v5, v13, vcc
	v_or3_b32 v7, 0, v6, v7
	v_or3_b32 v6, v8, 0, 0
	global_store_dwordx2 v[2:3], v[6:7], off
	v_lshl_add_u64 v[2:3], v[2:3], 0, s[0:1]
	s_andn2_b64 exec, exec, s[6:7]
	s_cbranch_execnz .LBB35_24
.LBB35_25:
	s_endpgm
	.section	.rodata,"a",@progbits
	.p2align	6, 0x0
	.amdhsa_kernel _ZN2at6native12_GLOBAL__N_125multi_tensor_apply_kernelINS1_18TensorListMetadataILi1EEENS1_21BinaryOpScalarFunctorIN3c108BFloat16ELi1ELi1ELi0EEEJSt10multipliesIfEfEEEvT_T0_DpT1_
		.amdhsa_group_segment_fixed_size 0
		.amdhsa_private_segment_fixed_size 0
		.amdhsa_kernarg_size 3632
		.amdhsa_user_sgpr_count 2
		.amdhsa_user_sgpr_dispatch_ptr 0
		.amdhsa_user_sgpr_queue_ptr 0
		.amdhsa_user_sgpr_kernarg_segment_ptr 1
		.amdhsa_user_sgpr_dispatch_id 0
		.amdhsa_user_sgpr_kernarg_preload_length 0
		.amdhsa_user_sgpr_kernarg_preload_offset 0
		.amdhsa_user_sgpr_private_segment_size 0
		.amdhsa_uses_dynamic_stack 0
		.amdhsa_enable_private_segment 0
		.amdhsa_system_sgpr_workgroup_id_x 1
		.amdhsa_system_sgpr_workgroup_id_y 0
		.amdhsa_system_sgpr_workgroup_id_z 0
		.amdhsa_system_sgpr_workgroup_info 0
		.amdhsa_system_vgpr_workitem_id 0
		.amdhsa_next_free_vgpr 24
		.amdhsa_next_free_sgpr 28
		.amdhsa_accum_offset 24
		.amdhsa_reserve_vcc 1
		.amdhsa_float_round_mode_32 0
		.amdhsa_float_round_mode_16_64 0
		.amdhsa_float_denorm_mode_32 3
		.amdhsa_float_denorm_mode_16_64 3
		.amdhsa_dx10_clamp 1
		.amdhsa_ieee_mode 1
		.amdhsa_fp16_overflow 0
		.amdhsa_tg_split 0
		.amdhsa_exception_fp_ieee_invalid_op 0
		.amdhsa_exception_fp_denorm_src 0
		.amdhsa_exception_fp_ieee_div_zero 0
		.amdhsa_exception_fp_ieee_overflow 0
		.amdhsa_exception_fp_ieee_underflow 0
		.amdhsa_exception_fp_ieee_inexact 0
		.amdhsa_exception_int_div_zero 0
	.end_amdhsa_kernel
	.section	.text._ZN2at6native12_GLOBAL__N_125multi_tensor_apply_kernelINS1_18TensorListMetadataILi1EEENS1_21BinaryOpScalarFunctorIN3c108BFloat16ELi1ELi1ELi0EEEJSt10multipliesIfEfEEEvT_T0_DpT1_,"axG",@progbits,_ZN2at6native12_GLOBAL__N_125multi_tensor_apply_kernelINS1_18TensorListMetadataILi1EEENS1_21BinaryOpScalarFunctorIN3c108BFloat16ELi1ELi1ELi0EEEJSt10multipliesIfEfEEEvT_T0_DpT1_,comdat
.Lfunc_end35:
	.size	_ZN2at6native12_GLOBAL__N_125multi_tensor_apply_kernelINS1_18TensorListMetadataILi1EEENS1_21BinaryOpScalarFunctorIN3c108BFloat16ELi1ELi1ELi0EEEJSt10multipliesIfEfEEEvT_T0_DpT1_, .Lfunc_end35-_ZN2at6native12_GLOBAL__N_125multi_tensor_apply_kernelINS1_18TensorListMetadataILi1EEENS1_21BinaryOpScalarFunctorIN3c108BFloat16ELi1ELi1ELi0EEEJSt10multipliesIfEfEEEvT_T0_DpT1_
                                        ; -- End function
	.set _ZN2at6native12_GLOBAL__N_125multi_tensor_apply_kernelINS1_18TensorListMetadataILi1EEENS1_21BinaryOpScalarFunctorIN3c108BFloat16ELi1ELi1ELi0EEEJSt10multipliesIfEfEEEvT_T0_DpT1_.num_vgpr, 24
	.set _ZN2at6native12_GLOBAL__N_125multi_tensor_apply_kernelINS1_18TensorListMetadataILi1EEENS1_21BinaryOpScalarFunctorIN3c108BFloat16ELi1ELi1ELi0EEEJSt10multipliesIfEfEEEvT_T0_DpT1_.num_agpr, 0
	.set _ZN2at6native12_GLOBAL__N_125multi_tensor_apply_kernelINS1_18TensorListMetadataILi1EEENS1_21BinaryOpScalarFunctorIN3c108BFloat16ELi1ELi1ELi0EEEJSt10multipliesIfEfEEEvT_T0_DpT1_.numbered_sgpr, 28
	.set _ZN2at6native12_GLOBAL__N_125multi_tensor_apply_kernelINS1_18TensorListMetadataILi1EEENS1_21BinaryOpScalarFunctorIN3c108BFloat16ELi1ELi1ELi0EEEJSt10multipliesIfEfEEEvT_T0_DpT1_.num_named_barrier, 0
	.set _ZN2at6native12_GLOBAL__N_125multi_tensor_apply_kernelINS1_18TensorListMetadataILi1EEENS1_21BinaryOpScalarFunctorIN3c108BFloat16ELi1ELi1ELi0EEEJSt10multipliesIfEfEEEvT_T0_DpT1_.private_seg_size, 0
	.set _ZN2at6native12_GLOBAL__N_125multi_tensor_apply_kernelINS1_18TensorListMetadataILi1EEENS1_21BinaryOpScalarFunctorIN3c108BFloat16ELi1ELi1ELi0EEEJSt10multipliesIfEfEEEvT_T0_DpT1_.uses_vcc, 1
	.set _ZN2at6native12_GLOBAL__N_125multi_tensor_apply_kernelINS1_18TensorListMetadataILi1EEENS1_21BinaryOpScalarFunctorIN3c108BFloat16ELi1ELi1ELi0EEEJSt10multipliesIfEfEEEvT_T0_DpT1_.uses_flat_scratch, 0
	.set _ZN2at6native12_GLOBAL__N_125multi_tensor_apply_kernelINS1_18TensorListMetadataILi1EEENS1_21BinaryOpScalarFunctorIN3c108BFloat16ELi1ELi1ELi0EEEJSt10multipliesIfEfEEEvT_T0_DpT1_.has_dyn_sized_stack, 0
	.set _ZN2at6native12_GLOBAL__N_125multi_tensor_apply_kernelINS1_18TensorListMetadataILi1EEENS1_21BinaryOpScalarFunctorIN3c108BFloat16ELi1ELi1ELi0EEEJSt10multipliesIfEfEEEvT_T0_DpT1_.has_recursion, 0
	.set _ZN2at6native12_GLOBAL__N_125multi_tensor_apply_kernelINS1_18TensorListMetadataILi1EEENS1_21BinaryOpScalarFunctorIN3c108BFloat16ELi1ELi1ELi0EEEJSt10multipliesIfEfEEEvT_T0_DpT1_.has_indirect_call, 0
	.section	.AMDGPU.csdata,"",@progbits
; Kernel info:
; codeLenInByte = 1268
; TotalNumSgprs: 34
; NumVgprs: 24
; NumAgprs: 0
; TotalNumVgprs: 24
; ScratchSize: 0
; MemoryBound: 0
; FloatMode: 240
; IeeeMode: 1
; LDSByteSize: 0 bytes/workgroup (compile time only)
; SGPRBlocks: 4
; VGPRBlocks: 2
; NumSGPRsForWavesPerEU: 34
; NumVGPRsForWavesPerEU: 24
; AccumOffset: 24
; Occupancy: 8
; WaveLimiterHint : 0
; COMPUTE_PGM_RSRC2:SCRATCH_EN: 0
; COMPUTE_PGM_RSRC2:USER_SGPR: 2
; COMPUTE_PGM_RSRC2:TRAP_HANDLER: 0
; COMPUTE_PGM_RSRC2:TGID_X_EN: 1
; COMPUTE_PGM_RSRC2:TGID_Y_EN: 0
; COMPUTE_PGM_RSRC2:TGID_Z_EN: 0
; COMPUTE_PGM_RSRC2:TIDIG_COMP_CNT: 0
; COMPUTE_PGM_RSRC3_GFX90A:ACCUM_OFFSET: 5
; COMPUTE_PGM_RSRC3_GFX90A:TG_SPLIT: 0
	.section	.text._ZN2at6native12_GLOBAL__N_125multi_tensor_apply_kernelINS1_18TensorListMetadataILi2EEENS1_21BinaryOpScalarFunctorIhLi2ELi1ELi1EEEJSt10multipliesIhEhEEEvT_T0_DpT1_,"axG",@progbits,_ZN2at6native12_GLOBAL__N_125multi_tensor_apply_kernelINS1_18TensorListMetadataILi2EEENS1_21BinaryOpScalarFunctorIhLi2ELi1ELi1EEEJSt10multipliesIhEhEEEvT_T0_DpT1_,comdat
	.globl	_ZN2at6native12_GLOBAL__N_125multi_tensor_apply_kernelINS1_18TensorListMetadataILi2EEENS1_21BinaryOpScalarFunctorIhLi2ELi1ELi1EEEJSt10multipliesIhEhEEEvT_T0_DpT1_ ; -- Begin function _ZN2at6native12_GLOBAL__N_125multi_tensor_apply_kernelINS1_18TensorListMetadataILi2EEENS1_21BinaryOpScalarFunctorIhLi2ELi1ELi1EEEJSt10multipliesIhEhEEEvT_T0_DpT1_
	.p2align	8
	.type	_ZN2at6native12_GLOBAL__N_125multi_tensor_apply_kernelINS1_18TensorListMetadataILi2EEENS1_21BinaryOpScalarFunctorIhLi2ELi1ELi1EEEJSt10multipliesIhEhEEEvT_T0_DpT1_,@function
_ZN2at6native12_GLOBAL__N_125multi_tensor_apply_kernelINS1_18TensorListMetadataILi2EEENS1_21BinaryOpScalarFunctorIhLi2ELi1ELi1EEEJSt10multipliesIhEhEEEvT_T0_DpT1_: ; @_ZN2at6native12_GLOBAL__N_125multi_tensor_apply_kernelINS1_18TensorListMetadataILi2EEENS1_21BinaryOpScalarFunctorIhLi2ELi1ELi1EEEJSt10multipliesIhEhEEEvT_T0_DpT1_
; %bb.0:
	v_mov_b32_e32 v1, s2
	global_load_ubyte v1, v1, s[0:1] offset:1536
	s_add_u32 s3, s0, s2
	s_mul_hi_u32 s4, s2, 3
	s_mul_i32 s2, s2, 3
	s_addc_u32 s5, s1, 0
	s_add_u32 s2, s3, s2
	s_addc_u32 s3, s5, s4
	s_load_dword s2, s[2:3], 0x740
	s_waitcnt lgkmcnt(0)
	s_ashr_i32 s3, s2, 31
	s_lshl_b64 s[12:13], s[2:3], 16
	s_waitcnt vmcnt(0)
	v_readfirstlane_b32 s4, v1
	s_lshl_b32 s6, s4, 3
	s_load_dwordx2 s[8:9], s[0:1], s6 offset:0x0
	s_load_dwordx2 s[4:5], s[0:1], s6 offset:0x400
	s_load_dword s22, s[0:1], 0xc48
	s_load_dwordx2 s[10:11], s[0:1], s6 offset:0x200
	s_waitcnt lgkmcnt(0)
	s_add_u32 s2, s8, s12
	s_sub_u32 s14, s4, s12
	s_subb_u32 s15, s5, s13
	s_or_b32 s3, s4, s10
	s_or_b32 s2, s3, s2
	s_and_b32 s2, s2, 3
	s_cmp_eq_u32 s2, 0
	s_mov_b64 s[2:3], -1
	s_cbranch_scc1 .LBB36_21
; %bb.1:
	v_cmp_lt_i64_e64 s[2:3], s[14:15], 1
	s_and_b64 vcc, exec, s[2:3]
	s_cbranch_vccnz .LBB36_20
; %bb.2:
	s_load_dword s2, s[0:1], 0xc5c
	v_mov_b64_e32 v[2:3], 0x10000
	v_cmp_lt_i64_e32 vcc, s[14:15], v[2:3]
	s_and_b64 s[4:5], vcc, exec
	s_cselect_b32 s5, s15, 0
	s_cselect_b32 s4, s14, 0x10000
	s_waitcnt lgkmcnt(0)
	s_and_b32 s2, s2, 0xffff
	v_cmp_lt_u64_e32 vcc, s[14:15], v[2:3]
	s_and_b64 s[6:7], vcc, exec
	s_cselect_b32 s17, s15, 0
	s_cselect_b32 s16, s14, 0x10000
	s_lshl_b32 s6, s2, 1
	s_mul_i32 s18, s2, 3
	s_lshl_b32 s23, s2, 2
	s_mov_b32 s3, 0
	s_add_u32 s20, s12, s18
	v_mov_b32_e32 v1, 0
	s_mov_b32 s19, s3
	s_addc_u32 s21, s13, 0
	v_lshl_add_u64 v[10:11], s[18:19], 0, v[0:1]
	s_add_u32 s18, s12, s6
	v_lshl_add_u64 v[18:19], s[12:13], 0, v[0:1]
	s_addc_u32 s19, s13, 0
	s_mov_b32 s7, s3
	v_lshl_add_u64 v[8:9], s[20:21], 0, v[0:1]
	v_lshl_add_u64 v[14:15], s[18:19], 0, v[0:1]
	;; [unrolled: 1-line block ×13, first 2 shown]
	s_mov_b64 s[18:19], 0
	s_lshr_b32 s24, s22, 16
	v_mov_b64_e32 v[24:25], s[4:5]
	s_branch .LBB36_4
.LBB36_3:                               ;   in Loop: Header=BB36_4 Depth=1
	s_or_b64 exec, exec, s[2:3]
	s_add_u32 s18, s18, s23
	s_addc_u32 s19, s19, 0
	v_cmp_lt_i64_e32 vcc, s[18:19], v[24:25]
	s_cbranch_vccz .LBB36_20
.LBB36_4:                               ; =>This Inner Loop Header: Depth=1
	s_waitcnt vmcnt(0)
	v_lshl_add_u64 v[26:27], v[0:1], 0, s[18:19]
	v_cmp_gt_u64_e32 vcc, s[16:17], v[26:27]
	v_mov_b32_e32 v27, 0
	s_and_saveexec_b64 s[2:3], vcc
	s_cbranch_execz .LBB36_6
; %bb.5:                                ;   in Loop: Header=BB36_4 Depth=1
	v_lshl_add_u64 v[26:27], v[2:3], 0, s[18:19]
	global_load_ubyte v27, v[26:27], off
.LBB36_6:                               ;   in Loop: Header=BB36_4 Depth=1
	s_or_b64 exec, exec, s[2:3]
	v_lshl_add_u64 v[28:29], v[22:23], 0, s[18:19]
	v_cmp_gt_u64_e64 s[2:3], s[16:17], v[28:29]
	v_mov_b32_e32 v26, 0
	v_mov_b32_e32 v28, 0
	s_and_saveexec_b64 s[4:5], s[2:3]
	s_cbranch_execz .LBB36_8
; %bb.7:                                ;   in Loop: Header=BB36_4 Depth=1
	v_lshl_add_u64 v[28:29], v[18:19], 0, s[18:19]
	global_load_ubyte v28, v[28:29], off
.LBB36_8:                               ;   in Loop: Header=BB36_4 Depth=1
	s_or_b64 exec, exec, s[4:5]
	v_lshl_add_u64 v[30:31], v[16:17], 0, s[18:19]
	v_cmp_gt_u64_e64 s[4:5], s[16:17], v[30:31]
	s_and_saveexec_b64 s[6:7], s[4:5]
	s_cbranch_execz .LBB36_10
; %bb.9:                                ;   in Loop: Header=BB36_4 Depth=1
	v_lshl_add_u64 v[30:31], v[12:13], 0, s[18:19]
	global_load_ubyte v26, v[30:31], off
.LBB36_10:                              ;   in Loop: Header=BB36_4 Depth=1
	s_or_b64 exec, exec, s[6:7]
	v_lshl_add_u64 v[30:31], v[10:11], 0, s[18:19]
	v_cmp_gt_u64_e64 s[6:7], s[16:17], v[30:31]
	v_mov_b32_e32 v29, 0
	s_and_saveexec_b64 s[20:21], s[6:7]
	s_cbranch_execnz .LBB36_15
; %bb.11:                               ;   in Loop: Header=BB36_4 Depth=1
	s_or_b64 exec, exec, s[20:21]
	s_and_saveexec_b64 s[20:21], vcc
	s_cbranch_execnz .LBB36_16
.LBB36_12:                              ;   in Loop: Header=BB36_4 Depth=1
	s_or_b64 exec, exec, s[20:21]
	s_and_saveexec_b64 s[20:21], s[2:3]
	s_cbranch_execnz .LBB36_17
.LBB36_13:                              ;   in Loop: Header=BB36_4 Depth=1
	s_or_b64 exec, exec, s[20:21]
	s_and_saveexec_b64 s[2:3], s[4:5]
	s_cbranch_execnz .LBB36_18
.LBB36_14:                              ;   in Loop: Header=BB36_4 Depth=1
	s_or_b64 exec, exec, s[2:3]
	s_and_saveexec_b64 s[2:3], s[6:7]
	s_cbranch_execz .LBB36_3
	s_branch .LBB36_19
.LBB36_15:                              ;   in Loop: Header=BB36_4 Depth=1
	v_lshl_add_u64 v[30:31], v[6:7], 0, s[18:19]
	global_load_ubyte v29, v[30:31], off
	s_or_b64 exec, exec, s[20:21]
	s_and_saveexec_b64 s[20:21], vcc
	s_cbranch_execz .LBB36_12
.LBB36_16:                              ;   in Loop: Header=BB36_4 Depth=1
	s_waitcnt vmcnt(0)
	v_mul_lo_u16_e32 v27, s24, v27
	v_lshl_add_u64 v[30:31], v[4:5], 0, s[18:19]
	global_store_byte v[30:31], v27, off
	s_or_b64 exec, exec, s[20:21]
	s_and_saveexec_b64 s[20:21], s[2:3]
	s_cbranch_execz .LBB36_13
.LBB36_17:                              ;   in Loop: Header=BB36_4 Depth=1
	s_waitcnt vmcnt(0)
	v_mul_lo_u16_e32 v27, s24, v28
	v_lshl_add_u64 v[30:31], v[20:21], 0, s[18:19]
	global_store_byte v[30:31], v27, off
	s_or_b64 exec, exec, s[20:21]
	s_and_saveexec_b64 s[2:3], s[4:5]
	s_cbranch_execz .LBB36_14
.LBB36_18:                              ;   in Loop: Header=BB36_4 Depth=1
	s_waitcnt vmcnt(0)
	v_mul_lo_u16_e32 v28, s24, v26
	v_lshl_add_u64 v[26:27], v[14:15], 0, s[18:19]
	global_store_byte v[26:27], v28, off
	s_or_b64 exec, exec, s[2:3]
	s_and_saveexec_b64 s[2:3], s[6:7]
	s_cbranch_execz .LBB36_3
.LBB36_19:                              ;   in Loop: Header=BB36_4 Depth=1
	s_waitcnt vmcnt(0)
	v_mul_lo_u16_e32 v28, s24, v29
	v_lshl_add_u64 v[26:27], v[8:9], 0, s[18:19]
	global_store_byte v[26:27], v28, off
	s_branch .LBB36_3
.LBB36_20:
	s_mov_b64 s[2:3], 0
.LBB36_21:
	s_andn2_b64 vcc, exec, s[2:3]
	s_cbranch_vccnz .LBB36_25
; %bb.22:
	v_mov_b64_e32 v[4:5], 0x10000
	v_cmp_lt_i64_e32 vcc, s[14:15], v[4:5]
	s_and_b64 s[4:5], vcc, exec
	v_mov_b32_e32 v3, 0
	s_cselect_b32 s5, s15, 0
	s_cselect_b32 s4, s14, 0x10000
	v_lshlrev_b32_e32 v2, 2, v0
	s_mov_b32 s3, 0
	v_cmp_gt_i64_e32 vcc, s[4:5], v[2:3]
	s_and_saveexec_b64 s[6:7], vcc
	s_cbranch_execz .LBB36_25
; %bb.23:
	s_load_dword s0, s[0:1], 0xc5c
	v_mov_b32_e32 v1, v3
	v_lshl_add_u64 v[2:3], s[12:13], 0, v[2:3]
	s_mov_b32 s1, s3
	s_mov_b64 s[6:7], 0
	s_waitcnt lgkmcnt(0)
	s_and_b32 s2, s0, 0xffff
	s_lshl_b32 s0, s2, 2
	s_lshr_b32 s12, s22, 16
	s_movk_i32 s13, 0xff
.LBB36_24:                              ; =>This Inner Loop Header: Depth=1
	v_lshl_add_u64 v[4:5], s[8:9], 0, v[2:3]
	global_load_dword v8, v[4:5], off
	v_lshl_add_u64 v[0:1], v[0:1], 0, s[2:3]
	v_lshlrev_b64 v[6:7], 2, v[0:1]
	v_cmp_le_i64_e32 vcc, s[4:5], v[6:7]
	v_lshl_add_u64 v[4:5], s[10:11], 0, v[2:3]
	v_lshl_add_u64 v[2:3], v[2:3], 0, s[0:1]
	s_or_b64 s[6:7], vcc, s[6:7]
	s_waitcnt vmcnt(0)
	v_mul_lo_u16_e32 v6, s12, v8
	v_lshrrev_b32_e32 v7, 8, v8
	v_mul_lo_u16_sdwa v9, s12, v8 dst_sel:DWORD dst_unused:UNUSED_PAD src0_sel:DWORD src1_sel:WORD_1
	v_mul_lo_u16_sdwa v8, s12, v8 dst_sel:BYTE_1 dst_unused:UNUSED_PAD src0_sel:DWORD src1_sel:BYTE_3
	v_mul_lo_u16_sdwa v7, s12, v7 dst_sel:BYTE_1 dst_unused:UNUSED_PAD src0_sel:DWORD src1_sel:DWORD
	v_bitop3_b16 v8, v9, v8, s13 bitop3:0xec
	v_bitop3_b16 v6, v6, v7, s13 bitop3:0xec
	v_lshlrev_b32_e32 v7, 16, v8
	v_or_b32_sdwa v6, v6, v7 dst_sel:DWORD dst_unused:UNUSED_PAD src0_sel:WORD_0 src1_sel:DWORD
	global_store_dword v[4:5], v6, off
	s_andn2_b64 exec, exec, s[6:7]
	s_cbranch_execnz .LBB36_24
.LBB36_25:
	s_endpgm
	.section	.rodata,"a",@progbits
	.p2align	6, 0x0
	.amdhsa_kernel _ZN2at6native12_GLOBAL__N_125multi_tensor_apply_kernelINS1_18TensorListMetadataILi2EEENS1_21BinaryOpScalarFunctorIhLi2ELi1ELi1EEEJSt10multipliesIhEhEEEvT_T0_DpT1_
		.amdhsa_group_segment_fixed_size 0
		.amdhsa_private_segment_fixed_size 0
		.amdhsa_kernarg_size 3408
		.amdhsa_user_sgpr_count 2
		.amdhsa_user_sgpr_dispatch_ptr 0
		.amdhsa_user_sgpr_queue_ptr 0
		.amdhsa_user_sgpr_kernarg_segment_ptr 1
		.amdhsa_user_sgpr_dispatch_id 0
		.amdhsa_user_sgpr_kernarg_preload_length 0
		.amdhsa_user_sgpr_kernarg_preload_offset 0
		.amdhsa_user_sgpr_private_segment_size 0
		.amdhsa_uses_dynamic_stack 0
		.amdhsa_enable_private_segment 0
		.amdhsa_system_sgpr_workgroup_id_x 1
		.amdhsa_system_sgpr_workgroup_id_y 0
		.amdhsa_system_sgpr_workgroup_id_z 0
		.amdhsa_system_sgpr_workgroup_info 0
		.amdhsa_system_vgpr_workitem_id 0
		.amdhsa_next_free_vgpr 32
		.amdhsa_next_free_sgpr 25
		.amdhsa_accum_offset 32
		.amdhsa_reserve_vcc 1
		.amdhsa_float_round_mode_32 0
		.amdhsa_float_round_mode_16_64 0
		.amdhsa_float_denorm_mode_32 3
		.amdhsa_float_denorm_mode_16_64 3
		.amdhsa_dx10_clamp 1
		.amdhsa_ieee_mode 1
		.amdhsa_fp16_overflow 0
		.amdhsa_tg_split 0
		.amdhsa_exception_fp_ieee_invalid_op 0
		.amdhsa_exception_fp_denorm_src 0
		.amdhsa_exception_fp_ieee_div_zero 0
		.amdhsa_exception_fp_ieee_overflow 0
		.amdhsa_exception_fp_ieee_underflow 0
		.amdhsa_exception_fp_ieee_inexact 0
		.amdhsa_exception_int_div_zero 0
	.end_amdhsa_kernel
	.section	.text._ZN2at6native12_GLOBAL__N_125multi_tensor_apply_kernelINS1_18TensorListMetadataILi2EEENS1_21BinaryOpScalarFunctorIhLi2ELi1ELi1EEEJSt10multipliesIhEhEEEvT_T0_DpT1_,"axG",@progbits,_ZN2at6native12_GLOBAL__N_125multi_tensor_apply_kernelINS1_18TensorListMetadataILi2EEENS1_21BinaryOpScalarFunctorIhLi2ELi1ELi1EEEJSt10multipliesIhEhEEEvT_T0_DpT1_,comdat
.Lfunc_end36:
	.size	_ZN2at6native12_GLOBAL__N_125multi_tensor_apply_kernelINS1_18TensorListMetadataILi2EEENS1_21BinaryOpScalarFunctorIhLi2ELi1ELi1EEEJSt10multipliesIhEhEEEvT_T0_DpT1_, .Lfunc_end36-_ZN2at6native12_GLOBAL__N_125multi_tensor_apply_kernelINS1_18TensorListMetadataILi2EEENS1_21BinaryOpScalarFunctorIhLi2ELi1ELi1EEEJSt10multipliesIhEhEEEvT_T0_DpT1_
                                        ; -- End function
	.set _ZN2at6native12_GLOBAL__N_125multi_tensor_apply_kernelINS1_18TensorListMetadataILi2EEENS1_21BinaryOpScalarFunctorIhLi2ELi1ELi1EEEJSt10multipliesIhEhEEEvT_T0_DpT1_.num_vgpr, 32
	.set _ZN2at6native12_GLOBAL__N_125multi_tensor_apply_kernelINS1_18TensorListMetadataILi2EEENS1_21BinaryOpScalarFunctorIhLi2ELi1ELi1EEEJSt10multipliesIhEhEEEvT_T0_DpT1_.num_agpr, 0
	.set _ZN2at6native12_GLOBAL__N_125multi_tensor_apply_kernelINS1_18TensorListMetadataILi2EEENS1_21BinaryOpScalarFunctorIhLi2ELi1ELi1EEEJSt10multipliesIhEhEEEvT_T0_DpT1_.numbered_sgpr, 25
	.set _ZN2at6native12_GLOBAL__N_125multi_tensor_apply_kernelINS1_18TensorListMetadataILi2EEENS1_21BinaryOpScalarFunctorIhLi2ELi1ELi1EEEJSt10multipliesIhEhEEEvT_T0_DpT1_.num_named_barrier, 0
	.set _ZN2at6native12_GLOBAL__N_125multi_tensor_apply_kernelINS1_18TensorListMetadataILi2EEENS1_21BinaryOpScalarFunctorIhLi2ELi1ELi1EEEJSt10multipliesIhEhEEEvT_T0_DpT1_.private_seg_size, 0
	.set _ZN2at6native12_GLOBAL__N_125multi_tensor_apply_kernelINS1_18TensorListMetadataILi2EEENS1_21BinaryOpScalarFunctorIhLi2ELi1ELi1EEEJSt10multipliesIhEhEEEvT_T0_DpT1_.uses_vcc, 1
	.set _ZN2at6native12_GLOBAL__N_125multi_tensor_apply_kernelINS1_18TensorListMetadataILi2EEENS1_21BinaryOpScalarFunctorIhLi2ELi1ELi1EEEJSt10multipliesIhEhEEEvT_T0_DpT1_.uses_flat_scratch, 0
	.set _ZN2at6native12_GLOBAL__N_125multi_tensor_apply_kernelINS1_18TensorListMetadataILi2EEENS1_21BinaryOpScalarFunctorIhLi2ELi1ELi1EEEJSt10multipliesIhEhEEEvT_T0_DpT1_.has_dyn_sized_stack, 0
	.set _ZN2at6native12_GLOBAL__N_125multi_tensor_apply_kernelINS1_18TensorListMetadataILi2EEENS1_21BinaryOpScalarFunctorIhLi2ELi1ELi1EEEJSt10multipliesIhEhEEEvT_T0_DpT1_.has_recursion, 0
	.set _ZN2at6native12_GLOBAL__N_125multi_tensor_apply_kernelINS1_18TensorListMetadataILi2EEENS1_21BinaryOpScalarFunctorIhLi2ELi1ELi1EEEJSt10multipliesIhEhEEEvT_T0_DpT1_.has_indirect_call, 0
	.section	.AMDGPU.csdata,"",@progbits
; Kernel info:
; codeLenInByte = 1068
; TotalNumSgprs: 31
; NumVgprs: 32
; NumAgprs: 0
; TotalNumVgprs: 32
; ScratchSize: 0
; MemoryBound: 0
; FloatMode: 240
; IeeeMode: 1
; LDSByteSize: 0 bytes/workgroup (compile time only)
; SGPRBlocks: 3
; VGPRBlocks: 3
; NumSGPRsForWavesPerEU: 31
; NumVGPRsForWavesPerEU: 32
; AccumOffset: 32
; Occupancy: 8
; WaveLimiterHint : 0
; COMPUTE_PGM_RSRC2:SCRATCH_EN: 0
; COMPUTE_PGM_RSRC2:USER_SGPR: 2
; COMPUTE_PGM_RSRC2:TRAP_HANDLER: 0
; COMPUTE_PGM_RSRC2:TGID_X_EN: 1
; COMPUTE_PGM_RSRC2:TGID_Y_EN: 0
; COMPUTE_PGM_RSRC2:TGID_Z_EN: 0
; COMPUTE_PGM_RSRC2:TIDIG_COMP_CNT: 0
; COMPUTE_PGM_RSRC3_GFX90A:ACCUM_OFFSET: 7
; COMPUTE_PGM_RSRC3_GFX90A:TG_SPLIT: 0
	.section	.text._ZN2at6native12_GLOBAL__N_125multi_tensor_apply_kernelINS1_18TensorListMetadataILi2EEENS1_21BinaryOpScalarFunctorIaLi2ELi1ELi1EEEJSt10multipliesIaEaEEEvT_T0_DpT1_,"axG",@progbits,_ZN2at6native12_GLOBAL__N_125multi_tensor_apply_kernelINS1_18TensorListMetadataILi2EEENS1_21BinaryOpScalarFunctorIaLi2ELi1ELi1EEEJSt10multipliesIaEaEEEvT_T0_DpT1_,comdat
	.globl	_ZN2at6native12_GLOBAL__N_125multi_tensor_apply_kernelINS1_18TensorListMetadataILi2EEENS1_21BinaryOpScalarFunctorIaLi2ELi1ELi1EEEJSt10multipliesIaEaEEEvT_T0_DpT1_ ; -- Begin function _ZN2at6native12_GLOBAL__N_125multi_tensor_apply_kernelINS1_18TensorListMetadataILi2EEENS1_21BinaryOpScalarFunctorIaLi2ELi1ELi1EEEJSt10multipliesIaEaEEEvT_T0_DpT1_
	.p2align	8
	.type	_ZN2at6native12_GLOBAL__N_125multi_tensor_apply_kernelINS1_18TensorListMetadataILi2EEENS1_21BinaryOpScalarFunctorIaLi2ELi1ELi1EEEJSt10multipliesIaEaEEEvT_T0_DpT1_,@function
_ZN2at6native12_GLOBAL__N_125multi_tensor_apply_kernelINS1_18TensorListMetadataILi2EEENS1_21BinaryOpScalarFunctorIaLi2ELi1ELi1EEEJSt10multipliesIaEaEEEvT_T0_DpT1_: ; @_ZN2at6native12_GLOBAL__N_125multi_tensor_apply_kernelINS1_18TensorListMetadataILi2EEENS1_21BinaryOpScalarFunctorIaLi2ELi1ELi1EEEJSt10multipliesIaEaEEEvT_T0_DpT1_
; %bb.0:
	v_mov_b32_e32 v1, s2
	global_load_ubyte v1, v1, s[0:1] offset:1536
	s_add_u32 s3, s0, s2
	s_mul_hi_u32 s4, s2, 3
	s_mul_i32 s2, s2, 3
	s_addc_u32 s5, s1, 0
	s_add_u32 s2, s3, s2
	s_addc_u32 s3, s5, s4
	s_load_dword s2, s[2:3], 0x740
	s_waitcnt lgkmcnt(0)
	s_ashr_i32 s3, s2, 31
	s_lshl_b64 s[12:13], s[2:3], 16
	s_waitcnt vmcnt(0)
	v_readfirstlane_b32 s4, v1
	s_lshl_b32 s6, s4, 3
	s_load_dwordx2 s[8:9], s[0:1], s6 offset:0x0
	s_load_dwordx2 s[4:5], s[0:1], s6 offset:0x400
	s_load_dword s22, s[0:1], 0xc48
	s_load_dwordx2 s[10:11], s[0:1], s6 offset:0x200
	s_waitcnt lgkmcnt(0)
	s_add_u32 s2, s8, s12
	s_sub_u32 s14, s4, s12
	s_subb_u32 s15, s5, s13
	s_or_b32 s3, s4, s10
	s_or_b32 s2, s3, s2
	s_and_b32 s2, s2, 3
	s_cmp_eq_u32 s2, 0
	s_mov_b64 s[2:3], -1
	s_cbranch_scc1 .LBB37_21
; %bb.1:
	v_cmp_lt_i64_e64 s[2:3], s[14:15], 1
	s_and_b64 vcc, exec, s[2:3]
	s_cbranch_vccnz .LBB37_20
; %bb.2:
	s_load_dword s2, s[0:1], 0xc5c
	v_mov_b64_e32 v[2:3], 0x10000
	v_cmp_lt_i64_e32 vcc, s[14:15], v[2:3]
	s_and_b64 s[4:5], vcc, exec
	s_cselect_b32 s5, s15, 0
	s_cselect_b32 s4, s14, 0x10000
	s_waitcnt lgkmcnt(0)
	s_and_b32 s2, s2, 0xffff
	v_cmp_lt_u64_e32 vcc, s[14:15], v[2:3]
	s_and_b64 s[6:7], vcc, exec
	s_cselect_b32 s17, s15, 0
	s_cselect_b32 s16, s14, 0x10000
	s_lshl_b32 s6, s2, 1
	s_mul_i32 s18, s2, 3
	s_lshl_b32 s23, s2, 2
	s_mov_b32 s3, 0
	s_add_u32 s20, s12, s18
	v_mov_b32_e32 v1, 0
	s_mov_b32 s19, s3
	s_addc_u32 s21, s13, 0
	v_lshl_add_u64 v[10:11], s[18:19], 0, v[0:1]
	s_add_u32 s18, s12, s6
	v_lshl_add_u64 v[18:19], s[12:13], 0, v[0:1]
	s_addc_u32 s19, s13, 0
	s_mov_b32 s7, s3
	v_lshl_add_u64 v[8:9], s[20:21], 0, v[0:1]
	v_lshl_add_u64 v[14:15], s[18:19], 0, v[0:1]
	;; [unrolled: 1-line block ×13, first 2 shown]
	s_mov_b64 s[18:19], 0
	s_lshr_b32 s24, s22, 16
	v_mov_b64_e32 v[24:25], s[4:5]
	s_branch .LBB37_4
.LBB37_3:                               ;   in Loop: Header=BB37_4 Depth=1
	s_or_b64 exec, exec, s[2:3]
	s_add_u32 s18, s18, s23
	s_addc_u32 s19, s19, 0
	v_cmp_lt_i64_e32 vcc, s[18:19], v[24:25]
	s_cbranch_vccz .LBB37_20
.LBB37_4:                               ; =>This Inner Loop Header: Depth=1
	s_waitcnt vmcnt(0)
	v_lshl_add_u64 v[26:27], v[0:1], 0, s[18:19]
	v_cmp_gt_u64_e32 vcc, s[16:17], v[26:27]
	v_mov_b32_e32 v27, 0
	s_and_saveexec_b64 s[2:3], vcc
	s_cbranch_execz .LBB37_6
; %bb.5:                                ;   in Loop: Header=BB37_4 Depth=1
	v_lshl_add_u64 v[26:27], v[2:3], 0, s[18:19]
	global_load_ubyte v27, v[26:27], off
.LBB37_6:                               ;   in Loop: Header=BB37_4 Depth=1
	s_or_b64 exec, exec, s[2:3]
	v_lshl_add_u64 v[28:29], v[22:23], 0, s[18:19]
	v_cmp_gt_u64_e64 s[2:3], s[16:17], v[28:29]
	v_mov_b32_e32 v26, 0
	v_mov_b32_e32 v28, 0
	s_and_saveexec_b64 s[4:5], s[2:3]
	s_cbranch_execz .LBB37_8
; %bb.7:                                ;   in Loop: Header=BB37_4 Depth=1
	v_lshl_add_u64 v[28:29], v[18:19], 0, s[18:19]
	global_load_ubyte v28, v[28:29], off
.LBB37_8:                               ;   in Loop: Header=BB37_4 Depth=1
	s_or_b64 exec, exec, s[4:5]
	v_lshl_add_u64 v[30:31], v[16:17], 0, s[18:19]
	v_cmp_gt_u64_e64 s[4:5], s[16:17], v[30:31]
	s_and_saveexec_b64 s[6:7], s[4:5]
	s_cbranch_execz .LBB37_10
; %bb.9:                                ;   in Loop: Header=BB37_4 Depth=1
	v_lshl_add_u64 v[30:31], v[12:13], 0, s[18:19]
	global_load_ubyte v26, v[30:31], off
.LBB37_10:                              ;   in Loop: Header=BB37_4 Depth=1
	s_or_b64 exec, exec, s[6:7]
	v_lshl_add_u64 v[30:31], v[10:11], 0, s[18:19]
	v_cmp_gt_u64_e64 s[6:7], s[16:17], v[30:31]
	v_mov_b32_e32 v29, 0
	s_and_saveexec_b64 s[20:21], s[6:7]
	s_cbranch_execnz .LBB37_15
; %bb.11:                               ;   in Loop: Header=BB37_4 Depth=1
	s_or_b64 exec, exec, s[20:21]
	s_and_saveexec_b64 s[20:21], vcc
	s_cbranch_execnz .LBB37_16
.LBB37_12:                              ;   in Loop: Header=BB37_4 Depth=1
	s_or_b64 exec, exec, s[20:21]
	s_and_saveexec_b64 s[20:21], s[2:3]
	s_cbranch_execnz .LBB37_17
.LBB37_13:                              ;   in Loop: Header=BB37_4 Depth=1
	s_or_b64 exec, exec, s[20:21]
	s_and_saveexec_b64 s[2:3], s[4:5]
	s_cbranch_execnz .LBB37_18
.LBB37_14:                              ;   in Loop: Header=BB37_4 Depth=1
	s_or_b64 exec, exec, s[2:3]
	s_and_saveexec_b64 s[2:3], s[6:7]
	s_cbranch_execz .LBB37_3
	s_branch .LBB37_19
.LBB37_15:                              ;   in Loop: Header=BB37_4 Depth=1
	v_lshl_add_u64 v[30:31], v[6:7], 0, s[18:19]
	global_load_ubyte v29, v[30:31], off
	s_or_b64 exec, exec, s[20:21]
	s_and_saveexec_b64 s[20:21], vcc
	s_cbranch_execz .LBB37_12
.LBB37_16:                              ;   in Loop: Header=BB37_4 Depth=1
	s_waitcnt vmcnt(0)
	v_mul_lo_u16_e32 v27, s24, v27
	v_lshl_add_u64 v[30:31], v[4:5], 0, s[18:19]
	global_store_byte v[30:31], v27, off
	s_or_b64 exec, exec, s[20:21]
	s_and_saveexec_b64 s[20:21], s[2:3]
	s_cbranch_execz .LBB37_13
.LBB37_17:                              ;   in Loop: Header=BB37_4 Depth=1
	s_waitcnt vmcnt(0)
	v_mul_lo_u16_e32 v27, s24, v28
	v_lshl_add_u64 v[30:31], v[20:21], 0, s[18:19]
	global_store_byte v[30:31], v27, off
	s_or_b64 exec, exec, s[20:21]
	s_and_saveexec_b64 s[2:3], s[4:5]
	s_cbranch_execz .LBB37_14
.LBB37_18:                              ;   in Loop: Header=BB37_4 Depth=1
	s_waitcnt vmcnt(0)
	v_mul_lo_u16_e32 v28, s24, v26
	v_lshl_add_u64 v[26:27], v[14:15], 0, s[18:19]
	global_store_byte v[26:27], v28, off
	s_or_b64 exec, exec, s[2:3]
	s_and_saveexec_b64 s[2:3], s[6:7]
	s_cbranch_execz .LBB37_3
.LBB37_19:                              ;   in Loop: Header=BB37_4 Depth=1
	s_waitcnt vmcnt(0)
	v_mul_lo_u16_e32 v28, s24, v29
	v_lshl_add_u64 v[26:27], v[8:9], 0, s[18:19]
	global_store_byte v[26:27], v28, off
	s_branch .LBB37_3
.LBB37_20:
	s_mov_b64 s[2:3], 0
.LBB37_21:
	s_andn2_b64 vcc, exec, s[2:3]
	s_cbranch_vccnz .LBB37_25
; %bb.22:
	v_mov_b64_e32 v[4:5], 0x10000
	v_cmp_lt_i64_e32 vcc, s[14:15], v[4:5]
	s_and_b64 s[4:5], vcc, exec
	v_mov_b32_e32 v3, 0
	s_cselect_b32 s5, s15, 0
	s_cselect_b32 s4, s14, 0x10000
	v_lshlrev_b32_e32 v2, 2, v0
	s_mov_b32 s3, 0
	v_cmp_gt_i64_e32 vcc, s[4:5], v[2:3]
	s_and_saveexec_b64 s[6:7], vcc
	s_cbranch_execz .LBB37_25
; %bb.23:
	s_load_dword s0, s[0:1], 0xc5c
	v_mov_b32_e32 v1, v3
	v_lshl_add_u64 v[2:3], s[12:13], 0, v[2:3]
	s_mov_b32 s1, s3
	s_mov_b64 s[6:7], 0
	s_waitcnt lgkmcnt(0)
	s_and_b32 s2, s0, 0xffff
	s_lshl_b32 s0, s2, 2
	s_lshr_b32 s12, s22, 16
	s_movk_i32 s13, 0xff
.LBB37_24:                              ; =>This Inner Loop Header: Depth=1
	v_lshl_add_u64 v[4:5], s[8:9], 0, v[2:3]
	global_load_dword v8, v[4:5], off
	v_lshl_add_u64 v[0:1], v[0:1], 0, s[2:3]
	v_lshlrev_b64 v[6:7], 2, v[0:1]
	v_cmp_le_i64_e32 vcc, s[4:5], v[6:7]
	v_lshl_add_u64 v[4:5], s[10:11], 0, v[2:3]
	v_lshl_add_u64 v[2:3], v[2:3], 0, s[0:1]
	s_or_b64 s[6:7], vcc, s[6:7]
	s_waitcnt vmcnt(0)
	v_mul_lo_u16_e32 v6, s12, v8
	v_lshrrev_b32_e32 v7, 8, v8
	v_mul_lo_u16_sdwa v9, s12, v8 dst_sel:DWORD dst_unused:UNUSED_PAD src0_sel:DWORD src1_sel:WORD_1
	v_mul_lo_u16_sdwa v8, s12, v8 dst_sel:BYTE_1 dst_unused:UNUSED_PAD src0_sel:DWORD src1_sel:BYTE_3
	v_mul_lo_u16_sdwa v7, s12, v7 dst_sel:BYTE_1 dst_unused:UNUSED_PAD src0_sel:DWORD src1_sel:DWORD
	v_bitop3_b16 v8, v9, v8, s13 bitop3:0xec
	v_bitop3_b16 v6, v6, v7, s13 bitop3:0xec
	v_lshlrev_b32_e32 v7, 16, v8
	v_or_b32_sdwa v6, v6, v7 dst_sel:DWORD dst_unused:UNUSED_PAD src0_sel:WORD_0 src1_sel:DWORD
	global_store_dword v[4:5], v6, off
	s_andn2_b64 exec, exec, s[6:7]
	s_cbranch_execnz .LBB37_24
.LBB37_25:
	s_endpgm
	.section	.rodata,"a",@progbits
	.p2align	6, 0x0
	.amdhsa_kernel _ZN2at6native12_GLOBAL__N_125multi_tensor_apply_kernelINS1_18TensorListMetadataILi2EEENS1_21BinaryOpScalarFunctorIaLi2ELi1ELi1EEEJSt10multipliesIaEaEEEvT_T0_DpT1_
		.amdhsa_group_segment_fixed_size 0
		.amdhsa_private_segment_fixed_size 0
		.amdhsa_kernarg_size 3408
		.amdhsa_user_sgpr_count 2
		.amdhsa_user_sgpr_dispatch_ptr 0
		.amdhsa_user_sgpr_queue_ptr 0
		.amdhsa_user_sgpr_kernarg_segment_ptr 1
		.amdhsa_user_sgpr_dispatch_id 0
		.amdhsa_user_sgpr_kernarg_preload_length 0
		.amdhsa_user_sgpr_kernarg_preload_offset 0
		.amdhsa_user_sgpr_private_segment_size 0
		.amdhsa_uses_dynamic_stack 0
		.amdhsa_enable_private_segment 0
		.amdhsa_system_sgpr_workgroup_id_x 1
		.amdhsa_system_sgpr_workgroup_id_y 0
		.amdhsa_system_sgpr_workgroup_id_z 0
		.amdhsa_system_sgpr_workgroup_info 0
		.amdhsa_system_vgpr_workitem_id 0
		.amdhsa_next_free_vgpr 32
		.amdhsa_next_free_sgpr 25
		.amdhsa_accum_offset 32
		.amdhsa_reserve_vcc 1
		.amdhsa_float_round_mode_32 0
		.amdhsa_float_round_mode_16_64 0
		.amdhsa_float_denorm_mode_32 3
		.amdhsa_float_denorm_mode_16_64 3
		.amdhsa_dx10_clamp 1
		.amdhsa_ieee_mode 1
		.amdhsa_fp16_overflow 0
		.amdhsa_tg_split 0
		.amdhsa_exception_fp_ieee_invalid_op 0
		.amdhsa_exception_fp_denorm_src 0
		.amdhsa_exception_fp_ieee_div_zero 0
		.amdhsa_exception_fp_ieee_overflow 0
		.amdhsa_exception_fp_ieee_underflow 0
		.amdhsa_exception_fp_ieee_inexact 0
		.amdhsa_exception_int_div_zero 0
	.end_amdhsa_kernel
	.section	.text._ZN2at6native12_GLOBAL__N_125multi_tensor_apply_kernelINS1_18TensorListMetadataILi2EEENS1_21BinaryOpScalarFunctorIaLi2ELi1ELi1EEEJSt10multipliesIaEaEEEvT_T0_DpT1_,"axG",@progbits,_ZN2at6native12_GLOBAL__N_125multi_tensor_apply_kernelINS1_18TensorListMetadataILi2EEENS1_21BinaryOpScalarFunctorIaLi2ELi1ELi1EEEJSt10multipliesIaEaEEEvT_T0_DpT1_,comdat
.Lfunc_end37:
	.size	_ZN2at6native12_GLOBAL__N_125multi_tensor_apply_kernelINS1_18TensorListMetadataILi2EEENS1_21BinaryOpScalarFunctorIaLi2ELi1ELi1EEEJSt10multipliesIaEaEEEvT_T0_DpT1_, .Lfunc_end37-_ZN2at6native12_GLOBAL__N_125multi_tensor_apply_kernelINS1_18TensorListMetadataILi2EEENS1_21BinaryOpScalarFunctorIaLi2ELi1ELi1EEEJSt10multipliesIaEaEEEvT_T0_DpT1_
                                        ; -- End function
	.set _ZN2at6native12_GLOBAL__N_125multi_tensor_apply_kernelINS1_18TensorListMetadataILi2EEENS1_21BinaryOpScalarFunctorIaLi2ELi1ELi1EEEJSt10multipliesIaEaEEEvT_T0_DpT1_.num_vgpr, 32
	.set _ZN2at6native12_GLOBAL__N_125multi_tensor_apply_kernelINS1_18TensorListMetadataILi2EEENS1_21BinaryOpScalarFunctorIaLi2ELi1ELi1EEEJSt10multipliesIaEaEEEvT_T0_DpT1_.num_agpr, 0
	.set _ZN2at6native12_GLOBAL__N_125multi_tensor_apply_kernelINS1_18TensorListMetadataILi2EEENS1_21BinaryOpScalarFunctorIaLi2ELi1ELi1EEEJSt10multipliesIaEaEEEvT_T0_DpT1_.numbered_sgpr, 25
	.set _ZN2at6native12_GLOBAL__N_125multi_tensor_apply_kernelINS1_18TensorListMetadataILi2EEENS1_21BinaryOpScalarFunctorIaLi2ELi1ELi1EEEJSt10multipliesIaEaEEEvT_T0_DpT1_.num_named_barrier, 0
	.set _ZN2at6native12_GLOBAL__N_125multi_tensor_apply_kernelINS1_18TensorListMetadataILi2EEENS1_21BinaryOpScalarFunctorIaLi2ELi1ELi1EEEJSt10multipliesIaEaEEEvT_T0_DpT1_.private_seg_size, 0
	.set _ZN2at6native12_GLOBAL__N_125multi_tensor_apply_kernelINS1_18TensorListMetadataILi2EEENS1_21BinaryOpScalarFunctorIaLi2ELi1ELi1EEEJSt10multipliesIaEaEEEvT_T0_DpT1_.uses_vcc, 1
	.set _ZN2at6native12_GLOBAL__N_125multi_tensor_apply_kernelINS1_18TensorListMetadataILi2EEENS1_21BinaryOpScalarFunctorIaLi2ELi1ELi1EEEJSt10multipliesIaEaEEEvT_T0_DpT1_.uses_flat_scratch, 0
	.set _ZN2at6native12_GLOBAL__N_125multi_tensor_apply_kernelINS1_18TensorListMetadataILi2EEENS1_21BinaryOpScalarFunctorIaLi2ELi1ELi1EEEJSt10multipliesIaEaEEEvT_T0_DpT1_.has_dyn_sized_stack, 0
	.set _ZN2at6native12_GLOBAL__N_125multi_tensor_apply_kernelINS1_18TensorListMetadataILi2EEENS1_21BinaryOpScalarFunctorIaLi2ELi1ELi1EEEJSt10multipliesIaEaEEEvT_T0_DpT1_.has_recursion, 0
	.set _ZN2at6native12_GLOBAL__N_125multi_tensor_apply_kernelINS1_18TensorListMetadataILi2EEENS1_21BinaryOpScalarFunctorIaLi2ELi1ELi1EEEJSt10multipliesIaEaEEEvT_T0_DpT1_.has_indirect_call, 0
	.section	.AMDGPU.csdata,"",@progbits
; Kernel info:
; codeLenInByte = 1068
; TotalNumSgprs: 31
; NumVgprs: 32
; NumAgprs: 0
; TotalNumVgprs: 32
; ScratchSize: 0
; MemoryBound: 0
; FloatMode: 240
; IeeeMode: 1
; LDSByteSize: 0 bytes/workgroup (compile time only)
; SGPRBlocks: 3
; VGPRBlocks: 3
; NumSGPRsForWavesPerEU: 31
; NumVGPRsForWavesPerEU: 32
; AccumOffset: 32
; Occupancy: 8
; WaveLimiterHint : 0
; COMPUTE_PGM_RSRC2:SCRATCH_EN: 0
; COMPUTE_PGM_RSRC2:USER_SGPR: 2
; COMPUTE_PGM_RSRC2:TRAP_HANDLER: 0
; COMPUTE_PGM_RSRC2:TGID_X_EN: 1
; COMPUTE_PGM_RSRC2:TGID_Y_EN: 0
; COMPUTE_PGM_RSRC2:TGID_Z_EN: 0
; COMPUTE_PGM_RSRC2:TIDIG_COMP_CNT: 0
; COMPUTE_PGM_RSRC3_GFX90A:ACCUM_OFFSET: 7
; COMPUTE_PGM_RSRC3_GFX90A:TG_SPLIT: 0
	.section	.text._ZN2at6native12_GLOBAL__N_125multi_tensor_apply_kernelINS1_18TensorListMetadataILi2EEENS1_21BinaryOpScalarFunctorIiLi2ELi1ELi1EEEJSt10multipliesIiEiEEEvT_T0_DpT1_,"axG",@progbits,_ZN2at6native12_GLOBAL__N_125multi_tensor_apply_kernelINS1_18TensorListMetadataILi2EEENS1_21BinaryOpScalarFunctorIiLi2ELi1ELi1EEEJSt10multipliesIiEiEEEvT_T0_DpT1_,comdat
	.globl	_ZN2at6native12_GLOBAL__N_125multi_tensor_apply_kernelINS1_18TensorListMetadataILi2EEENS1_21BinaryOpScalarFunctorIiLi2ELi1ELi1EEEJSt10multipliesIiEiEEEvT_T0_DpT1_ ; -- Begin function _ZN2at6native12_GLOBAL__N_125multi_tensor_apply_kernelINS1_18TensorListMetadataILi2EEENS1_21BinaryOpScalarFunctorIiLi2ELi1ELi1EEEJSt10multipliesIiEiEEEvT_T0_DpT1_
	.p2align	8
	.type	_ZN2at6native12_GLOBAL__N_125multi_tensor_apply_kernelINS1_18TensorListMetadataILi2EEENS1_21BinaryOpScalarFunctorIiLi2ELi1ELi1EEEJSt10multipliesIiEiEEEvT_T0_DpT1_,@function
_ZN2at6native12_GLOBAL__N_125multi_tensor_apply_kernelINS1_18TensorListMetadataILi2EEENS1_21BinaryOpScalarFunctorIiLi2ELi1ELi1EEEJSt10multipliesIiEiEEEvT_T0_DpT1_: ; @_ZN2at6native12_GLOBAL__N_125multi_tensor_apply_kernelINS1_18TensorListMetadataILi2EEENS1_21BinaryOpScalarFunctorIiLi2ELi1ELi1EEEJSt10multipliesIiEiEEEvT_T0_DpT1_
; %bb.0:
	v_mov_b32_e32 v1, s2
	global_load_ubyte v1, v1, s[0:1] offset:1536
	s_add_u32 s4, s0, s2
	s_mul_hi_u32 s7, s2, 3
	s_mul_i32 s2, s2, 3
	s_addc_u32 s8, s1, 0
	s_add_u32 s6, s4, s2
	s_addc_u32 s7, s8, s7
	s_load_dword s6, s[6:7], 0x740
	s_mov_b32 s3, 0
	s_mov_b32 s5, s3
	s_waitcnt lgkmcnt(0)
	s_ashr_i32 s7, s6, 31
	s_lshl_b64 s[12:13], s[6:7], 18
	s_lshl_b64 s[6:7], s[6:7], 16
	s_waitcnt vmcnt(0)
	v_readfirstlane_b32 s2, v1
	s_lshl_b32 s2, s2, 3
	s_load_dword s24, s[0:1], 0xc4c
	s_load_dwordx2 s[16:17], s[0:1], s2 offset:0x400
	s_load_dwordx2 s[10:11], s[0:1], s2 offset:0x0
	;; [unrolled: 1-line block ×3, first 2 shown]
	s_waitcnt lgkmcnt(0)
	s_add_u32 s2, s10, s12
	s_and_b32 s4, s8, 15
	s_and_b32 s2, s2, 15
	s_sub_u32 s14, s16, s6
	s_subb_u32 s15, s17, s7
	s_and_b32 s6, s16, 3
	s_mov_b32 s7, s3
	s_or_b64 s[4:5], s[4:5], s[6:7]
	s_or_b64 s[2:3], s[4:5], s[2:3]
	s_cmp_eq_u64 s[2:3], 0
	s_mov_b64 s[2:3], -1
	s_cbranch_scc1 .LBB38_21
; %bb.1:
	v_cmp_lt_i64_e64 s[2:3], s[14:15], 1
	s_and_b64 vcc, exec, s[2:3]
	s_cbranch_vccnz .LBB38_20
; %bb.2:
	s_load_dword s2, s[0:1], 0xc5c
	v_mov_b64_e32 v[2:3], 0x10000
	v_cmp_lt_i64_e32 vcc, s[14:15], v[2:3]
	s_and_b64 s[4:5], vcc, exec
	s_mov_b32 s3, 0
	s_cselect_b32 s5, s15, 0
	s_cselect_b32 s4, s14, 0x10000
	s_waitcnt lgkmcnt(0)
	s_and_b32 s2, s2, 0xffff
	v_cmp_lt_u64_e32 vcc, s[14:15], v[2:3]
	v_mov_b32_e32 v1, 0
	s_and_b64 s[6:7], vcc, exec
	s_mul_i32 s20, s2, 3
	s_mov_b32 s21, s3
	s_cselect_b32 s17, s15, 0
	s_cselect_b32 s16, s14, 0x10000
	v_lshlrev_b32_e32 v12, 2, v0
	v_mov_b32_e32 v13, v1
	v_lshl_add_u64 v[10:11], s[20:21], 0, v[0:1]
	s_lshl_b32 s20, s2, 3
	v_lshl_add_u64 v[18:19], v[0:1], 0, s[2:3]
	s_lshl_b32 s6, s2, 1
	s_mov_b32 s7, s3
	v_mad_u64_u32 v[8:9], s[22:23], s2, 12, v[12:13]
	v_lshl_add_u64 v[14:15], s[20:21], 0, v[12:13]
	v_lshlrev_b32_e32 v22, 2, v18
	v_mov_b32_e32 v23, v1
	s_lshl_b32 s25, s2, 2
	v_lshl_add_u64 v[2:3], s[10:11], 0, v[12:13]
	s_lshl_b32 s18, s2, 4
	s_mov_b32 s19, s3
	v_lshl_add_u64 v[4:5], s[8:9], 0, v[12:13]
	v_lshl_add_u64 v[6:7], s[10:11], 0, v[8:9]
	;; [unrolled: 1-line block ×8, first 2 shown]
	s_mov_b64 s[20:21], 0
	v_mov_b64_e32 v[24:25], s[4:5]
	s_branch .LBB38_4
.LBB38_3:                               ;   in Loop: Header=BB38_4 Depth=1
	s_or_b64 exec, exec, s[2:3]
	s_add_u32 s20, s20, s25
	s_addc_u32 s21, s21, 0
	v_cmp_lt_i64_e32 vcc, s[20:21], v[24:25]
	v_lshl_add_u64 v[2:3], v[2:3], 0, s[18:19]
	v_lshl_add_u64 v[4:5], v[4:5], 0, s[18:19]
	;; [unrolled: 1-line block ×8, first 2 shown]
	s_cbranch_vccz .LBB38_20
.LBB38_4:                               ; =>This Inner Loop Header: Depth=1
	s_waitcnt vmcnt(0)
	v_lshl_add_u64 v[26:27], v[0:1], 0, s[20:21]
	v_cmp_gt_u64_e32 vcc, s[16:17], v[26:27]
	v_mov_b32_e32 v27, 0
	s_and_saveexec_b64 s[2:3], vcc
	s_cbranch_execz .LBB38_6
; %bb.5:                                ;   in Loop: Header=BB38_4 Depth=1
	v_lshl_add_u64 v[26:27], v[2:3], 0, s[12:13]
	global_load_dword v27, v[26:27], off
.LBB38_6:                               ;   in Loop: Header=BB38_4 Depth=1
	s_or_b64 exec, exec, s[2:3]
	v_lshl_add_u64 v[28:29], v[18:19], 0, s[20:21]
	v_cmp_gt_u64_e64 s[2:3], s[16:17], v[28:29]
	v_mov_b32_e32 v26, 0
	v_mov_b32_e32 v28, 0
	s_and_saveexec_b64 s[4:5], s[2:3]
	s_cbranch_execz .LBB38_8
; %bb.7:                                ;   in Loop: Header=BB38_4 Depth=1
	v_lshl_add_u64 v[28:29], v[20:21], 0, s[12:13]
	global_load_dword v28, v[28:29], off
.LBB38_8:                               ;   in Loop: Header=BB38_4 Depth=1
	s_or_b64 exec, exec, s[4:5]
	v_lshl_add_u64 v[30:31], v[16:17], 0, s[20:21]
	v_cmp_gt_u64_e64 s[4:5], s[16:17], v[30:31]
	s_and_saveexec_b64 s[6:7], s[4:5]
	s_cbranch_execz .LBB38_10
; %bb.9:                                ;   in Loop: Header=BB38_4 Depth=1
	v_lshl_add_u64 v[30:31], v[12:13], 0, s[12:13]
	global_load_dword v26, v[30:31], off
.LBB38_10:                              ;   in Loop: Header=BB38_4 Depth=1
	s_or_b64 exec, exec, s[6:7]
	v_lshl_add_u64 v[30:31], v[10:11], 0, s[20:21]
	v_cmp_gt_u64_e64 s[6:7], s[16:17], v[30:31]
	v_mov_b32_e32 v29, 0
	s_and_saveexec_b64 s[22:23], s[6:7]
	s_cbranch_execnz .LBB38_15
; %bb.11:                               ;   in Loop: Header=BB38_4 Depth=1
	s_or_b64 exec, exec, s[22:23]
	s_and_saveexec_b64 s[22:23], vcc
	s_cbranch_execnz .LBB38_16
.LBB38_12:                              ;   in Loop: Header=BB38_4 Depth=1
	s_or_b64 exec, exec, s[22:23]
	s_and_saveexec_b64 s[22:23], s[2:3]
	s_cbranch_execnz .LBB38_17
.LBB38_13:                              ;   in Loop: Header=BB38_4 Depth=1
	s_or_b64 exec, exec, s[22:23]
	s_and_saveexec_b64 s[2:3], s[4:5]
	s_cbranch_execnz .LBB38_18
.LBB38_14:                              ;   in Loop: Header=BB38_4 Depth=1
	s_or_b64 exec, exec, s[2:3]
	s_and_saveexec_b64 s[2:3], s[6:7]
	s_cbranch_execz .LBB38_3
	s_branch .LBB38_19
.LBB38_15:                              ;   in Loop: Header=BB38_4 Depth=1
	v_lshl_add_u64 v[30:31], v[6:7], 0, s[12:13]
	global_load_dword v29, v[30:31], off
	s_or_b64 exec, exec, s[22:23]
	s_and_saveexec_b64 s[22:23], vcc
	s_cbranch_execz .LBB38_12
.LBB38_16:                              ;   in Loop: Header=BB38_4 Depth=1
	s_waitcnt vmcnt(0)
	v_mul_lo_u32 v27, v27, s24
	v_lshl_add_u64 v[30:31], v[4:5], 0, s[12:13]
	global_store_dword v[30:31], v27, off
	s_or_b64 exec, exec, s[22:23]
	s_and_saveexec_b64 s[22:23], s[2:3]
	s_cbranch_execz .LBB38_13
.LBB38_17:                              ;   in Loop: Header=BB38_4 Depth=1
	s_waitcnt vmcnt(0)
	v_mul_lo_u32 v27, v28, s24
	v_lshl_add_u64 v[30:31], v[22:23], 0, s[12:13]
	global_store_dword v[30:31], v27, off
	s_or_b64 exec, exec, s[22:23]
	s_and_saveexec_b64 s[2:3], s[4:5]
	s_cbranch_execz .LBB38_14
.LBB38_18:                              ;   in Loop: Header=BB38_4 Depth=1
	s_waitcnt vmcnt(0)
	v_mul_lo_u32 v28, v26, s24
	v_lshl_add_u64 v[26:27], v[14:15], 0, s[12:13]
	global_store_dword v[26:27], v28, off
	s_or_b64 exec, exec, s[2:3]
	s_and_saveexec_b64 s[2:3], s[6:7]
	s_cbranch_execz .LBB38_3
.LBB38_19:                              ;   in Loop: Header=BB38_4 Depth=1
	s_waitcnt vmcnt(0)
	v_mul_lo_u32 v28, v29, s24
	v_lshl_add_u64 v[26:27], v[8:9], 0, s[12:13]
	global_store_dword v[26:27], v28, off
	s_branch .LBB38_3
.LBB38_20:
	s_mov_b64 s[2:3], 0
.LBB38_21:
	s_andn2_b64 vcc, exec, s[2:3]
	s_cbranch_vccnz .LBB38_25
; %bb.22:
	v_mov_b64_e32 v[4:5], 0x10000
	v_cmp_lt_i64_e32 vcc, s[14:15], v[4:5]
	s_and_b64 s[4:5], vcc, exec
	v_mov_b32_e32 v3, 0
	s_cselect_b32 s5, s15, 0
	s_cselect_b32 s4, s14, 0x10000
	v_lshlrev_b32_e32 v2, 2, v0
	s_mov_b32 s3, 0
	v_cmp_gt_i64_e32 vcc, s[4:5], v[2:3]
	s_and_saveexec_b64 s[6:7], vcc
	s_cbranch_execz .LBB38_25
; %bb.23:
	s_load_dword s0, s[0:1], 0xc5c
	v_lshlrev_b32_e32 v2, 4, v0
	v_mov_b32_e32 v1, v3
	s_mov_b32 s14, s24
	v_lshl_add_u64 v[2:3], s[12:13], 0, v[2:3]
	s_waitcnt lgkmcnt(0)
	s_and_b32 s2, s0, 0xffff
	s_lshl_b32 s0, s2, 4
	s_add_u32 s6, s10, 8
	s_mov_b32 s1, s3
	s_addc_u32 s7, s11, 0
	s_mov_b64 s[10:11], 0
.LBB38_24:                              ; =>This Inner Loop Header: Depth=1
	v_lshl_add_u64 v[4:5], s[6:7], 0, v[2:3]
	global_load_dwordx4 v[4:7], v[4:5], off offset:-8
	v_lshl_add_u64 v[0:1], v[0:1], 0, s[2:3]
	v_lshlrev_b64 v[10:11], 2, v[0:1]
	v_cmp_le_i64_e32 vcc, s[4:5], v[10:11]
	v_lshl_add_u64 v[8:9], s[8:9], 0, v[2:3]
	v_lshl_add_u64 v[2:3], v[2:3], 0, s[0:1]
	s_or_b64 s[10:11], vcc, s[10:11]
	s_waitcnt vmcnt(0)
	v_mul_lo_u32 v5, v5, s14
	v_mul_lo_u32 v4, v4, s24
	;; [unrolled: 1-line block ×4, first 2 shown]
	global_store_dwordx4 v[8:9], v[4:7], off
	s_andn2_b64 exec, exec, s[10:11]
	s_cbranch_execnz .LBB38_24
.LBB38_25:
	s_endpgm
	.section	.rodata,"a",@progbits
	.p2align	6, 0x0
	.amdhsa_kernel _ZN2at6native12_GLOBAL__N_125multi_tensor_apply_kernelINS1_18TensorListMetadataILi2EEENS1_21BinaryOpScalarFunctorIiLi2ELi1ELi1EEEJSt10multipliesIiEiEEEvT_T0_DpT1_
		.amdhsa_group_segment_fixed_size 0
		.amdhsa_private_segment_fixed_size 0
		.amdhsa_kernarg_size 3408
		.amdhsa_user_sgpr_count 2
		.amdhsa_user_sgpr_dispatch_ptr 0
		.amdhsa_user_sgpr_queue_ptr 0
		.amdhsa_user_sgpr_kernarg_segment_ptr 1
		.amdhsa_user_sgpr_dispatch_id 0
		.amdhsa_user_sgpr_kernarg_preload_length 0
		.amdhsa_user_sgpr_kernarg_preload_offset 0
		.amdhsa_user_sgpr_private_segment_size 0
		.amdhsa_uses_dynamic_stack 0
		.amdhsa_enable_private_segment 0
		.amdhsa_system_sgpr_workgroup_id_x 1
		.amdhsa_system_sgpr_workgroup_id_y 0
		.amdhsa_system_sgpr_workgroup_id_z 0
		.amdhsa_system_sgpr_workgroup_info 0
		.amdhsa_system_vgpr_workitem_id 0
		.amdhsa_next_free_vgpr 32
		.amdhsa_next_free_sgpr 26
		.amdhsa_accum_offset 32
		.amdhsa_reserve_vcc 1
		.amdhsa_float_round_mode_32 0
		.amdhsa_float_round_mode_16_64 0
		.amdhsa_float_denorm_mode_32 3
		.amdhsa_float_denorm_mode_16_64 3
		.amdhsa_dx10_clamp 1
		.amdhsa_ieee_mode 1
		.amdhsa_fp16_overflow 0
		.amdhsa_tg_split 0
		.amdhsa_exception_fp_ieee_invalid_op 0
		.amdhsa_exception_fp_denorm_src 0
		.amdhsa_exception_fp_ieee_div_zero 0
		.amdhsa_exception_fp_ieee_overflow 0
		.amdhsa_exception_fp_ieee_underflow 0
		.amdhsa_exception_fp_ieee_inexact 0
		.amdhsa_exception_int_div_zero 0
	.end_amdhsa_kernel
	.section	.text._ZN2at6native12_GLOBAL__N_125multi_tensor_apply_kernelINS1_18TensorListMetadataILi2EEENS1_21BinaryOpScalarFunctorIiLi2ELi1ELi1EEEJSt10multipliesIiEiEEEvT_T0_DpT1_,"axG",@progbits,_ZN2at6native12_GLOBAL__N_125multi_tensor_apply_kernelINS1_18TensorListMetadataILi2EEENS1_21BinaryOpScalarFunctorIiLi2ELi1ELi1EEEJSt10multipliesIiEiEEEvT_T0_DpT1_,comdat
.Lfunc_end38:
	.size	_ZN2at6native12_GLOBAL__N_125multi_tensor_apply_kernelINS1_18TensorListMetadataILi2EEENS1_21BinaryOpScalarFunctorIiLi2ELi1ELi1EEEJSt10multipliesIiEiEEEvT_T0_DpT1_, .Lfunc_end38-_ZN2at6native12_GLOBAL__N_125multi_tensor_apply_kernelINS1_18TensorListMetadataILi2EEENS1_21BinaryOpScalarFunctorIiLi2ELi1ELi1EEEJSt10multipliesIiEiEEEvT_T0_DpT1_
                                        ; -- End function
	.set _ZN2at6native12_GLOBAL__N_125multi_tensor_apply_kernelINS1_18TensorListMetadataILi2EEENS1_21BinaryOpScalarFunctorIiLi2ELi1ELi1EEEJSt10multipliesIiEiEEEvT_T0_DpT1_.num_vgpr, 32
	.set _ZN2at6native12_GLOBAL__N_125multi_tensor_apply_kernelINS1_18TensorListMetadataILi2EEENS1_21BinaryOpScalarFunctorIiLi2ELi1ELi1EEEJSt10multipliesIiEiEEEvT_T0_DpT1_.num_agpr, 0
	.set _ZN2at6native12_GLOBAL__N_125multi_tensor_apply_kernelINS1_18TensorListMetadataILi2EEENS1_21BinaryOpScalarFunctorIiLi2ELi1ELi1EEEJSt10multipliesIiEiEEEvT_T0_DpT1_.numbered_sgpr, 26
	.set _ZN2at6native12_GLOBAL__N_125multi_tensor_apply_kernelINS1_18TensorListMetadataILi2EEENS1_21BinaryOpScalarFunctorIiLi2ELi1ELi1EEEJSt10multipliesIiEiEEEvT_T0_DpT1_.num_named_barrier, 0
	.set _ZN2at6native12_GLOBAL__N_125multi_tensor_apply_kernelINS1_18TensorListMetadataILi2EEENS1_21BinaryOpScalarFunctorIiLi2ELi1ELi1EEEJSt10multipliesIiEiEEEvT_T0_DpT1_.private_seg_size, 0
	.set _ZN2at6native12_GLOBAL__N_125multi_tensor_apply_kernelINS1_18TensorListMetadataILi2EEENS1_21BinaryOpScalarFunctorIiLi2ELi1ELi1EEEJSt10multipliesIiEiEEEvT_T0_DpT1_.uses_vcc, 1
	.set _ZN2at6native12_GLOBAL__N_125multi_tensor_apply_kernelINS1_18TensorListMetadataILi2EEENS1_21BinaryOpScalarFunctorIiLi2ELi1ELi1EEEJSt10multipliesIiEiEEEvT_T0_DpT1_.uses_flat_scratch, 0
	.set _ZN2at6native12_GLOBAL__N_125multi_tensor_apply_kernelINS1_18TensorListMetadataILi2EEENS1_21BinaryOpScalarFunctorIiLi2ELi1ELi1EEEJSt10multipliesIiEiEEEvT_T0_DpT1_.has_dyn_sized_stack, 0
	.set _ZN2at6native12_GLOBAL__N_125multi_tensor_apply_kernelINS1_18TensorListMetadataILi2EEENS1_21BinaryOpScalarFunctorIiLi2ELi1ELi1EEEJSt10multipliesIiEiEEEvT_T0_DpT1_.has_recursion, 0
	.set _ZN2at6native12_GLOBAL__N_125multi_tensor_apply_kernelINS1_18TensorListMetadataILi2EEENS1_21BinaryOpScalarFunctorIiLi2ELi1ELi1EEEJSt10multipliesIiEiEEEvT_T0_DpT1_.has_indirect_call, 0
	.section	.AMDGPU.csdata,"",@progbits
; Kernel info:
; codeLenInByte = 1144
; TotalNumSgprs: 32
; NumVgprs: 32
; NumAgprs: 0
; TotalNumVgprs: 32
; ScratchSize: 0
; MemoryBound: 0
; FloatMode: 240
; IeeeMode: 1
; LDSByteSize: 0 bytes/workgroup (compile time only)
; SGPRBlocks: 3
; VGPRBlocks: 3
; NumSGPRsForWavesPerEU: 32
; NumVGPRsForWavesPerEU: 32
; AccumOffset: 32
; Occupancy: 8
; WaveLimiterHint : 0
; COMPUTE_PGM_RSRC2:SCRATCH_EN: 0
; COMPUTE_PGM_RSRC2:USER_SGPR: 2
; COMPUTE_PGM_RSRC2:TRAP_HANDLER: 0
; COMPUTE_PGM_RSRC2:TGID_X_EN: 1
; COMPUTE_PGM_RSRC2:TGID_Y_EN: 0
; COMPUTE_PGM_RSRC2:TGID_Z_EN: 0
; COMPUTE_PGM_RSRC2:TIDIG_COMP_CNT: 0
; COMPUTE_PGM_RSRC3_GFX90A:ACCUM_OFFSET: 7
; COMPUTE_PGM_RSRC3_GFX90A:TG_SPLIT: 0
	.section	.text._ZN2at6native12_GLOBAL__N_125multi_tensor_apply_kernelINS1_18TensorListMetadataILi2EEENS1_21BinaryOpScalarFunctorIlLi2ELi1ELi1EEEJSt10multipliesIlElEEEvT_T0_DpT1_,"axG",@progbits,_ZN2at6native12_GLOBAL__N_125multi_tensor_apply_kernelINS1_18TensorListMetadataILi2EEENS1_21BinaryOpScalarFunctorIlLi2ELi1ELi1EEEJSt10multipliesIlElEEEvT_T0_DpT1_,comdat
	.globl	_ZN2at6native12_GLOBAL__N_125multi_tensor_apply_kernelINS1_18TensorListMetadataILi2EEENS1_21BinaryOpScalarFunctorIlLi2ELi1ELi1EEEJSt10multipliesIlElEEEvT_T0_DpT1_ ; -- Begin function _ZN2at6native12_GLOBAL__N_125multi_tensor_apply_kernelINS1_18TensorListMetadataILi2EEENS1_21BinaryOpScalarFunctorIlLi2ELi1ELi1EEEJSt10multipliesIlElEEEvT_T0_DpT1_
	.p2align	8
	.type	_ZN2at6native12_GLOBAL__N_125multi_tensor_apply_kernelINS1_18TensorListMetadataILi2EEENS1_21BinaryOpScalarFunctorIlLi2ELi1ELi1EEEJSt10multipliesIlElEEEvT_T0_DpT1_,@function
_ZN2at6native12_GLOBAL__N_125multi_tensor_apply_kernelINS1_18TensorListMetadataILi2EEENS1_21BinaryOpScalarFunctorIlLi2ELi1ELi1EEEJSt10multipliesIlElEEEvT_T0_DpT1_: ; @_ZN2at6native12_GLOBAL__N_125multi_tensor_apply_kernelINS1_18TensorListMetadataILi2EEENS1_21BinaryOpScalarFunctorIlLi2ELi1ELi1EEEJSt10multipliesIlElEEEvT_T0_DpT1_
; %bb.0:
	v_mov_b32_e32 v1, s2
	global_load_ubyte v1, v1, s[0:1] offset:1536
	s_add_u32 s4, s0, s2
	s_mul_hi_u32 s7, s2, 3
	s_mul_i32 s2, s2, 3
	s_addc_u32 s8, s1, 0
	s_add_u32 s6, s4, s2
	s_addc_u32 s7, s8, s7
	s_load_dword s6, s[6:7], 0x740
	s_mov_b32 s3, 0
	s_mov_b32 s5, s3
	s_waitcnt lgkmcnt(0)
	s_ashr_i32 s7, s6, 31
	s_lshl_b64 s[14:15], s[6:7], 19
	s_lshl_b64 s[6:7], s[6:7], 16
	s_waitcnt vmcnt(0)
	v_readfirstlane_b32 s2, v1
	s_lshl_b32 s2, s2, 3
	s_load_dwordx2 s[8:9], s[0:1], 0xc50
	s_load_dwordx2 s[18:19], s[0:1], s2 offset:0x400
	s_load_dwordx2 s[10:11], s[0:1], s2 offset:0x0
	s_load_dwordx2 s[12:13], s[0:1], s2 offset:0x200
	s_waitcnt lgkmcnt(0)
	s_add_u32 s2, s10, s14
	s_and_b32 s4, s12, 31
	s_and_b32 s2, s2, 31
	s_sub_u32 s16, s18, s6
	s_subb_u32 s17, s19, s7
	s_and_b32 s6, s18, 3
	s_mov_b32 s7, s3
	s_or_b64 s[4:5], s[4:5], s[6:7]
	s_or_b64 s[2:3], s[4:5], s[2:3]
	s_cmp_eq_u64 s[2:3], 0
	s_mov_b64 s[2:3], -1
	s_cbranch_scc1 .LBB39_21
; %bb.1:
	v_cmp_lt_i64_e64 s[2:3], s[16:17], 1
	s_and_b64 vcc, exec, s[2:3]
	s_cbranch_vccnz .LBB39_20
; %bb.2:
	s_load_dword s2, s[0:1], 0xc64
	v_mov_b64_e32 v[2:3], 0x10000
	v_cmp_lt_i64_e32 vcc, s[16:17], v[2:3]
	s_and_b64 s[4:5], vcc, exec
	s_mov_b32 s3, 0
	s_cselect_b32 s19, s17, 0
	s_cselect_b32 s18, s16, 0x10000
	s_waitcnt lgkmcnt(0)
	s_and_b32 s2, s2, 0xffff
	v_cmp_lt_u64_e32 vcc, s[16:17], v[2:3]
	v_mov_b32_e32 v1, 0
	s_and_b64 s[4:5], vcc, exec
	s_mul_i32 s6, s2, 3
	s_mov_b32 s7, s3
	s_cselect_b32 s21, s17, 0
	s_cselect_b32 s20, s16, 0x10000
	v_lshlrev_b32_e32 v12, 3, v0
	v_mov_b32_e32 v13, v1
	v_lshl_add_u64 v[10:11], s[6:7], 0, v[0:1]
	s_lshl_b32 s6, s2, 4
	v_lshl_add_u64 v[18:19], v[0:1], 0, s[2:3]
	s_lshl_b32 s4, s2, 1
	s_mov_b32 s5, s3
	v_mad_u64_u32 v[8:9], s[24:25], s2, 24, v[12:13]
	v_lshl_add_u64 v[14:15], s[6:7], 0, v[12:13]
	v_lshlrev_b32_e32 v22, 3, v18
	v_mov_b32_e32 v23, v1
	s_lshl_b32 s28, s2, 2
	v_lshl_add_u64 v[2:3], s[10:11], 0, v[12:13]
	s_lshl_b32 s22, s2, 5
	s_mov_b32 s23, s3
	v_lshl_add_u64 v[4:5], s[12:13], 0, v[12:13]
	v_lshl_add_u64 v[6:7], s[10:11], 0, v[8:9]
	;; [unrolled: 1-line block ×8, first 2 shown]
	s_mov_b64 s[24:25], 0
	s_branch .LBB39_4
.LBB39_3:                               ;   in Loop: Header=BB39_4 Depth=1
	s_or_b64 exec, exec, s[4:5]
	s_add_u32 s24, s24, s28
	s_addc_u32 s25, s25, 0
	s_waitcnt vmcnt(0)
	v_mov_b64_e32 v[24:25], s[18:19]
	v_cmp_lt_i64_e32 vcc, s[24:25], v[24:25]
	v_lshl_add_u64 v[2:3], v[2:3], 0, s[22:23]
	v_lshl_add_u64 v[4:5], v[4:5], 0, s[22:23]
	;; [unrolled: 1-line block ×8, first 2 shown]
	s_cbranch_vccz .LBB39_20
.LBB39_4:                               ; =>This Inner Loop Header: Depth=1
	v_lshl_add_u64 v[24:25], v[0:1], 0, s[24:25]
	v_cmp_gt_u64_e64 s[4:5], s[20:21], v[24:25]
	v_mov_b64_e32 v[26:27], 0
	v_mov_b64_e32 v[28:29], 0
	s_and_saveexec_b64 s[2:3], s[4:5]
	s_cbranch_execz .LBB39_6
; %bb.5:                                ;   in Loop: Header=BB39_4 Depth=1
	v_lshl_add_u64 v[24:25], v[2:3], 0, s[14:15]
	global_load_dwordx2 v[28:29], v[24:25], off
.LBB39_6:                               ;   in Loop: Header=BB39_4 Depth=1
	s_or_b64 exec, exec, s[2:3]
	v_lshl_add_u64 v[24:25], v[18:19], 0, s[24:25]
	v_cmp_gt_u64_e64 s[6:7], s[20:21], v[24:25]
	s_and_saveexec_b64 s[2:3], s[6:7]
	s_cbranch_execz .LBB39_8
; %bb.7:                                ;   in Loop: Header=BB39_4 Depth=1
	v_lshl_add_u64 v[24:25], v[20:21], 0, s[14:15]
	global_load_dwordx2 v[26:27], v[24:25], off
.LBB39_8:                               ;   in Loop: Header=BB39_4 Depth=1
	s_or_b64 exec, exec, s[2:3]
	v_lshl_add_u64 v[24:25], v[16:17], 0, s[24:25]
	v_cmp_gt_u64_e32 vcc, s[20:21], v[24:25]
	v_mov_b64_e32 v[24:25], 0
	v_mov_b64_e32 v[30:31], 0
	s_and_saveexec_b64 s[2:3], vcc
	s_cbranch_execz .LBB39_10
; %bb.9:                                ;   in Loop: Header=BB39_4 Depth=1
	v_lshl_add_u64 v[30:31], v[12:13], 0, s[14:15]
	global_load_dwordx2 v[30:31], v[30:31], off
.LBB39_10:                              ;   in Loop: Header=BB39_4 Depth=1
	s_or_b64 exec, exec, s[2:3]
	v_lshl_add_u64 v[32:33], v[10:11], 0, s[24:25]
	v_cmp_gt_u64_e64 s[2:3], s[20:21], v[32:33]
	s_and_saveexec_b64 s[26:27], s[2:3]
	s_cbranch_execnz .LBB39_15
; %bb.11:                               ;   in Loop: Header=BB39_4 Depth=1
	s_or_b64 exec, exec, s[26:27]
	s_and_saveexec_b64 s[26:27], s[4:5]
	s_cbranch_execnz .LBB39_16
.LBB39_12:                              ;   in Loop: Header=BB39_4 Depth=1
	s_or_b64 exec, exec, s[26:27]
	s_and_saveexec_b64 s[4:5], s[6:7]
	s_cbranch_execnz .LBB39_17
.LBB39_13:                              ;   in Loop: Header=BB39_4 Depth=1
	s_or_b64 exec, exec, s[4:5]
	s_and_saveexec_b64 s[4:5], vcc
	s_cbranch_execnz .LBB39_18
.LBB39_14:                              ;   in Loop: Header=BB39_4 Depth=1
	s_or_b64 exec, exec, s[4:5]
	s_and_saveexec_b64 s[4:5], s[2:3]
	s_cbranch_execz .LBB39_3
	s_branch .LBB39_19
.LBB39_15:                              ;   in Loop: Header=BB39_4 Depth=1
	v_lshl_add_u64 v[24:25], v[6:7], 0, s[14:15]
	global_load_dwordx2 v[24:25], v[24:25], off
	s_or_b64 exec, exec, s[26:27]
	s_and_saveexec_b64 s[26:27], s[4:5]
	s_cbranch_execz .LBB39_12
.LBB39_16:                              ;   in Loop: Header=BB39_4 Depth=1
	s_waitcnt vmcnt(0)
	v_mul_lo_u32 v34, v29, s8
	v_mul_lo_u32 v35, v28, s9
	v_mad_u64_u32 v[28:29], s[4:5], v28, s8, 0
	v_lshl_add_u64 v[32:33], v[4:5], 0, s[14:15]
	v_add3_u32 v29, v29, v35, v34
	global_store_dwordx2 v[32:33], v[28:29], off
	s_or_b64 exec, exec, s[26:27]
	s_and_saveexec_b64 s[4:5], s[6:7]
	s_cbranch_execz .LBB39_13
.LBB39_17:                              ;   in Loop: Header=BB39_4 Depth=1
	s_waitcnt vmcnt(0)
	v_mul_lo_u32 v28, v27, s8
	v_mul_lo_u32 v29, v26, s9
	v_mad_u64_u32 v[26:27], s[6:7], v26, s8, 0
	v_add3_u32 v27, v27, v29, v28
	v_lshl_add_u64 v[28:29], v[22:23], 0, s[14:15]
	global_store_dwordx2 v[28:29], v[26:27], off
	s_or_b64 exec, exec, s[4:5]
	s_and_saveexec_b64 s[4:5], vcc
	s_cbranch_execz .LBB39_14
.LBB39_18:                              ;   in Loop: Header=BB39_4 Depth=1
	s_waitcnt vmcnt(0)
	v_mul_lo_u32 v28, v31, s8
	v_mul_lo_u32 v29, v30, s9
	v_mad_u64_u32 v[26:27], s[6:7], v30, s8, 0
	v_add3_u32 v27, v27, v29, v28
	v_lshl_add_u64 v[28:29], v[14:15], 0, s[14:15]
	global_store_dwordx2 v[28:29], v[26:27], off
	s_or_b64 exec, exec, s[4:5]
	s_and_saveexec_b64 s[4:5], s[2:3]
	s_cbranch_execz .LBB39_3
.LBB39_19:                              ;   in Loop: Header=BB39_4 Depth=1
	s_waitcnt vmcnt(0)
	v_mul_lo_u32 v26, v25, s8
	v_mul_lo_u32 v27, v24, s9
	v_mad_u64_u32 v[24:25], s[2:3], v24, s8, 0
	v_add3_u32 v25, v25, v27, v26
	v_lshl_add_u64 v[26:27], v[8:9], 0, s[14:15]
	global_store_dwordx2 v[26:27], v[24:25], off
	s_branch .LBB39_3
.LBB39_20:
	s_mov_b64 s[2:3], 0
.LBB39_21:
	s_andn2_b64 vcc, exec, s[2:3]
	s_cbranch_vccnz .LBB39_25
; %bb.22:
	v_mov_b64_e32 v[4:5], 0x10000
	v_cmp_lt_i64_e32 vcc, s[16:17], v[4:5]
	s_and_b64 s[4:5], vcc, exec
	v_mov_b32_e32 v3, 0
	s_cselect_b32 s5, s17, 0
	s_cselect_b32 s4, s16, 0x10000
	v_lshlrev_b32_e32 v2, 2, v0
	s_mov_b32 s3, 0
	v_cmp_gt_i64_e32 vcc, s[4:5], v[2:3]
	s_and_saveexec_b64 s[6:7], vcc
	s_cbranch_execz .LBB39_25
; %bb.23:
	s_load_dword s0, s[0:1], 0xc64
	v_lshlrev_b32_e32 v2, 5, v0
	v_mov_b32_e32 v1, v3
	s_mov_b32 s1, s3
	v_lshl_add_u64 v[2:3], s[14:15], 0, v[2:3]
	s_waitcnt lgkmcnt(0)
	s_and_b32 s2, s0, 0xffff
	s_lshl_b32 s0, s2, 5
	s_mov_b64 s[6:7], 0
.LBB39_24:                              ; =>This Inner Loop Header: Depth=1
	v_lshl_add_u64 v[12:13], s[10:11], 0, v[2:3]
	global_load_dwordx4 v[4:7], v[12:13], off
	global_load_dwordx4 v[8:11], v[12:13], off offset:16
	v_lshl_add_u64 v[0:1], v[0:1], 0, s[2:3]
	v_lshlrev_b64 v[14:15], 2, v[0:1]
	v_cmp_le_i64_e32 vcc, s[4:5], v[14:15]
	v_lshl_add_u64 v[12:13], s[12:13], 0, v[2:3]
	v_lshl_add_u64 v[2:3], v[2:3], 0, s[0:1]
	s_or_b64 s[6:7], vcc, s[6:7]
	s_waitcnt vmcnt(1)
	v_mul_lo_u32 v14, v5, s8
	v_mul_lo_u32 v15, v4, s9
	v_mad_u64_u32 v[4:5], s[14:15], v4, s8, 0
	v_mul_lo_u32 v16, v7, s8
	v_mul_lo_u32 v17, v6, s9
	v_mad_u64_u32 v[6:7], s[14:15], v6, s8, 0
	s_waitcnt vmcnt(0)
	v_mul_lo_u32 v18, v9, s8
	v_mul_lo_u32 v19, v8, s9
	v_mad_u64_u32 v[8:9], s[14:15], v8, s8, 0
	v_mul_lo_u32 v20, v11, s8
	v_mul_lo_u32 v21, v10, s9
	v_mad_u64_u32 v[10:11], s[14:15], v10, s8, 0
	v_add3_u32 v5, v5, v15, v14
	v_add3_u32 v7, v7, v17, v16
	;; [unrolled: 1-line block ×4, first 2 shown]
	global_store_dwordx4 v[12:13], v[4:7], off
	global_store_dwordx4 v[12:13], v[8:11], off offset:16
	s_andn2_b64 exec, exec, s[6:7]
	s_cbranch_execnz .LBB39_24
.LBB39_25:
	s_endpgm
	.section	.rodata,"a",@progbits
	.p2align	6, 0x0
	.amdhsa_kernel _ZN2at6native12_GLOBAL__N_125multi_tensor_apply_kernelINS1_18TensorListMetadataILi2EEENS1_21BinaryOpScalarFunctorIlLi2ELi1ELi1EEEJSt10multipliesIlElEEEvT_T0_DpT1_
		.amdhsa_group_segment_fixed_size 0
		.amdhsa_private_segment_fixed_size 0
		.amdhsa_kernarg_size 3416
		.amdhsa_user_sgpr_count 2
		.amdhsa_user_sgpr_dispatch_ptr 0
		.amdhsa_user_sgpr_queue_ptr 0
		.amdhsa_user_sgpr_kernarg_segment_ptr 1
		.amdhsa_user_sgpr_dispatch_id 0
		.amdhsa_user_sgpr_kernarg_preload_length 0
		.amdhsa_user_sgpr_kernarg_preload_offset 0
		.amdhsa_user_sgpr_private_segment_size 0
		.amdhsa_uses_dynamic_stack 0
		.amdhsa_enable_private_segment 0
		.amdhsa_system_sgpr_workgroup_id_x 1
		.amdhsa_system_sgpr_workgroup_id_y 0
		.amdhsa_system_sgpr_workgroup_id_z 0
		.amdhsa_system_sgpr_workgroup_info 0
		.amdhsa_system_vgpr_workitem_id 0
		.amdhsa_next_free_vgpr 36
		.amdhsa_next_free_sgpr 29
		.amdhsa_accum_offset 36
		.amdhsa_reserve_vcc 1
		.amdhsa_float_round_mode_32 0
		.amdhsa_float_round_mode_16_64 0
		.amdhsa_float_denorm_mode_32 3
		.amdhsa_float_denorm_mode_16_64 3
		.amdhsa_dx10_clamp 1
		.amdhsa_ieee_mode 1
		.amdhsa_fp16_overflow 0
		.amdhsa_tg_split 0
		.amdhsa_exception_fp_ieee_invalid_op 0
		.amdhsa_exception_fp_denorm_src 0
		.amdhsa_exception_fp_ieee_div_zero 0
		.amdhsa_exception_fp_ieee_overflow 0
		.amdhsa_exception_fp_ieee_underflow 0
		.amdhsa_exception_fp_ieee_inexact 0
		.amdhsa_exception_int_div_zero 0
	.end_amdhsa_kernel
	.section	.text._ZN2at6native12_GLOBAL__N_125multi_tensor_apply_kernelINS1_18TensorListMetadataILi2EEENS1_21BinaryOpScalarFunctorIlLi2ELi1ELi1EEEJSt10multipliesIlElEEEvT_T0_DpT1_,"axG",@progbits,_ZN2at6native12_GLOBAL__N_125multi_tensor_apply_kernelINS1_18TensorListMetadataILi2EEENS1_21BinaryOpScalarFunctorIlLi2ELi1ELi1EEEJSt10multipliesIlElEEEvT_T0_DpT1_,comdat
.Lfunc_end39:
	.size	_ZN2at6native12_GLOBAL__N_125multi_tensor_apply_kernelINS1_18TensorListMetadataILi2EEENS1_21BinaryOpScalarFunctorIlLi2ELi1ELi1EEEJSt10multipliesIlElEEEvT_T0_DpT1_, .Lfunc_end39-_ZN2at6native12_GLOBAL__N_125multi_tensor_apply_kernelINS1_18TensorListMetadataILi2EEENS1_21BinaryOpScalarFunctorIlLi2ELi1ELi1EEEJSt10multipliesIlElEEEvT_T0_DpT1_
                                        ; -- End function
	.set _ZN2at6native12_GLOBAL__N_125multi_tensor_apply_kernelINS1_18TensorListMetadataILi2EEENS1_21BinaryOpScalarFunctorIlLi2ELi1ELi1EEEJSt10multipliesIlElEEEvT_T0_DpT1_.num_vgpr, 36
	.set _ZN2at6native12_GLOBAL__N_125multi_tensor_apply_kernelINS1_18TensorListMetadataILi2EEENS1_21BinaryOpScalarFunctorIlLi2ELi1ELi1EEEJSt10multipliesIlElEEEvT_T0_DpT1_.num_agpr, 0
	.set _ZN2at6native12_GLOBAL__N_125multi_tensor_apply_kernelINS1_18TensorListMetadataILi2EEENS1_21BinaryOpScalarFunctorIlLi2ELi1ELi1EEEJSt10multipliesIlElEEEvT_T0_DpT1_.numbered_sgpr, 29
	.set _ZN2at6native12_GLOBAL__N_125multi_tensor_apply_kernelINS1_18TensorListMetadataILi2EEENS1_21BinaryOpScalarFunctorIlLi2ELi1ELi1EEEJSt10multipliesIlElEEEvT_T0_DpT1_.num_named_barrier, 0
	.set _ZN2at6native12_GLOBAL__N_125multi_tensor_apply_kernelINS1_18TensorListMetadataILi2EEENS1_21BinaryOpScalarFunctorIlLi2ELi1ELi1EEEJSt10multipliesIlElEEEvT_T0_DpT1_.private_seg_size, 0
	.set _ZN2at6native12_GLOBAL__N_125multi_tensor_apply_kernelINS1_18TensorListMetadataILi2EEENS1_21BinaryOpScalarFunctorIlLi2ELi1ELi1EEEJSt10multipliesIlElEEEvT_T0_DpT1_.uses_vcc, 1
	.set _ZN2at6native12_GLOBAL__N_125multi_tensor_apply_kernelINS1_18TensorListMetadataILi2EEENS1_21BinaryOpScalarFunctorIlLi2ELi1ELi1EEEJSt10multipliesIlElEEEvT_T0_DpT1_.uses_flat_scratch, 0
	.set _ZN2at6native12_GLOBAL__N_125multi_tensor_apply_kernelINS1_18TensorListMetadataILi2EEENS1_21BinaryOpScalarFunctorIlLi2ELi1ELi1EEEJSt10multipliesIlElEEEvT_T0_DpT1_.has_dyn_sized_stack, 0
	.set _ZN2at6native12_GLOBAL__N_125multi_tensor_apply_kernelINS1_18TensorListMetadataILi2EEENS1_21BinaryOpScalarFunctorIlLi2ELi1ELi1EEEJSt10multipliesIlElEEEvT_T0_DpT1_.has_recursion, 0
	.set _ZN2at6native12_GLOBAL__N_125multi_tensor_apply_kernelINS1_18TensorListMetadataILi2EEENS1_21BinaryOpScalarFunctorIlLi2ELi1ELi1EEEJSt10multipliesIlElEEEvT_T0_DpT1_.has_indirect_call, 0
	.section	.AMDGPU.csdata,"",@progbits
; Kernel info:
; codeLenInByte = 1344
; TotalNumSgprs: 35
; NumVgprs: 36
; NumAgprs: 0
; TotalNumVgprs: 36
; ScratchSize: 0
; MemoryBound: 0
; FloatMode: 240
; IeeeMode: 1
; LDSByteSize: 0 bytes/workgroup (compile time only)
; SGPRBlocks: 4
; VGPRBlocks: 4
; NumSGPRsForWavesPerEU: 35
; NumVGPRsForWavesPerEU: 36
; AccumOffset: 36
; Occupancy: 8
; WaveLimiterHint : 0
; COMPUTE_PGM_RSRC2:SCRATCH_EN: 0
; COMPUTE_PGM_RSRC2:USER_SGPR: 2
; COMPUTE_PGM_RSRC2:TRAP_HANDLER: 0
; COMPUTE_PGM_RSRC2:TGID_X_EN: 1
; COMPUTE_PGM_RSRC2:TGID_Y_EN: 0
; COMPUTE_PGM_RSRC2:TGID_Z_EN: 0
; COMPUTE_PGM_RSRC2:TIDIG_COMP_CNT: 0
; COMPUTE_PGM_RSRC3_GFX90A:ACCUM_OFFSET: 8
; COMPUTE_PGM_RSRC3_GFX90A:TG_SPLIT: 0
	.section	.text._ZN2at6native12_GLOBAL__N_125multi_tensor_apply_kernelINS1_18TensorListMetadataILi2EEENS1_21BinaryOpScalarFunctorIsLi2ELi1ELi1EEEJSt10multipliesIsEsEEEvT_T0_DpT1_,"axG",@progbits,_ZN2at6native12_GLOBAL__N_125multi_tensor_apply_kernelINS1_18TensorListMetadataILi2EEENS1_21BinaryOpScalarFunctorIsLi2ELi1ELi1EEEJSt10multipliesIsEsEEEvT_T0_DpT1_,comdat
	.globl	_ZN2at6native12_GLOBAL__N_125multi_tensor_apply_kernelINS1_18TensorListMetadataILi2EEENS1_21BinaryOpScalarFunctorIsLi2ELi1ELi1EEEJSt10multipliesIsEsEEEvT_T0_DpT1_ ; -- Begin function _ZN2at6native12_GLOBAL__N_125multi_tensor_apply_kernelINS1_18TensorListMetadataILi2EEENS1_21BinaryOpScalarFunctorIsLi2ELi1ELi1EEEJSt10multipliesIsEsEEEvT_T0_DpT1_
	.p2align	8
	.type	_ZN2at6native12_GLOBAL__N_125multi_tensor_apply_kernelINS1_18TensorListMetadataILi2EEENS1_21BinaryOpScalarFunctorIsLi2ELi1ELi1EEEJSt10multipliesIsEsEEEvT_T0_DpT1_,@function
_ZN2at6native12_GLOBAL__N_125multi_tensor_apply_kernelINS1_18TensorListMetadataILi2EEENS1_21BinaryOpScalarFunctorIsLi2ELi1ELi1EEEJSt10multipliesIsEsEEEvT_T0_DpT1_: ; @_ZN2at6native12_GLOBAL__N_125multi_tensor_apply_kernelINS1_18TensorListMetadataILi2EEENS1_21BinaryOpScalarFunctorIsLi2ELi1ELi1EEEJSt10multipliesIsEsEEEvT_T0_DpT1_
; %bb.0:
	v_mov_b32_e32 v1, s2
	global_load_ubyte v1, v1, s[0:1] offset:1536
	s_load_dword s4, s[0:1], 0xc48
	s_mul_hi_u32 s7, s2, 3
	s_mul_i32 s6, s2, 3
	s_mov_b32 s3, 0
	s_mov_b32 s5, s3
	s_waitcnt lgkmcnt(0)
	s_lshr_b32 s26, s4, 16
	s_add_u32 s2, s0, s2
	s_addc_u32 s4, s1, 0
	s_add_u32 s6, s2, s6
	s_addc_u32 s7, s4, s7
	s_load_dword s6, s[6:7], 0x740
	s_waitcnt lgkmcnt(0)
	s_ashr_i32 s7, s6, 31
	s_lshl_b64 s[12:13], s[6:7], 17
	s_lshl_b64 s[6:7], s[6:7], 16
	s_waitcnt vmcnt(0)
	v_readfirstlane_b32 s2, v1
	s_lshl_b32 s2, s2, 3
	s_load_dwordx2 s[16:17], s[0:1], s2 offset:0x400
	s_load_dwordx2 s[8:9], s[0:1], s2 offset:0x0
	;; [unrolled: 1-line block ×3, first 2 shown]
	s_waitcnt lgkmcnt(0)
	s_add_u32 s2, s8, s12
	s_and_b32 s4, s10, 7
	s_and_b32 s2, s2, 7
	s_sub_u32 s14, s16, s6
	s_subb_u32 s15, s17, s7
	s_and_b32 s6, s16, 3
	s_mov_b32 s7, s3
	s_or_b64 s[4:5], s[4:5], s[6:7]
	s_or_b64 s[2:3], s[4:5], s[2:3]
	s_cmp_eq_u64 s[2:3], 0
	s_mov_b64 s[2:3], -1
	s_cbranch_scc1 .LBB40_21
; %bb.1:
	v_cmp_lt_i64_e64 s[2:3], s[14:15], 1
	s_and_b64 vcc, exec, s[2:3]
	s_cbranch_vccnz .LBB40_20
; %bb.2:
	s_load_dword s2, s[0:1], 0xc5c
	v_mov_b64_e32 v[2:3], 0x10000
	v_cmp_lt_i64_e32 vcc, s[14:15], v[2:3]
	s_and_b64 s[4:5], vcc, exec
	s_cselect_b32 s5, s15, 0
	s_cselect_b32 s4, s14, 0x10000
	s_waitcnt lgkmcnt(0)
	s_and_b32 s2, s2, 0xffff
	v_cmp_lt_u64_e32 vcc, s[14:15], v[2:3]
	s_mov_b32 s3, 0
	v_mov_b32_e32 v1, 0
	s_and_b64 s[6:7], vcc, exec
	s_cselect_b32 s17, s15, 0
	s_cselect_b32 s16, s14, 0x10000
	s_lshl_b32 s18, s2, 2
	s_mov_b32 s19, s3
	v_lshlrev_b32_e32 v12, 1, v0
	v_mov_b32_e32 v13, v1
	v_lshl_add_u64 v[18:19], v[0:1], 0, s[2:3]
	s_lshl_b32 s6, s2, 1
	s_mov_b32 s7, s3
	s_mul_i32 s22, s2, 3
	s_mov_b32 s23, s3
	v_mad_u64_u32 v[8:9], s[24:25], s2, 6, v[12:13]
	v_lshl_add_u64 v[14:15], s[18:19], 0, v[12:13]
	v_lshlrev_b32_e32 v22, 1, v18
	v_mov_b32_e32 v23, v1
	v_lshl_add_u64 v[2:3], s[8:9], 0, v[12:13]
	s_lshl_b32 s20, s2, 3
	s_mov_b32 s21, s3
	v_lshl_add_u64 v[4:5], s[10:11], 0, v[12:13]
	v_lshl_add_u64 v[6:7], s[8:9], 0, v[8:9]
	v_lshl_add_u64 v[8:9], s[10:11], 0, v[8:9]
	v_lshl_add_u64 v[10:11], s[22:23], 0, v[0:1]
	v_lshl_add_u64 v[12:13], s[8:9], 0, v[14:15]
	v_lshl_add_u64 v[14:15], s[10:11], 0, v[14:15]
	v_lshl_add_u64 v[16:17], s[6:7], 0, v[0:1]
	v_lshl_add_u64 v[20:21], s[8:9], 0, v[22:23]
	v_lshl_add_u64 v[22:23], s[10:11], 0, v[22:23]
	s_mov_b64 s[22:23], 0
	v_mov_b64_e32 v[24:25], s[4:5]
	s_branch .LBB40_4
.LBB40_3:                               ;   in Loop: Header=BB40_4 Depth=1
	s_or_b64 exec, exec, s[2:3]
	s_add_u32 s22, s22, s18
	s_addc_u32 s23, s23, 0
	v_cmp_lt_i64_e32 vcc, s[22:23], v[24:25]
	v_lshl_add_u64 v[2:3], v[2:3], 0, s[20:21]
	v_lshl_add_u64 v[4:5], v[4:5], 0, s[20:21]
	;; [unrolled: 1-line block ×8, first 2 shown]
	s_cbranch_vccz .LBB40_20
.LBB40_4:                               ; =>This Inner Loop Header: Depth=1
	s_waitcnt vmcnt(0)
	v_lshl_add_u64 v[26:27], v[0:1], 0, s[22:23]
	v_cmp_gt_u64_e32 vcc, s[16:17], v[26:27]
	v_mov_b32_e32 v27, 0
	s_and_saveexec_b64 s[2:3], vcc
	s_cbranch_execz .LBB40_6
; %bb.5:                                ;   in Loop: Header=BB40_4 Depth=1
	v_lshl_add_u64 v[26:27], v[2:3], 0, s[12:13]
	global_load_ushort v27, v[26:27], off
.LBB40_6:                               ;   in Loop: Header=BB40_4 Depth=1
	s_or_b64 exec, exec, s[2:3]
	v_lshl_add_u64 v[28:29], v[18:19], 0, s[22:23]
	v_cmp_gt_u64_e64 s[2:3], s[16:17], v[28:29]
	v_mov_b32_e32 v26, 0
	v_mov_b32_e32 v28, 0
	s_and_saveexec_b64 s[4:5], s[2:3]
	s_cbranch_execz .LBB40_8
; %bb.7:                                ;   in Loop: Header=BB40_4 Depth=1
	v_lshl_add_u64 v[28:29], v[20:21], 0, s[12:13]
	global_load_ushort v28, v[28:29], off
.LBB40_8:                               ;   in Loop: Header=BB40_4 Depth=1
	s_or_b64 exec, exec, s[4:5]
	v_lshl_add_u64 v[30:31], v[16:17], 0, s[22:23]
	v_cmp_gt_u64_e64 s[4:5], s[16:17], v[30:31]
	s_and_saveexec_b64 s[6:7], s[4:5]
	s_cbranch_execz .LBB40_10
; %bb.9:                                ;   in Loop: Header=BB40_4 Depth=1
	v_lshl_add_u64 v[30:31], v[12:13], 0, s[12:13]
	global_load_ushort v26, v[30:31], off
.LBB40_10:                              ;   in Loop: Header=BB40_4 Depth=1
	s_or_b64 exec, exec, s[6:7]
	v_lshl_add_u64 v[30:31], v[10:11], 0, s[22:23]
	v_cmp_gt_u64_e64 s[6:7], s[16:17], v[30:31]
	v_mov_b32_e32 v29, 0
	s_and_saveexec_b64 s[24:25], s[6:7]
	s_cbranch_execnz .LBB40_15
; %bb.11:                               ;   in Loop: Header=BB40_4 Depth=1
	s_or_b64 exec, exec, s[24:25]
	s_and_saveexec_b64 s[24:25], vcc
	s_cbranch_execnz .LBB40_16
.LBB40_12:                              ;   in Loop: Header=BB40_4 Depth=1
	s_or_b64 exec, exec, s[24:25]
	s_and_saveexec_b64 s[24:25], s[2:3]
	s_cbranch_execnz .LBB40_17
.LBB40_13:                              ;   in Loop: Header=BB40_4 Depth=1
	s_or_b64 exec, exec, s[24:25]
	s_and_saveexec_b64 s[2:3], s[4:5]
	s_cbranch_execnz .LBB40_18
.LBB40_14:                              ;   in Loop: Header=BB40_4 Depth=1
	s_or_b64 exec, exec, s[2:3]
	s_and_saveexec_b64 s[2:3], s[6:7]
	s_cbranch_execz .LBB40_3
	s_branch .LBB40_19
.LBB40_15:                              ;   in Loop: Header=BB40_4 Depth=1
	v_lshl_add_u64 v[30:31], v[6:7], 0, s[12:13]
	global_load_ushort v29, v[30:31], off
	s_or_b64 exec, exec, s[24:25]
	s_and_saveexec_b64 s[24:25], vcc
	s_cbranch_execz .LBB40_12
.LBB40_16:                              ;   in Loop: Header=BB40_4 Depth=1
	s_waitcnt vmcnt(0)
	v_mul_lo_u16_e32 v27, s26, v27
	v_lshl_add_u64 v[30:31], v[4:5], 0, s[12:13]
	global_store_short v[30:31], v27, off
	s_or_b64 exec, exec, s[24:25]
	s_and_saveexec_b64 s[24:25], s[2:3]
	s_cbranch_execz .LBB40_13
.LBB40_17:                              ;   in Loop: Header=BB40_4 Depth=1
	s_waitcnt vmcnt(0)
	v_mul_lo_u16_e32 v27, s26, v28
	v_lshl_add_u64 v[30:31], v[22:23], 0, s[12:13]
	global_store_short v[30:31], v27, off
	s_or_b64 exec, exec, s[24:25]
	s_and_saveexec_b64 s[2:3], s[4:5]
	s_cbranch_execz .LBB40_14
.LBB40_18:                              ;   in Loop: Header=BB40_4 Depth=1
	s_waitcnt vmcnt(0)
	v_mul_lo_u16_e32 v28, s26, v26
	v_lshl_add_u64 v[26:27], v[14:15], 0, s[12:13]
	global_store_short v[26:27], v28, off
	s_or_b64 exec, exec, s[2:3]
	s_and_saveexec_b64 s[2:3], s[6:7]
	s_cbranch_execz .LBB40_3
.LBB40_19:                              ;   in Loop: Header=BB40_4 Depth=1
	s_waitcnt vmcnt(0)
	v_mul_lo_u16_e32 v28, s26, v29
	v_lshl_add_u64 v[26:27], v[8:9], 0, s[12:13]
	global_store_short v[26:27], v28, off
	s_branch .LBB40_3
.LBB40_20:
	s_mov_b64 s[2:3], 0
.LBB40_21:
	s_andn2_b64 vcc, exec, s[2:3]
	s_cbranch_vccnz .LBB40_25
; %bb.22:
	v_mov_b64_e32 v[4:5], 0x10000
	v_cmp_lt_i64_e32 vcc, s[14:15], v[4:5]
	s_and_b64 s[4:5], vcc, exec
	v_mov_b32_e32 v3, 0
	s_cselect_b32 s5, s15, 0
	s_cselect_b32 s4, s14, 0x10000
	v_lshlrev_b32_e32 v2, 2, v0
	s_mov_b32 s3, 0
	v_cmp_gt_i64_e32 vcc, s[4:5], v[2:3]
	s_and_saveexec_b64 s[6:7], vcc
	s_cbranch_execz .LBB40_25
; %bb.23:
	s_load_dword s0, s[0:1], 0xc5c
	v_lshlrev_b32_e32 v2, 3, v0
	v_mov_b32_e32 v1, v3
	s_mov_b32 s1, s3
	v_lshl_add_u64 v[2:3], s[12:13], 0, v[2:3]
	s_waitcnt lgkmcnt(0)
	s_and_b32 s2, s0, 0xffff
	s_lshl_b32 s0, s2, 3
	s_mov_b64 s[6:7], 0
	s_mov_b32 s12, 0x5040100
.LBB40_24:                              ; =>This Inner Loop Header: Depth=1
	v_lshl_add_u64 v[4:5], s[8:9], 0, v[2:3]
	global_load_dwordx2 v[4:5], v[4:5], off
	v_lshl_add_u64 v[0:1], v[0:1], 0, s[2:3]
	v_lshlrev_b64 v[8:9], 2, v[0:1]
	v_cmp_le_i64_e32 vcc, s[4:5], v[8:9]
	v_lshl_add_u64 v[6:7], s[10:11], 0, v[2:3]
	v_lshl_add_u64 v[2:3], v[2:3], 0, s[0:1]
	s_or_b64 s[6:7], vcc, s[6:7]
	s_waitcnt vmcnt(0)
	v_mul_lo_u16_e32 v8, s26, v4
	v_mul_lo_u16_sdwa v4, s26, v4 dst_sel:DWORD dst_unused:UNUSED_PAD src0_sel:DWORD src1_sel:WORD_1
	v_mul_lo_u16_e32 v9, s26, v5
	v_mul_lo_u16_sdwa v5, s26, v5 dst_sel:DWORD dst_unused:UNUSED_PAD src0_sel:DWORD src1_sel:WORD_1
	v_perm_b32 v5, v5, v9, s12
	v_perm_b32 v4, v4, v8, s12
	global_store_dwordx2 v[6:7], v[4:5], off
	s_andn2_b64 exec, exec, s[6:7]
	s_cbranch_execnz .LBB40_24
.LBB40_25:
	s_endpgm
	.section	.rodata,"a",@progbits
	.p2align	6, 0x0
	.amdhsa_kernel _ZN2at6native12_GLOBAL__N_125multi_tensor_apply_kernelINS1_18TensorListMetadataILi2EEENS1_21BinaryOpScalarFunctorIsLi2ELi1ELi1EEEJSt10multipliesIsEsEEEvT_T0_DpT1_
		.amdhsa_group_segment_fixed_size 0
		.amdhsa_private_segment_fixed_size 0
		.amdhsa_kernarg_size 3408
		.amdhsa_user_sgpr_count 2
		.amdhsa_user_sgpr_dispatch_ptr 0
		.amdhsa_user_sgpr_queue_ptr 0
		.amdhsa_user_sgpr_kernarg_segment_ptr 1
		.amdhsa_user_sgpr_dispatch_id 0
		.amdhsa_user_sgpr_kernarg_preload_length 0
		.amdhsa_user_sgpr_kernarg_preload_offset 0
		.amdhsa_user_sgpr_private_segment_size 0
		.amdhsa_uses_dynamic_stack 0
		.amdhsa_enable_private_segment 0
		.amdhsa_system_sgpr_workgroup_id_x 1
		.amdhsa_system_sgpr_workgroup_id_y 0
		.amdhsa_system_sgpr_workgroup_id_z 0
		.amdhsa_system_sgpr_workgroup_info 0
		.amdhsa_system_vgpr_workitem_id 0
		.amdhsa_next_free_vgpr 32
		.amdhsa_next_free_sgpr 27
		.amdhsa_accum_offset 32
		.amdhsa_reserve_vcc 1
		.amdhsa_float_round_mode_32 0
		.amdhsa_float_round_mode_16_64 0
		.amdhsa_float_denorm_mode_32 3
		.amdhsa_float_denorm_mode_16_64 3
		.amdhsa_dx10_clamp 1
		.amdhsa_ieee_mode 1
		.amdhsa_fp16_overflow 0
		.amdhsa_tg_split 0
		.amdhsa_exception_fp_ieee_invalid_op 0
		.amdhsa_exception_fp_denorm_src 0
		.amdhsa_exception_fp_ieee_div_zero 0
		.amdhsa_exception_fp_ieee_overflow 0
		.amdhsa_exception_fp_ieee_underflow 0
		.amdhsa_exception_fp_ieee_inexact 0
		.amdhsa_exception_int_div_zero 0
	.end_amdhsa_kernel
	.section	.text._ZN2at6native12_GLOBAL__N_125multi_tensor_apply_kernelINS1_18TensorListMetadataILi2EEENS1_21BinaryOpScalarFunctorIsLi2ELi1ELi1EEEJSt10multipliesIsEsEEEvT_T0_DpT1_,"axG",@progbits,_ZN2at6native12_GLOBAL__N_125multi_tensor_apply_kernelINS1_18TensorListMetadataILi2EEENS1_21BinaryOpScalarFunctorIsLi2ELi1ELi1EEEJSt10multipliesIsEsEEEvT_T0_DpT1_,comdat
.Lfunc_end40:
	.size	_ZN2at6native12_GLOBAL__N_125multi_tensor_apply_kernelINS1_18TensorListMetadataILi2EEENS1_21BinaryOpScalarFunctorIsLi2ELi1ELi1EEEJSt10multipliesIsEsEEEvT_T0_DpT1_, .Lfunc_end40-_ZN2at6native12_GLOBAL__N_125multi_tensor_apply_kernelINS1_18TensorListMetadataILi2EEENS1_21BinaryOpScalarFunctorIsLi2ELi1ELi1EEEJSt10multipliesIsEsEEEvT_T0_DpT1_
                                        ; -- End function
	.set _ZN2at6native12_GLOBAL__N_125multi_tensor_apply_kernelINS1_18TensorListMetadataILi2EEENS1_21BinaryOpScalarFunctorIsLi2ELi1ELi1EEEJSt10multipliesIsEsEEEvT_T0_DpT1_.num_vgpr, 32
	.set _ZN2at6native12_GLOBAL__N_125multi_tensor_apply_kernelINS1_18TensorListMetadataILi2EEENS1_21BinaryOpScalarFunctorIsLi2ELi1ELi1EEEJSt10multipliesIsEsEEEvT_T0_DpT1_.num_agpr, 0
	.set _ZN2at6native12_GLOBAL__N_125multi_tensor_apply_kernelINS1_18TensorListMetadataILi2EEENS1_21BinaryOpScalarFunctorIsLi2ELi1ELi1EEEJSt10multipliesIsEsEEEvT_T0_DpT1_.numbered_sgpr, 27
	.set _ZN2at6native12_GLOBAL__N_125multi_tensor_apply_kernelINS1_18TensorListMetadataILi2EEENS1_21BinaryOpScalarFunctorIsLi2ELi1ELi1EEEJSt10multipliesIsEsEEEvT_T0_DpT1_.num_named_barrier, 0
	.set _ZN2at6native12_GLOBAL__N_125multi_tensor_apply_kernelINS1_18TensorListMetadataILi2EEENS1_21BinaryOpScalarFunctorIsLi2ELi1ELi1EEEJSt10multipliesIsEsEEEvT_T0_DpT1_.private_seg_size, 0
	.set _ZN2at6native12_GLOBAL__N_125multi_tensor_apply_kernelINS1_18TensorListMetadataILi2EEENS1_21BinaryOpScalarFunctorIsLi2ELi1ELi1EEEJSt10multipliesIsEsEEEvT_T0_DpT1_.uses_vcc, 1
	.set _ZN2at6native12_GLOBAL__N_125multi_tensor_apply_kernelINS1_18TensorListMetadataILi2EEENS1_21BinaryOpScalarFunctorIsLi2ELi1ELi1EEEJSt10multipliesIsEsEEEvT_T0_DpT1_.uses_flat_scratch, 0
	.set _ZN2at6native12_GLOBAL__N_125multi_tensor_apply_kernelINS1_18TensorListMetadataILi2EEENS1_21BinaryOpScalarFunctorIsLi2ELi1ELi1EEEJSt10multipliesIsEsEEEvT_T0_DpT1_.has_dyn_sized_stack, 0
	.set _ZN2at6native12_GLOBAL__N_125multi_tensor_apply_kernelINS1_18TensorListMetadataILi2EEENS1_21BinaryOpScalarFunctorIsLi2ELi1ELi1EEEJSt10multipliesIsEsEEEvT_T0_DpT1_.has_recursion, 0
	.set _ZN2at6native12_GLOBAL__N_125multi_tensor_apply_kernelINS1_18TensorListMetadataILi2EEENS1_21BinaryOpScalarFunctorIsLi2ELi1ELi1EEEJSt10multipliesIsEsEEEvT_T0_DpT1_.has_indirect_call, 0
	.section	.AMDGPU.csdata,"",@progbits
; Kernel info:
; codeLenInByte = 1140
; TotalNumSgprs: 33
; NumVgprs: 32
; NumAgprs: 0
; TotalNumVgprs: 32
; ScratchSize: 0
; MemoryBound: 0
; FloatMode: 240
; IeeeMode: 1
; LDSByteSize: 0 bytes/workgroup (compile time only)
; SGPRBlocks: 4
; VGPRBlocks: 3
; NumSGPRsForWavesPerEU: 33
; NumVGPRsForWavesPerEU: 32
; AccumOffset: 32
; Occupancy: 8
; WaveLimiterHint : 0
; COMPUTE_PGM_RSRC2:SCRATCH_EN: 0
; COMPUTE_PGM_RSRC2:USER_SGPR: 2
; COMPUTE_PGM_RSRC2:TRAP_HANDLER: 0
; COMPUTE_PGM_RSRC2:TGID_X_EN: 1
; COMPUTE_PGM_RSRC2:TGID_Y_EN: 0
; COMPUTE_PGM_RSRC2:TGID_Z_EN: 0
; COMPUTE_PGM_RSRC2:TIDIG_COMP_CNT: 0
; COMPUTE_PGM_RSRC3_GFX90A:ACCUM_OFFSET: 7
; COMPUTE_PGM_RSRC3_GFX90A:TG_SPLIT: 0
	.section	.text._ZN2at6native12_GLOBAL__N_125multi_tensor_apply_kernelINS1_18TensorListMetadataILi2EEENS1_21BinaryOpScalarFunctorIdLi2ELi1ELi1EEEJSt10multipliesIdEdEEEvT_T0_DpT1_,"axG",@progbits,_ZN2at6native12_GLOBAL__N_125multi_tensor_apply_kernelINS1_18TensorListMetadataILi2EEENS1_21BinaryOpScalarFunctorIdLi2ELi1ELi1EEEJSt10multipliesIdEdEEEvT_T0_DpT1_,comdat
	.globl	_ZN2at6native12_GLOBAL__N_125multi_tensor_apply_kernelINS1_18TensorListMetadataILi2EEENS1_21BinaryOpScalarFunctorIdLi2ELi1ELi1EEEJSt10multipliesIdEdEEEvT_T0_DpT1_ ; -- Begin function _ZN2at6native12_GLOBAL__N_125multi_tensor_apply_kernelINS1_18TensorListMetadataILi2EEENS1_21BinaryOpScalarFunctorIdLi2ELi1ELi1EEEJSt10multipliesIdEdEEEvT_T0_DpT1_
	.p2align	8
	.type	_ZN2at6native12_GLOBAL__N_125multi_tensor_apply_kernelINS1_18TensorListMetadataILi2EEENS1_21BinaryOpScalarFunctorIdLi2ELi1ELi1EEEJSt10multipliesIdEdEEEvT_T0_DpT1_,@function
_ZN2at6native12_GLOBAL__N_125multi_tensor_apply_kernelINS1_18TensorListMetadataILi2EEENS1_21BinaryOpScalarFunctorIdLi2ELi1ELi1EEEJSt10multipliesIdEdEEEvT_T0_DpT1_: ; @_ZN2at6native12_GLOBAL__N_125multi_tensor_apply_kernelINS1_18TensorListMetadataILi2EEENS1_21BinaryOpScalarFunctorIdLi2ELi1ELi1EEEJSt10multipliesIdEdEEEvT_T0_DpT1_
; %bb.0:
	v_mov_b32_e32 v1, s2
	global_load_ubyte v1, v1, s[0:1] offset:1536
	s_add_u32 s4, s0, s2
	s_mul_hi_u32 s7, s2, 3
	s_mul_i32 s2, s2, 3
	s_addc_u32 s8, s1, 0
	s_add_u32 s6, s4, s2
	s_addc_u32 s7, s8, s7
	s_load_dword s6, s[6:7], 0x740
	s_mov_b32 s3, 0
	s_mov_b32 s5, s3
	s_waitcnt lgkmcnt(0)
	s_ashr_i32 s7, s6, 31
	s_lshl_b64 s[14:15], s[6:7], 19
	s_lshl_b64 s[6:7], s[6:7], 16
	s_waitcnt vmcnt(0)
	v_readfirstlane_b32 s2, v1
	s_lshl_b32 s2, s2, 3
	s_load_dwordx2 s[8:9], s[0:1], 0xc50
	s_load_dwordx2 s[18:19], s[0:1], s2 offset:0x400
	s_load_dwordx2 s[10:11], s[0:1], s2 offset:0x0
	;; [unrolled: 1-line block ×3, first 2 shown]
	s_waitcnt lgkmcnt(0)
	s_add_u32 s2, s10, s14
	s_and_b32 s4, s12, 31
	s_and_b32 s2, s2, 31
	s_sub_u32 s16, s18, s6
	s_subb_u32 s17, s19, s7
	s_and_b32 s6, s18, 3
	s_mov_b32 s7, s3
	s_or_b64 s[4:5], s[4:5], s[6:7]
	s_or_b64 s[2:3], s[4:5], s[2:3]
	s_cmp_eq_u64 s[2:3], 0
	s_mov_b64 s[2:3], -1
	s_cbranch_scc1 .LBB41_21
; %bb.1:
	v_cmp_lt_i64_e64 s[2:3], s[16:17], 1
	s_and_b64 vcc, exec, s[2:3]
	s_cbranch_vccnz .LBB41_20
; %bb.2:
	s_load_dword s2, s[0:1], 0xc64
	v_mov_b64_e32 v[2:3], 0x10000
	v_cmp_lt_i64_e32 vcc, s[16:17], v[2:3]
	s_and_b64 s[4:5], vcc, exec
	s_mov_b32 s3, 0
	s_cselect_b32 s19, s17, 0
	s_cselect_b32 s18, s16, 0x10000
	s_waitcnt lgkmcnt(0)
	s_and_b32 s2, s2, 0xffff
	v_cmp_lt_u64_e32 vcc, s[16:17], v[2:3]
	v_mov_b32_e32 v1, 0
	s_and_b64 s[4:5], vcc, exec
	s_mul_i32 s6, s2, 3
	s_mov_b32 s7, s3
	s_cselect_b32 s21, s17, 0
	s_cselect_b32 s20, s16, 0x10000
	v_lshlrev_b32_e32 v12, 3, v0
	v_mov_b32_e32 v13, v1
	v_lshl_add_u64 v[10:11], s[6:7], 0, v[0:1]
	s_lshl_b32 s6, s2, 4
	v_lshl_add_u64 v[18:19], v[0:1], 0, s[2:3]
	s_lshl_b32 s4, s2, 1
	s_mov_b32 s5, s3
	v_mad_u64_u32 v[8:9], s[24:25], s2, 24, v[12:13]
	v_lshl_add_u64 v[14:15], s[6:7], 0, v[12:13]
	v_lshlrev_b32_e32 v22, 3, v18
	v_mov_b32_e32 v23, v1
	s_lshl_b32 s28, s2, 2
	v_lshl_add_u64 v[2:3], s[10:11], 0, v[12:13]
	s_lshl_b32 s22, s2, 5
	s_mov_b32 s23, s3
	v_lshl_add_u64 v[4:5], s[12:13], 0, v[12:13]
	v_lshl_add_u64 v[6:7], s[10:11], 0, v[8:9]
	;; [unrolled: 1-line block ×8, first 2 shown]
	s_mov_b64 s[24:25], 0
	s_branch .LBB41_4
.LBB41_3:                               ;   in Loop: Header=BB41_4 Depth=1
	s_or_b64 exec, exec, s[2:3]
	s_add_u32 s24, s24, s28
	s_addc_u32 s25, s25, 0
	s_waitcnt vmcnt(0)
	v_mov_b64_e32 v[24:25], s[18:19]
	v_cmp_lt_i64_e32 vcc, s[24:25], v[24:25]
	v_lshl_add_u64 v[2:3], v[2:3], 0, s[22:23]
	v_lshl_add_u64 v[4:5], v[4:5], 0, s[22:23]
	;; [unrolled: 1-line block ×8, first 2 shown]
	s_cbranch_vccz .LBB41_20
.LBB41_4:                               ; =>This Inner Loop Header: Depth=1
	v_lshl_add_u64 v[24:25], v[0:1], 0, s[24:25]
	v_cmp_gt_u64_e32 vcc, s[20:21], v[24:25]
	v_mov_b64_e32 v[24:25], 0
	v_mov_b64_e32 v[28:29], 0
	s_and_saveexec_b64 s[2:3], vcc
	s_cbranch_execz .LBB41_6
; %bb.5:                                ;   in Loop: Header=BB41_4 Depth=1
	v_lshl_add_u64 v[26:27], v[2:3], 0, s[14:15]
	global_load_dwordx2 v[28:29], v[26:27], off
.LBB41_6:                               ;   in Loop: Header=BB41_4 Depth=1
	s_or_b64 exec, exec, s[2:3]
	v_lshl_add_u64 v[26:27], v[18:19], 0, s[24:25]
	v_cmp_gt_u64_e64 s[2:3], s[20:21], v[26:27]
	s_and_saveexec_b64 s[4:5], s[2:3]
	s_cbranch_execz .LBB41_8
; %bb.7:                                ;   in Loop: Header=BB41_4 Depth=1
	v_lshl_add_u64 v[24:25], v[20:21], 0, s[14:15]
	global_load_dwordx2 v[24:25], v[24:25], off
.LBB41_8:                               ;   in Loop: Header=BB41_4 Depth=1
	s_or_b64 exec, exec, s[4:5]
	v_lshl_add_u64 v[26:27], v[16:17], 0, s[24:25]
	v_cmp_gt_u64_e64 s[4:5], s[20:21], v[26:27]
	v_mov_b64_e32 v[26:27], 0
	v_mov_b64_e32 v[30:31], 0
	s_and_saveexec_b64 s[6:7], s[4:5]
	s_cbranch_execz .LBB41_10
; %bb.9:                                ;   in Loop: Header=BB41_4 Depth=1
	v_lshl_add_u64 v[30:31], v[12:13], 0, s[14:15]
	global_load_dwordx2 v[30:31], v[30:31], off
.LBB41_10:                              ;   in Loop: Header=BB41_4 Depth=1
	s_or_b64 exec, exec, s[6:7]
	v_lshl_add_u64 v[32:33], v[10:11], 0, s[24:25]
	v_cmp_gt_u64_e64 s[6:7], s[20:21], v[32:33]
	s_and_saveexec_b64 s[26:27], s[6:7]
	s_cbranch_execnz .LBB41_15
; %bb.11:                               ;   in Loop: Header=BB41_4 Depth=1
	s_or_b64 exec, exec, s[26:27]
	s_and_saveexec_b64 s[26:27], vcc
	s_cbranch_execnz .LBB41_16
.LBB41_12:                              ;   in Loop: Header=BB41_4 Depth=1
	s_or_b64 exec, exec, s[26:27]
	s_and_saveexec_b64 s[26:27], s[2:3]
	s_cbranch_execnz .LBB41_17
.LBB41_13:                              ;   in Loop: Header=BB41_4 Depth=1
	s_or_b64 exec, exec, s[26:27]
	s_and_saveexec_b64 s[2:3], s[4:5]
	s_cbranch_execnz .LBB41_18
.LBB41_14:                              ;   in Loop: Header=BB41_4 Depth=1
	s_or_b64 exec, exec, s[2:3]
	s_and_saveexec_b64 s[2:3], s[6:7]
	s_cbranch_execz .LBB41_3
	s_branch .LBB41_19
.LBB41_15:                              ;   in Loop: Header=BB41_4 Depth=1
	v_lshl_add_u64 v[26:27], v[6:7], 0, s[14:15]
	global_load_dwordx2 v[26:27], v[26:27], off
	s_or_b64 exec, exec, s[26:27]
	s_and_saveexec_b64 s[26:27], vcc
	s_cbranch_execz .LBB41_12
.LBB41_16:                              ;   in Loop: Header=BB41_4 Depth=1
	s_waitcnt vmcnt(0)
	v_mul_f64 v[28:29], s[8:9], v[28:29]
	v_lshl_add_u64 v[32:33], v[4:5], 0, s[14:15]
	global_store_dwordx2 v[32:33], v[28:29], off
	s_or_b64 exec, exec, s[26:27]
	s_and_saveexec_b64 s[26:27], s[2:3]
	s_cbranch_execz .LBB41_13
.LBB41_17:                              ;   in Loop: Header=BB41_4 Depth=1
	s_waitcnt vmcnt(0)
	v_mul_f64 v[24:25], s[8:9], v[24:25]
	v_lshl_add_u64 v[28:29], v[22:23], 0, s[14:15]
	global_store_dwordx2 v[28:29], v[24:25], off
	s_or_b64 exec, exec, s[26:27]
	s_and_saveexec_b64 s[2:3], s[4:5]
	s_cbranch_execz .LBB41_14
.LBB41_18:                              ;   in Loop: Header=BB41_4 Depth=1
	s_waitcnt vmcnt(0)
	v_mul_f64 v[24:25], s[8:9], v[30:31]
	v_lshl_add_u64 v[28:29], v[14:15], 0, s[14:15]
	global_store_dwordx2 v[28:29], v[24:25], off
	s_or_b64 exec, exec, s[2:3]
	s_and_saveexec_b64 s[2:3], s[6:7]
	s_cbranch_execz .LBB41_3
.LBB41_19:                              ;   in Loop: Header=BB41_4 Depth=1
	s_waitcnt vmcnt(0)
	v_mul_f64 v[24:25], s[8:9], v[26:27]
	v_lshl_add_u64 v[26:27], v[8:9], 0, s[14:15]
	global_store_dwordx2 v[26:27], v[24:25], off
	s_branch .LBB41_3
.LBB41_20:
	s_mov_b64 s[2:3], 0
.LBB41_21:
	s_andn2_b64 vcc, exec, s[2:3]
	s_cbranch_vccnz .LBB41_25
; %bb.22:
	v_mov_b64_e32 v[4:5], 0x10000
	v_cmp_lt_i64_e32 vcc, s[16:17], v[4:5]
	s_and_b64 s[4:5], vcc, exec
	v_mov_b32_e32 v3, 0
	s_cselect_b32 s5, s17, 0
	s_cselect_b32 s4, s16, 0x10000
	v_lshlrev_b32_e32 v2, 2, v0
	s_mov_b32 s3, 0
	v_cmp_gt_i64_e32 vcc, s[4:5], v[2:3]
	s_and_saveexec_b64 s[6:7], vcc
	s_cbranch_execz .LBB41_25
; %bb.23:
	s_load_dword s0, s[0:1], 0xc64
	v_lshlrev_b32_e32 v2, 5, v0
	v_mov_b32_e32 v1, v3
	s_mov_b32 s1, s3
	v_lshl_add_u64 v[2:3], s[14:15], 0, v[2:3]
	s_waitcnt lgkmcnt(0)
	s_and_b32 s2, s0, 0xffff
	s_lshl_b32 s0, s2, 5
	s_mov_b64 s[6:7], 0
.LBB41_24:                              ; =>This Inner Loop Header: Depth=1
	v_lshl_add_u64 v[12:13], s[10:11], 0, v[2:3]
	global_load_dwordx4 v[4:7], v[12:13], off
	global_load_dwordx4 v[8:11], v[12:13], off offset:16
	v_lshl_add_u64 v[0:1], v[0:1], 0, s[2:3]
	v_lshlrev_b64 v[14:15], 2, v[0:1]
	v_cmp_le_i64_e32 vcc, s[4:5], v[14:15]
	v_lshl_add_u64 v[12:13], s[12:13], 0, v[2:3]
	v_lshl_add_u64 v[2:3], v[2:3], 0, s[0:1]
	s_or_b64 s[6:7], vcc, s[6:7]
	s_waitcnt vmcnt(1)
	v_mul_f64 v[4:5], s[8:9], v[4:5]
	v_mul_f64 v[6:7], s[8:9], v[6:7]
	s_waitcnt vmcnt(0)
	v_mul_f64 v[8:9], s[8:9], v[8:9]
	v_mul_f64 v[10:11], s[8:9], v[10:11]
	global_store_dwordx4 v[12:13], v[4:7], off
	global_store_dwordx4 v[12:13], v[8:11], off offset:16
	s_andn2_b64 exec, exec, s[6:7]
	s_cbranch_execnz .LBB41_24
.LBB41_25:
	s_endpgm
	.section	.rodata,"a",@progbits
	.p2align	6, 0x0
	.amdhsa_kernel _ZN2at6native12_GLOBAL__N_125multi_tensor_apply_kernelINS1_18TensorListMetadataILi2EEENS1_21BinaryOpScalarFunctorIdLi2ELi1ELi1EEEJSt10multipliesIdEdEEEvT_T0_DpT1_
		.amdhsa_group_segment_fixed_size 0
		.amdhsa_private_segment_fixed_size 0
		.amdhsa_kernarg_size 3416
		.amdhsa_user_sgpr_count 2
		.amdhsa_user_sgpr_dispatch_ptr 0
		.amdhsa_user_sgpr_queue_ptr 0
		.amdhsa_user_sgpr_kernarg_segment_ptr 1
		.amdhsa_user_sgpr_dispatch_id 0
		.amdhsa_user_sgpr_kernarg_preload_length 0
		.amdhsa_user_sgpr_kernarg_preload_offset 0
		.amdhsa_user_sgpr_private_segment_size 0
		.amdhsa_uses_dynamic_stack 0
		.amdhsa_enable_private_segment 0
		.amdhsa_system_sgpr_workgroup_id_x 1
		.amdhsa_system_sgpr_workgroup_id_y 0
		.amdhsa_system_sgpr_workgroup_id_z 0
		.amdhsa_system_sgpr_workgroup_info 0
		.amdhsa_system_vgpr_workitem_id 0
		.amdhsa_next_free_vgpr 34
		.amdhsa_next_free_sgpr 29
		.amdhsa_accum_offset 36
		.amdhsa_reserve_vcc 1
		.amdhsa_float_round_mode_32 0
		.amdhsa_float_round_mode_16_64 0
		.amdhsa_float_denorm_mode_32 3
		.amdhsa_float_denorm_mode_16_64 3
		.amdhsa_dx10_clamp 1
		.amdhsa_ieee_mode 1
		.amdhsa_fp16_overflow 0
		.amdhsa_tg_split 0
		.amdhsa_exception_fp_ieee_invalid_op 0
		.amdhsa_exception_fp_denorm_src 0
		.amdhsa_exception_fp_ieee_div_zero 0
		.amdhsa_exception_fp_ieee_overflow 0
		.amdhsa_exception_fp_ieee_underflow 0
		.amdhsa_exception_fp_ieee_inexact 0
		.amdhsa_exception_int_div_zero 0
	.end_amdhsa_kernel
	.section	.text._ZN2at6native12_GLOBAL__N_125multi_tensor_apply_kernelINS1_18TensorListMetadataILi2EEENS1_21BinaryOpScalarFunctorIdLi2ELi1ELi1EEEJSt10multipliesIdEdEEEvT_T0_DpT1_,"axG",@progbits,_ZN2at6native12_GLOBAL__N_125multi_tensor_apply_kernelINS1_18TensorListMetadataILi2EEENS1_21BinaryOpScalarFunctorIdLi2ELi1ELi1EEEJSt10multipliesIdEdEEEvT_T0_DpT1_,comdat
.Lfunc_end41:
	.size	_ZN2at6native12_GLOBAL__N_125multi_tensor_apply_kernelINS1_18TensorListMetadataILi2EEENS1_21BinaryOpScalarFunctorIdLi2ELi1ELi1EEEJSt10multipliesIdEdEEEvT_T0_DpT1_, .Lfunc_end41-_ZN2at6native12_GLOBAL__N_125multi_tensor_apply_kernelINS1_18TensorListMetadataILi2EEENS1_21BinaryOpScalarFunctorIdLi2ELi1ELi1EEEJSt10multipliesIdEdEEEvT_T0_DpT1_
                                        ; -- End function
	.set _ZN2at6native12_GLOBAL__N_125multi_tensor_apply_kernelINS1_18TensorListMetadataILi2EEENS1_21BinaryOpScalarFunctorIdLi2ELi1ELi1EEEJSt10multipliesIdEdEEEvT_T0_DpT1_.num_vgpr, 34
	.set _ZN2at6native12_GLOBAL__N_125multi_tensor_apply_kernelINS1_18TensorListMetadataILi2EEENS1_21BinaryOpScalarFunctorIdLi2ELi1ELi1EEEJSt10multipliesIdEdEEEvT_T0_DpT1_.num_agpr, 0
	.set _ZN2at6native12_GLOBAL__N_125multi_tensor_apply_kernelINS1_18TensorListMetadataILi2EEENS1_21BinaryOpScalarFunctorIdLi2ELi1ELi1EEEJSt10multipliesIdEdEEEvT_T0_DpT1_.numbered_sgpr, 29
	.set _ZN2at6native12_GLOBAL__N_125multi_tensor_apply_kernelINS1_18TensorListMetadataILi2EEENS1_21BinaryOpScalarFunctorIdLi2ELi1ELi1EEEJSt10multipliesIdEdEEEvT_T0_DpT1_.num_named_barrier, 0
	.set _ZN2at6native12_GLOBAL__N_125multi_tensor_apply_kernelINS1_18TensorListMetadataILi2EEENS1_21BinaryOpScalarFunctorIdLi2ELi1ELi1EEEJSt10multipliesIdEdEEEvT_T0_DpT1_.private_seg_size, 0
	.set _ZN2at6native12_GLOBAL__N_125multi_tensor_apply_kernelINS1_18TensorListMetadataILi2EEENS1_21BinaryOpScalarFunctorIdLi2ELi1ELi1EEEJSt10multipliesIdEdEEEvT_T0_DpT1_.uses_vcc, 1
	.set _ZN2at6native12_GLOBAL__N_125multi_tensor_apply_kernelINS1_18TensorListMetadataILi2EEENS1_21BinaryOpScalarFunctorIdLi2ELi1ELi1EEEJSt10multipliesIdEdEEEvT_T0_DpT1_.uses_flat_scratch, 0
	.set _ZN2at6native12_GLOBAL__N_125multi_tensor_apply_kernelINS1_18TensorListMetadataILi2EEENS1_21BinaryOpScalarFunctorIdLi2ELi1ELi1EEEJSt10multipliesIdEdEEEvT_T0_DpT1_.has_dyn_sized_stack, 0
	.set _ZN2at6native12_GLOBAL__N_125multi_tensor_apply_kernelINS1_18TensorListMetadataILi2EEENS1_21BinaryOpScalarFunctorIdLi2ELi1ELi1EEEJSt10multipliesIdEdEEEvT_T0_DpT1_.has_recursion, 0
	.set _ZN2at6native12_GLOBAL__N_125multi_tensor_apply_kernelINS1_18TensorListMetadataILi2EEENS1_21BinaryOpScalarFunctorIdLi2ELi1ELi1EEEJSt10multipliesIdEdEEEvT_T0_DpT1_.has_indirect_call, 0
	.section	.AMDGPU.csdata,"",@progbits
; Kernel info:
; codeLenInByte = 1152
; TotalNumSgprs: 35
; NumVgprs: 34
; NumAgprs: 0
; TotalNumVgprs: 34
; ScratchSize: 0
; MemoryBound: 0
; FloatMode: 240
; IeeeMode: 1
; LDSByteSize: 0 bytes/workgroup (compile time only)
; SGPRBlocks: 4
; VGPRBlocks: 4
; NumSGPRsForWavesPerEU: 35
; NumVGPRsForWavesPerEU: 34
; AccumOffset: 36
; Occupancy: 8
; WaveLimiterHint : 0
; COMPUTE_PGM_RSRC2:SCRATCH_EN: 0
; COMPUTE_PGM_RSRC2:USER_SGPR: 2
; COMPUTE_PGM_RSRC2:TRAP_HANDLER: 0
; COMPUTE_PGM_RSRC2:TGID_X_EN: 1
; COMPUTE_PGM_RSRC2:TGID_Y_EN: 0
; COMPUTE_PGM_RSRC2:TGID_Z_EN: 0
; COMPUTE_PGM_RSRC2:TIDIG_COMP_CNT: 0
; COMPUTE_PGM_RSRC3_GFX90A:ACCUM_OFFSET: 8
; COMPUTE_PGM_RSRC3_GFX90A:TG_SPLIT: 0
	.section	.text._ZN2at6native12_GLOBAL__N_125multi_tensor_apply_kernelINS1_18TensorListMetadataILi2EEENS1_21BinaryOpScalarFunctorIfLi2ELi1ELi1EEEJSt10multipliesIfEfEEEvT_T0_DpT1_,"axG",@progbits,_ZN2at6native12_GLOBAL__N_125multi_tensor_apply_kernelINS1_18TensorListMetadataILi2EEENS1_21BinaryOpScalarFunctorIfLi2ELi1ELi1EEEJSt10multipliesIfEfEEEvT_T0_DpT1_,comdat
	.globl	_ZN2at6native12_GLOBAL__N_125multi_tensor_apply_kernelINS1_18TensorListMetadataILi2EEENS1_21BinaryOpScalarFunctorIfLi2ELi1ELi1EEEJSt10multipliesIfEfEEEvT_T0_DpT1_ ; -- Begin function _ZN2at6native12_GLOBAL__N_125multi_tensor_apply_kernelINS1_18TensorListMetadataILi2EEENS1_21BinaryOpScalarFunctorIfLi2ELi1ELi1EEEJSt10multipliesIfEfEEEvT_T0_DpT1_
	.p2align	8
	.type	_ZN2at6native12_GLOBAL__N_125multi_tensor_apply_kernelINS1_18TensorListMetadataILi2EEENS1_21BinaryOpScalarFunctorIfLi2ELi1ELi1EEEJSt10multipliesIfEfEEEvT_T0_DpT1_,@function
_ZN2at6native12_GLOBAL__N_125multi_tensor_apply_kernelINS1_18TensorListMetadataILi2EEENS1_21BinaryOpScalarFunctorIfLi2ELi1ELi1EEEJSt10multipliesIfEfEEEvT_T0_DpT1_: ; @_ZN2at6native12_GLOBAL__N_125multi_tensor_apply_kernelINS1_18TensorListMetadataILi2EEENS1_21BinaryOpScalarFunctorIfLi2ELi1ELi1EEEJSt10multipliesIfEfEEEvT_T0_DpT1_
; %bb.0:
	v_mov_b32_e32 v1, s2
	global_load_ubyte v1, v1, s[0:1] offset:1536
	s_add_u32 s4, s0, s2
	s_mul_hi_u32 s7, s2, 3
	s_mul_i32 s2, s2, 3
	s_addc_u32 s8, s1, 0
	s_add_u32 s6, s4, s2
	s_addc_u32 s7, s8, s7
	s_load_dword s6, s[6:7], 0x740
	s_mov_b32 s3, 0
	s_mov_b32 s5, s3
	s_waitcnt lgkmcnt(0)
	s_ashr_i32 s7, s6, 31
	s_lshl_b64 s[14:15], s[6:7], 18
	s_lshl_b64 s[6:7], s[6:7], 16
	s_waitcnt vmcnt(0)
	v_readfirstlane_b32 s2, v1
	s_lshl_b32 s2, s2, 3
	s_load_dword s8, s[0:1], 0xc4c
	s_load_dwordx2 s[18:19], s[0:1], s2 offset:0x400
	s_load_dwordx2 s[12:13], s[0:1], s2 offset:0x0
	;; [unrolled: 1-line block ×3, first 2 shown]
	s_waitcnt lgkmcnt(0)
	s_add_u32 s2, s12, s14
	s_and_b32 s4, s10, 15
	s_and_b32 s2, s2, 15
	s_sub_u32 s16, s18, s6
	s_subb_u32 s17, s19, s7
	s_and_b32 s6, s18, 3
	s_mov_b32 s7, s3
	s_or_b64 s[4:5], s[4:5], s[6:7]
	s_or_b64 s[2:3], s[4:5], s[2:3]
	s_cmp_eq_u64 s[2:3], 0
	s_mov_b64 s[2:3], -1
	s_cbranch_scc1 .LBB42_21
; %bb.1:
	v_cmp_lt_i64_e64 s[2:3], s[16:17], 1
	s_and_b64 vcc, exec, s[2:3]
	s_cbranch_vccnz .LBB42_20
; %bb.2:
	s_load_dword s2, s[0:1], 0xc5c
	v_mov_b64_e32 v[2:3], 0x10000
	v_cmp_lt_i64_e32 vcc, s[16:17], v[2:3]
	s_and_b64 s[4:5], vcc, exec
	s_mov_b32 s3, 0
	s_cselect_b32 s5, s17, 0
	s_cselect_b32 s4, s16, 0x10000
	s_waitcnt lgkmcnt(0)
	s_and_b32 s2, s2, 0xffff
	v_cmp_lt_u64_e32 vcc, s[16:17], v[2:3]
	v_mov_b32_e32 v1, 0
	s_and_b64 s[6:7], vcc, exec
	s_mul_i32 s22, s2, 3
	s_mov_b32 s23, s3
	s_cselect_b32 s19, s17, 0
	s_cselect_b32 s18, s16, 0x10000
	v_lshlrev_b32_e32 v12, 2, v0
	v_mov_b32_e32 v13, v1
	v_lshl_add_u64 v[10:11], s[22:23], 0, v[0:1]
	s_lshl_b32 s22, s2, 3
	v_lshl_add_u64 v[18:19], v[0:1], 0, s[2:3]
	s_lshl_b32 s6, s2, 1
	s_mov_b32 s7, s3
	v_mad_u64_u32 v[8:9], s[24:25], s2, 12, v[12:13]
	v_lshl_add_u64 v[14:15], s[22:23], 0, v[12:13]
	v_lshlrev_b32_e32 v22, 2, v18
	v_mov_b32_e32 v23, v1
	s_lshl_b32 s9, s2, 2
	v_lshl_add_u64 v[2:3], s[12:13], 0, v[12:13]
	s_lshl_b32 s20, s2, 4
	s_mov_b32 s21, s3
	v_lshl_add_u64 v[4:5], s[10:11], 0, v[12:13]
	v_lshl_add_u64 v[6:7], s[12:13], 0, v[8:9]
	;; [unrolled: 1-line block ×8, first 2 shown]
	s_mov_b64 s[22:23], 0
	v_mov_b64_e32 v[24:25], s[4:5]
	s_branch .LBB42_4
.LBB42_3:                               ;   in Loop: Header=BB42_4 Depth=1
	s_or_b64 exec, exec, s[2:3]
	s_add_u32 s22, s22, s9
	s_addc_u32 s23, s23, 0
	v_cmp_lt_i64_e32 vcc, s[22:23], v[24:25]
	v_lshl_add_u64 v[2:3], v[2:3], 0, s[20:21]
	v_lshl_add_u64 v[4:5], v[4:5], 0, s[20:21]
	;; [unrolled: 1-line block ×8, first 2 shown]
	s_cbranch_vccz .LBB42_20
.LBB42_4:                               ; =>This Inner Loop Header: Depth=1
	s_waitcnt vmcnt(0)
	v_lshl_add_u64 v[26:27], v[0:1], 0, s[22:23]
	v_cmp_gt_u64_e32 vcc, s[18:19], v[26:27]
	v_mov_b32_e32 v27, 0
	s_and_saveexec_b64 s[2:3], vcc
	s_cbranch_execz .LBB42_6
; %bb.5:                                ;   in Loop: Header=BB42_4 Depth=1
	v_lshl_add_u64 v[26:27], v[2:3], 0, s[14:15]
	global_load_dword v27, v[26:27], off
.LBB42_6:                               ;   in Loop: Header=BB42_4 Depth=1
	s_or_b64 exec, exec, s[2:3]
	v_lshl_add_u64 v[28:29], v[18:19], 0, s[22:23]
	v_cmp_gt_u64_e64 s[2:3], s[18:19], v[28:29]
	v_mov_b32_e32 v26, 0
	v_mov_b32_e32 v28, 0
	s_and_saveexec_b64 s[4:5], s[2:3]
	s_cbranch_execz .LBB42_8
; %bb.7:                                ;   in Loop: Header=BB42_4 Depth=1
	v_lshl_add_u64 v[28:29], v[20:21], 0, s[14:15]
	global_load_dword v28, v[28:29], off
.LBB42_8:                               ;   in Loop: Header=BB42_4 Depth=1
	s_or_b64 exec, exec, s[4:5]
	v_lshl_add_u64 v[30:31], v[16:17], 0, s[22:23]
	v_cmp_gt_u64_e64 s[4:5], s[18:19], v[30:31]
	s_and_saveexec_b64 s[6:7], s[4:5]
	s_cbranch_execz .LBB42_10
; %bb.9:                                ;   in Loop: Header=BB42_4 Depth=1
	v_lshl_add_u64 v[30:31], v[12:13], 0, s[14:15]
	global_load_dword v26, v[30:31], off
.LBB42_10:                              ;   in Loop: Header=BB42_4 Depth=1
	s_or_b64 exec, exec, s[6:7]
	v_lshl_add_u64 v[30:31], v[10:11], 0, s[22:23]
	v_cmp_gt_u64_e64 s[6:7], s[18:19], v[30:31]
	v_mov_b32_e32 v29, 0
	s_and_saveexec_b64 s[24:25], s[6:7]
	s_cbranch_execnz .LBB42_15
; %bb.11:                               ;   in Loop: Header=BB42_4 Depth=1
	s_or_b64 exec, exec, s[24:25]
	s_and_saveexec_b64 s[24:25], vcc
	s_cbranch_execnz .LBB42_16
.LBB42_12:                              ;   in Loop: Header=BB42_4 Depth=1
	s_or_b64 exec, exec, s[24:25]
	s_and_saveexec_b64 s[24:25], s[2:3]
	s_cbranch_execnz .LBB42_17
.LBB42_13:                              ;   in Loop: Header=BB42_4 Depth=1
	s_or_b64 exec, exec, s[24:25]
	s_and_saveexec_b64 s[2:3], s[4:5]
	s_cbranch_execnz .LBB42_18
.LBB42_14:                              ;   in Loop: Header=BB42_4 Depth=1
	s_or_b64 exec, exec, s[2:3]
	s_and_saveexec_b64 s[2:3], s[6:7]
	s_cbranch_execz .LBB42_3
	s_branch .LBB42_19
.LBB42_15:                              ;   in Loop: Header=BB42_4 Depth=1
	v_lshl_add_u64 v[30:31], v[6:7], 0, s[14:15]
	global_load_dword v29, v[30:31], off
	s_or_b64 exec, exec, s[24:25]
	s_and_saveexec_b64 s[24:25], vcc
	s_cbranch_execz .LBB42_12
.LBB42_16:                              ;   in Loop: Header=BB42_4 Depth=1
	s_waitcnt vmcnt(0)
	v_mul_f32_e32 v27, s8, v27
	v_lshl_add_u64 v[30:31], v[4:5], 0, s[14:15]
	global_store_dword v[30:31], v27, off
	s_or_b64 exec, exec, s[24:25]
	s_and_saveexec_b64 s[24:25], s[2:3]
	s_cbranch_execz .LBB42_13
.LBB42_17:                              ;   in Loop: Header=BB42_4 Depth=1
	s_waitcnt vmcnt(0)
	v_mul_f32_e32 v27, s8, v28
	v_lshl_add_u64 v[30:31], v[22:23], 0, s[14:15]
	global_store_dword v[30:31], v27, off
	s_or_b64 exec, exec, s[24:25]
	s_and_saveexec_b64 s[2:3], s[4:5]
	s_cbranch_execz .LBB42_14
.LBB42_18:                              ;   in Loop: Header=BB42_4 Depth=1
	s_waitcnt vmcnt(0)
	v_mul_f32_e32 v28, s8, v26
	v_lshl_add_u64 v[26:27], v[14:15], 0, s[14:15]
	global_store_dword v[26:27], v28, off
	s_or_b64 exec, exec, s[2:3]
	s_and_saveexec_b64 s[2:3], s[6:7]
	s_cbranch_execz .LBB42_3
.LBB42_19:                              ;   in Loop: Header=BB42_4 Depth=1
	s_waitcnt vmcnt(0)
	v_mul_f32_e32 v28, s8, v29
	v_lshl_add_u64 v[26:27], v[8:9], 0, s[14:15]
	global_store_dword v[26:27], v28, off
	s_branch .LBB42_3
.LBB42_20:
	s_mov_b64 s[2:3], 0
.LBB42_21:
	s_andn2_b64 vcc, exec, s[2:3]
	s_cbranch_vccnz .LBB42_25
; %bb.22:
	v_mov_b64_e32 v[4:5], 0x10000
	v_cmp_lt_i64_e32 vcc, s[16:17], v[4:5]
	s_and_b64 s[4:5], vcc, exec
	v_mov_b32_e32 v3, 0
	s_cselect_b32 s5, s17, 0
	s_cselect_b32 s4, s16, 0x10000
	v_lshlrev_b32_e32 v2, 2, v0
	s_mov_b32 s3, 0
	v_cmp_gt_i64_e32 vcc, s[4:5], v[2:3]
	s_and_saveexec_b64 s[6:7], vcc
	s_cbranch_execz .LBB42_25
; %bb.23:
	s_load_dword s0, s[0:1], 0xc5c
	v_lshlrev_b32_e32 v2, 4, v0
	v_mov_b32_e32 v1, v3
	s_mov_b32 s9, s8
	v_lshl_add_u64 v[2:3], s[14:15], 0, v[2:3]
	s_waitcnt lgkmcnt(0)
	s_and_b32 s2, s0, 0xffff
	s_lshl_b32 s0, s2, 4
	s_add_u32 s6, s12, 8
	s_mov_b32 s1, s3
	s_addc_u32 s7, s13, 0
	s_mov_b64 s[12:13], 0
.LBB42_24:                              ; =>This Inner Loop Header: Depth=1
	v_lshl_add_u64 v[4:5], s[6:7], 0, v[2:3]
	global_load_dwordx4 v[4:7], v[4:5], off offset:-8
	v_lshl_add_u64 v[0:1], v[0:1], 0, s[2:3]
	v_lshlrev_b64 v[10:11], 2, v[0:1]
	v_cmp_le_i64_e32 vcc, s[4:5], v[10:11]
	v_lshl_add_u64 v[8:9], s[10:11], 0, v[2:3]
	v_lshl_add_u64 v[2:3], v[2:3], 0, s[0:1]
	s_or_b64 s[12:13], vcc, s[12:13]
	s_waitcnt vmcnt(0)
	v_pk_mul_f32 v[4:5], s[8:9], v[4:5]
	v_pk_mul_f32 v[6:7], s[8:9], v[6:7]
	global_store_dwordx4 v[8:9], v[4:7], off
	s_andn2_b64 exec, exec, s[12:13]
	s_cbranch_execnz .LBB42_24
.LBB42_25:
	s_endpgm
	.section	.rodata,"a",@progbits
	.p2align	6, 0x0
	.amdhsa_kernel _ZN2at6native12_GLOBAL__N_125multi_tensor_apply_kernelINS1_18TensorListMetadataILi2EEENS1_21BinaryOpScalarFunctorIfLi2ELi1ELi1EEEJSt10multipliesIfEfEEEvT_T0_DpT1_
		.amdhsa_group_segment_fixed_size 0
		.amdhsa_private_segment_fixed_size 0
		.amdhsa_kernarg_size 3408
		.amdhsa_user_sgpr_count 2
		.amdhsa_user_sgpr_dispatch_ptr 0
		.amdhsa_user_sgpr_queue_ptr 0
		.amdhsa_user_sgpr_kernarg_segment_ptr 1
		.amdhsa_user_sgpr_dispatch_id 0
		.amdhsa_user_sgpr_kernarg_preload_length 0
		.amdhsa_user_sgpr_kernarg_preload_offset 0
		.amdhsa_user_sgpr_private_segment_size 0
		.amdhsa_uses_dynamic_stack 0
		.amdhsa_enable_private_segment 0
		.amdhsa_system_sgpr_workgroup_id_x 1
		.amdhsa_system_sgpr_workgroup_id_y 0
		.amdhsa_system_sgpr_workgroup_id_z 0
		.amdhsa_system_sgpr_workgroup_info 0
		.amdhsa_system_vgpr_workitem_id 0
		.amdhsa_next_free_vgpr 32
		.amdhsa_next_free_sgpr 26
		.amdhsa_accum_offset 32
		.amdhsa_reserve_vcc 1
		.amdhsa_float_round_mode_32 0
		.amdhsa_float_round_mode_16_64 0
		.amdhsa_float_denorm_mode_32 3
		.amdhsa_float_denorm_mode_16_64 3
		.amdhsa_dx10_clamp 1
		.amdhsa_ieee_mode 1
		.amdhsa_fp16_overflow 0
		.amdhsa_tg_split 0
		.amdhsa_exception_fp_ieee_invalid_op 0
		.amdhsa_exception_fp_denorm_src 0
		.amdhsa_exception_fp_ieee_div_zero 0
		.amdhsa_exception_fp_ieee_overflow 0
		.amdhsa_exception_fp_ieee_underflow 0
		.amdhsa_exception_fp_ieee_inexact 0
		.amdhsa_exception_int_div_zero 0
	.end_amdhsa_kernel
	.section	.text._ZN2at6native12_GLOBAL__N_125multi_tensor_apply_kernelINS1_18TensorListMetadataILi2EEENS1_21BinaryOpScalarFunctorIfLi2ELi1ELi1EEEJSt10multipliesIfEfEEEvT_T0_DpT1_,"axG",@progbits,_ZN2at6native12_GLOBAL__N_125multi_tensor_apply_kernelINS1_18TensorListMetadataILi2EEENS1_21BinaryOpScalarFunctorIfLi2ELi1ELi1EEEJSt10multipliesIfEfEEEvT_T0_DpT1_,comdat
.Lfunc_end42:
	.size	_ZN2at6native12_GLOBAL__N_125multi_tensor_apply_kernelINS1_18TensorListMetadataILi2EEENS1_21BinaryOpScalarFunctorIfLi2ELi1ELi1EEEJSt10multipliesIfEfEEEvT_T0_DpT1_, .Lfunc_end42-_ZN2at6native12_GLOBAL__N_125multi_tensor_apply_kernelINS1_18TensorListMetadataILi2EEENS1_21BinaryOpScalarFunctorIfLi2ELi1ELi1EEEJSt10multipliesIfEfEEEvT_T0_DpT1_
                                        ; -- End function
	.set _ZN2at6native12_GLOBAL__N_125multi_tensor_apply_kernelINS1_18TensorListMetadataILi2EEENS1_21BinaryOpScalarFunctorIfLi2ELi1ELi1EEEJSt10multipliesIfEfEEEvT_T0_DpT1_.num_vgpr, 32
	.set _ZN2at6native12_GLOBAL__N_125multi_tensor_apply_kernelINS1_18TensorListMetadataILi2EEENS1_21BinaryOpScalarFunctorIfLi2ELi1ELi1EEEJSt10multipliesIfEfEEEvT_T0_DpT1_.num_agpr, 0
	.set _ZN2at6native12_GLOBAL__N_125multi_tensor_apply_kernelINS1_18TensorListMetadataILi2EEENS1_21BinaryOpScalarFunctorIfLi2ELi1ELi1EEEJSt10multipliesIfEfEEEvT_T0_DpT1_.numbered_sgpr, 26
	.set _ZN2at6native12_GLOBAL__N_125multi_tensor_apply_kernelINS1_18TensorListMetadataILi2EEENS1_21BinaryOpScalarFunctorIfLi2ELi1ELi1EEEJSt10multipliesIfEfEEEvT_T0_DpT1_.num_named_barrier, 0
	.set _ZN2at6native12_GLOBAL__N_125multi_tensor_apply_kernelINS1_18TensorListMetadataILi2EEENS1_21BinaryOpScalarFunctorIfLi2ELi1ELi1EEEJSt10multipliesIfEfEEEvT_T0_DpT1_.private_seg_size, 0
	.set _ZN2at6native12_GLOBAL__N_125multi_tensor_apply_kernelINS1_18TensorListMetadataILi2EEENS1_21BinaryOpScalarFunctorIfLi2ELi1ELi1EEEJSt10multipliesIfEfEEEvT_T0_DpT1_.uses_vcc, 1
	.set _ZN2at6native12_GLOBAL__N_125multi_tensor_apply_kernelINS1_18TensorListMetadataILi2EEENS1_21BinaryOpScalarFunctorIfLi2ELi1ELi1EEEJSt10multipliesIfEfEEEvT_T0_DpT1_.uses_flat_scratch, 0
	.set _ZN2at6native12_GLOBAL__N_125multi_tensor_apply_kernelINS1_18TensorListMetadataILi2EEENS1_21BinaryOpScalarFunctorIfLi2ELi1ELi1EEEJSt10multipliesIfEfEEEvT_T0_DpT1_.has_dyn_sized_stack, 0
	.set _ZN2at6native12_GLOBAL__N_125multi_tensor_apply_kernelINS1_18TensorListMetadataILi2EEENS1_21BinaryOpScalarFunctorIfLi2ELi1ELi1EEEJSt10multipliesIfEfEEEvT_T0_DpT1_.has_recursion, 0
	.set _ZN2at6native12_GLOBAL__N_125multi_tensor_apply_kernelINS1_18TensorListMetadataILi2EEENS1_21BinaryOpScalarFunctorIfLi2ELi1ELi1EEEJSt10multipliesIfEfEEEvT_T0_DpT1_.has_indirect_call, 0
	.section	.AMDGPU.csdata,"",@progbits
; Kernel info:
; codeLenInByte = 1112
; TotalNumSgprs: 32
; NumVgprs: 32
; NumAgprs: 0
; TotalNumVgprs: 32
; ScratchSize: 0
; MemoryBound: 0
; FloatMode: 240
; IeeeMode: 1
; LDSByteSize: 0 bytes/workgroup (compile time only)
; SGPRBlocks: 3
; VGPRBlocks: 3
; NumSGPRsForWavesPerEU: 32
; NumVGPRsForWavesPerEU: 32
; AccumOffset: 32
; Occupancy: 8
; WaveLimiterHint : 0
; COMPUTE_PGM_RSRC2:SCRATCH_EN: 0
; COMPUTE_PGM_RSRC2:USER_SGPR: 2
; COMPUTE_PGM_RSRC2:TRAP_HANDLER: 0
; COMPUTE_PGM_RSRC2:TGID_X_EN: 1
; COMPUTE_PGM_RSRC2:TGID_Y_EN: 0
; COMPUTE_PGM_RSRC2:TGID_Z_EN: 0
; COMPUTE_PGM_RSRC2:TIDIG_COMP_CNT: 0
; COMPUTE_PGM_RSRC3_GFX90A:ACCUM_OFFSET: 7
; COMPUTE_PGM_RSRC3_GFX90A:TG_SPLIT: 0
	.section	.text._ZN2at6native12_GLOBAL__N_125multi_tensor_apply_kernelINS1_18TensorListMetadataILi2EEENS1_21BinaryOpScalarFunctorIN3c107complexIdEELi2ELi1ELi1EEEJSt10multipliesIS8_ES8_EEEvT_T0_DpT1_,"axG",@progbits,_ZN2at6native12_GLOBAL__N_125multi_tensor_apply_kernelINS1_18TensorListMetadataILi2EEENS1_21BinaryOpScalarFunctorIN3c107complexIdEELi2ELi1ELi1EEEJSt10multipliesIS8_ES8_EEEvT_T0_DpT1_,comdat
	.globl	_ZN2at6native12_GLOBAL__N_125multi_tensor_apply_kernelINS1_18TensorListMetadataILi2EEENS1_21BinaryOpScalarFunctorIN3c107complexIdEELi2ELi1ELi1EEEJSt10multipliesIS8_ES8_EEEvT_T0_DpT1_ ; -- Begin function _ZN2at6native12_GLOBAL__N_125multi_tensor_apply_kernelINS1_18TensorListMetadataILi2EEENS1_21BinaryOpScalarFunctorIN3c107complexIdEELi2ELi1ELi1EEEJSt10multipliesIS8_ES8_EEEvT_T0_DpT1_
	.p2align	8
	.type	_ZN2at6native12_GLOBAL__N_125multi_tensor_apply_kernelINS1_18TensorListMetadataILi2EEENS1_21BinaryOpScalarFunctorIN3c107complexIdEELi2ELi1ELi1EEEJSt10multipliesIS8_ES8_EEEvT_T0_DpT1_,@function
_ZN2at6native12_GLOBAL__N_125multi_tensor_apply_kernelINS1_18TensorListMetadataILi2EEENS1_21BinaryOpScalarFunctorIN3c107complexIdEELi2ELi1ELi1EEEJSt10multipliesIS8_ES8_EEEvT_T0_DpT1_: ; @_ZN2at6native12_GLOBAL__N_125multi_tensor_apply_kernelINS1_18TensorListMetadataILi2EEENS1_21BinaryOpScalarFunctorIN3c107complexIdEELi2ELi1ELi1EEEJSt10multipliesIS8_ES8_EEEvT_T0_DpT1_
; %bb.0:
	v_mov_b32_e32 v1, s2
	global_load_ubyte v1, v1, s[0:1] offset:1536
	s_add_u32 s4, s0, s2
	s_mul_hi_u32 s5, s2, 3
	s_mul_i32 s2, s2, 3
	s_addc_u32 s6, s1, 0
	s_add_u32 s4, s4, s2
	s_addc_u32 s5, s6, s5
	s_load_dwordx4 s[8:11], s[0:1], 0xc50
	s_load_dword s6, s[4:5], 0x740
	s_mov_b32 s3, 0
	s_mov_b32 s5, s3
	s_waitcnt lgkmcnt(0)
	s_ashr_i32 s7, s6, 31
	s_lshl_b64 s[16:17], s[6:7], 20
	s_waitcnt vmcnt(0)
	v_readfirstlane_b32 s2, v1
	s_lshl_b32 s2, s2, 3
	s_load_dwordx2 s[12:13], s[0:1], s2 offset:0x0
	s_load_dwordx2 s[18:19], s[0:1], s2 offset:0x400
	;; [unrolled: 1-line block ×3, first 2 shown]
	s_waitcnt lgkmcnt(0)
	s_add_u32 s12, s12, s16
	s_addc_u32 s13, s13, s17
	s_and_b32 s2, s12, 63
	s_add_u32 s14, s14, s16
	s_addc_u32 s15, s15, s17
	s_and_b32 s4, s14, 63
	s_lshl_b64 s[6:7], s[6:7], 16
	s_sub_u32 s16, s18, s6
	s_subb_u32 s17, s19, s7
	s_and_b32 s6, s18, 3
	s_mov_b32 s7, s3
	s_or_b64 s[4:5], s[4:5], s[6:7]
	s_or_b64 s[2:3], s[4:5], s[2:3]
	s_cmp_eq_u64 s[2:3], 0
	s_mov_b64 s[2:3], -1
	s_cbranch_scc1 .LBB43_21
; %bb.1:
	v_cmp_lt_i64_e64 s[2:3], s[16:17], 1
	s_and_b64 vcc, exec, s[2:3]
	s_cbranch_vccnz .LBB43_20
; %bb.2:
	s_load_dword s4, s[0:1], 0xc6c
	v_mov_b64_e32 v[2:3], 0x10000
	v_cmp_lt_i64_e32 vcc, s[16:17], v[2:3]
	s_and_b64 s[2:3], vcc, exec
	s_cselect_b32 s21, s17, 0
	s_cselect_b32 s20, s16, 0x10000
	s_waitcnt lgkmcnt(0)
	s_and_b32 s18, s4, 0xffff
	v_cmp_lt_u64_e32 vcc, s[16:17], v[2:3]
	s_mov_b32 s19, 0
	s_and_b64 s[2:3], vcc, exec
	v_mov_b32_e32 v1, 0
	s_cselect_b32 s23, s17, 0
	s_cselect_b32 s22, s16, 0x10000
	s_lshl_b32 s24, s18, 1
	s_mov_b32 s25, s19
	s_mul_i32 s26, s18, 3
	s_mov_b32 s27, s19
	s_lshl_b32 s33, s18, 2
	s_mov_b64 s[28:29], 0
	s_branch .LBB43_4
.LBB43_3:                               ;   in Loop: Header=BB43_4 Depth=1
	s_or_b64 exec, exec, s[2:3]
	s_add_u32 s28, s28, s33
	s_addc_u32 s29, s29, 0
	s_waitcnt vmcnt(0)
	v_mov_b64_e32 v[2:3], s[20:21]
	v_cmp_lt_i64_e32 vcc, s[28:29], v[2:3]
	s_cbranch_vccz .LBB43_20
.LBB43_4:                               ; =>This Inner Loop Header: Depth=1
	v_lshl_add_u64 v[18:19], s[28:29], 0, v[0:1]
	v_cmp_gt_u64_e32 vcc, s[22:23], v[18:19]
	v_mov_b64_e32 v[4:5], 0
	v_mov_b64_e32 v[12:13], 0
	v_mov_b64_e32 v[10:11], 0
	s_and_saveexec_b64 s[2:3], vcc
	s_cbranch_execz .LBB43_6
; %bb.5:                                ;   in Loop: Header=BB43_4 Depth=1
	v_lshl_add_u64 v[2:3], v[18:19], 4, s[12:13]
	global_load_dwordx4 v[10:13], v[2:3], off
.LBB43_6:                               ;   in Loop: Header=BB43_4 Depth=1
	s_or_b64 exec, exec, s[2:3]
	v_lshl_add_u64 v[20:21], v[18:19], 0, s[18:19]
	v_cmp_gt_u64_e64 s[2:3], s[22:23], v[20:21]
	v_mov_b64_e32 v[2:3], 0
	s_and_saveexec_b64 s[4:5], s[2:3]
	s_cbranch_execz .LBB43_8
; %bb.7:                                ;   in Loop: Header=BB43_4 Depth=1
	v_lshl_add_u64 v[2:3], v[20:21], 4, s[12:13]
	global_load_dwordx4 v[2:5], v[2:3], off
.LBB43_8:                               ;   in Loop: Header=BB43_4 Depth=1
	s_or_b64 exec, exec, s[4:5]
	v_lshl_add_u64 v[22:23], v[18:19], 0, s[24:25]
	v_cmp_gt_u64_e64 s[4:5], s[22:23], v[22:23]
	v_mov_b64_e32 v[8:9], 0
	v_mov_b64_e32 v[16:17], 0
	;; [unrolled: 1-line block ×3, first 2 shown]
	s_and_saveexec_b64 s[6:7], s[4:5]
	s_cbranch_execz .LBB43_10
; %bb.9:                                ;   in Loop: Header=BB43_4 Depth=1
	v_lshl_add_u64 v[6:7], v[22:23], 4, s[12:13]
	global_load_dwordx4 v[14:17], v[6:7], off
.LBB43_10:                              ;   in Loop: Header=BB43_4 Depth=1
	s_or_b64 exec, exec, s[6:7]
	v_lshl_add_u64 v[24:25], v[18:19], 0, s[26:27]
	v_cmp_gt_u64_e64 s[6:7], s[22:23], v[24:25]
	v_mov_b64_e32 v[6:7], 0
	s_and_saveexec_b64 s[30:31], s[6:7]
	s_cbranch_execnz .LBB43_15
; %bb.11:                               ;   in Loop: Header=BB43_4 Depth=1
	s_or_b64 exec, exec, s[30:31]
	s_and_saveexec_b64 s[30:31], vcc
	s_cbranch_execnz .LBB43_16
.LBB43_12:                              ;   in Loop: Header=BB43_4 Depth=1
	s_or_b64 exec, exec, s[30:31]
	s_and_saveexec_b64 s[30:31], s[2:3]
	s_cbranch_execnz .LBB43_17
.LBB43_13:                              ;   in Loop: Header=BB43_4 Depth=1
	s_or_b64 exec, exec, s[30:31]
	s_and_saveexec_b64 s[2:3], s[4:5]
	s_cbranch_execnz .LBB43_18
.LBB43_14:                              ;   in Loop: Header=BB43_4 Depth=1
	s_or_b64 exec, exec, s[2:3]
	s_and_saveexec_b64 s[2:3], s[6:7]
	s_cbranch_execz .LBB43_3
	s_branch .LBB43_19
.LBB43_15:                              ;   in Loop: Header=BB43_4 Depth=1
	v_lshl_add_u64 v[6:7], v[24:25], 4, s[12:13]
	global_load_dwordx4 v[6:9], v[6:7], off
	s_or_b64 exec, exec, s[30:31]
	s_and_saveexec_b64 s[30:31], vcc
	s_cbranch_execz .LBB43_12
.LBB43_16:                              ;   in Loop: Header=BB43_4 Depth=1
	s_waitcnt vmcnt(0)
	v_mul_f64 v[26:27], s[10:11], v[12:13]
	v_mul_f64 v[28:29], s[10:11], v[10:11]
	v_lshl_add_u64 v[18:19], v[18:19], 4, s[14:15]
	v_fma_f64 v[26:27], s[8:9], v[10:11], -v[26:27]
	v_fmac_f64_e32 v[28:29], s[8:9], v[12:13]
	global_store_dwordx4 v[18:19], v[26:29], off
	s_or_b64 exec, exec, s[30:31]
	s_and_saveexec_b64 s[30:31], s[2:3]
	s_cbranch_execz .LBB43_13
.LBB43_17:                              ;   in Loop: Header=BB43_4 Depth=1
	s_waitcnt vmcnt(0)
	v_mul_f64 v[10:11], s[10:11], v[4:5]
	v_mul_f64 v[12:13], s[10:11], v[2:3]
	v_fma_f64 v[10:11], s[8:9], v[2:3], -v[10:11]
	v_fmac_f64_e32 v[12:13], s[8:9], v[4:5]
	v_lshl_add_u64 v[2:3], v[20:21], 4, s[14:15]
	global_store_dwordx4 v[2:3], v[10:13], off
	s_or_b64 exec, exec, s[30:31]
	s_and_saveexec_b64 s[2:3], s[4:5]
	s_cbranch_execz .LBB43_14
.LBB43_18:                              ;   in Loop: Header=BB43_4 Depth=1
	s_waitcnt vmcnt(0)
	v_mul_f64 v[2:3], s[10:11], v[16:17]
	v_mul_f64 v[4:5], s[10:11], v[14:15]
	v_fma_f64 v[2:3], s[8:9], v[14:15], -v[2:3]
	v_fmac_f64_e32 v[4:5], s[8:9], v[16:17]
	v_lshl_add_u64 v[10:11], v[22:23], 4, s[14:15]
	global_store_dwordx4 v[10:11], v[2:5], off
	s_or_b64 exec, exec, s[2:3]
	s_and_saveexec_b64 s[2:3], s[6:7]
	s_cbranch_execz .LBB43_3
.LBB43_19:                              ;   in Loop: Header=BB43_4 Depth=1
	s_waitcnt vmcnt(0)
	v_mul_f64 v[2:3], s[10:11], v[8:9]
	v_mul_f64 v[4:5], s[10:11], v[6:7]
	v_fma_f64 v[2:3], s[8:9], v[6:7], -v[2:3]
	v_fmac_f64_e32 v[4:5], s[8:9], v[8:9]
	v_lshl_add_u64 v[6:7], v[24:25], 4, s[14:15]
	global_store_dwordx4 v[6:7], v[2:5], off
	s_branch .LBB43_3
.LBB43_20:
	s_mov_b64 s[2:3], 0
.LBB43_21:
	s_andn2_b64 vcc, exec, s[2:3]
	s_cbranch_vccnz .LBB43_25
; %bb.22:
	v_mov_b64_e32 v[4:5], 0x10000
	v_cmp_lt_i64_e32 vcc, s[16:17], v[4:5]
	s_and_b64 s[4:5], vcc, exec
	v_mov_b32_e32 v3, 0
	s_cselect_b32 s5, s17, 0
	s_cselect_b32 s4, s16, 0x10000
	v_lshlrev_b32_e32 v2, 2, v0
	s_mov_b32 s3, 0
	v_cmp_gt_i64_e32 vcc, s[4:5], v[2:3]
	s_and_saveexec_b64 s[6:7], vcc
	s_cbranch_execz .LBB43_25
; %bb.23:
	s_load_dword s0, s[0:1], 0xc6c
	v_mov_b32_e32 v1, v3
	v_lshlrev_b32_e32 v2, 6, v0
	s_waitcnt lgkmcnt(0)
	s_and_b32 s2, s0, 0xffff
	s_lshl_b32 s6, s2, 6
	s_mov_b64 s[0:1], 0
.LBB43_24:                              ; =>This Inner Loop Header: Depth=1
	v_lshl_add_u64 v[20:21], s[12:13], 0, v[2:3]
	global_load_dwordx4 v[4:7], v[20:21], off
	global_load_dwordx4 v[8:11], v[20:21], off offset:16
	global_load_dwordx4 v[12:15], v[20:21], off offset:32
	;; [unrolled: 1-line block ×3, first 2 shown]
	v_lshl_add_u64 v[22:23], s[14:15], 0, v[2:3]
	s_add_u32 s14, s14, s6
	v_lshl_add_u64 v[0:1], v[0:1], 0, s[2:3]
	s_addc_u32 s15, s15, 0
	v_lshlrev_b64 v[20:21], 2, v[0:1]
	s_add_u32 s12, s12, s6
	v_cmp_le_i64_e32 vcc, s[4:5], v[20:21]
	s_addc_u32 s13, s13, 0
	s_or_b64 s[0:1], vcc, s[0:1]
	s_waitcnt vmcnt(3)
	v_mul_f64 v[24:25], s[10:11], v[6:7]
	v_mul_f64 v[20:21], s[8:9], v[6:7]
	s_waitcnt vmcnt(2)
	v_mul_f64 v[26:27], s[10:11], v[10:11]
	v_mul_f64 v[6:7], s[8:9], v[10:11]
	;; [unrolled: 3-line block ×4, first 2 shown]
	v_fma_f64 v[18:19], s[8:9], v[4:5], -v[24:25]
	v_fmac_f64_e32 v[20:21], s[10:11], v[4:5]
	v_fma_f64 v[4:5], s[8:9], v[8:9], -v[26:27]
	v_fmac_f64_e32 v[6:7], s[10:11], v[8:9]
	;; [unrolled: 2-line block ×4, first 2 shown]
	global_store_dwordx4 v[22:23], v[18:21], off
	global_store_dwordx4 v[22:23], v[4:7], off offset:16
	global_store_dwordx4 v[22:23], v[8:11], off offset:32
	;; [unrolled: 1-line block ×3, first 2 shown]
	s_andn2_b64 exec, exec, s[0:1]
	s_cbranch_execnz .LBB43_24
.LBB43_25:
	s_endpgm
	.section	.rodata,"a",@progbits
	.p2align	6, 0x0
	.amdhsa_kernel _ZN2at6native12_GLOBAL__N_125multi_tensor_apply_kernelINS1_18TensorListMetadataILi2EEENS1_21BinaryOpScalarFunctorIN3c107complexIdEELi2ELi1ELi1EEEJSt10multipliesIS8_ES8_EEEvT_T0_DpT1_
		.amdhsa_group_segment_fixed_size 0
		.amdhsa_private_segment_fixed_size 0
		.amdhsa_kernarg_size 3424
		.amdhsa_user_sgpr_count 2
		.amdhsa_user_sgpr_dispatch_ptr 0
		.amdhsa_user_sgpr_queue_ptr 0
		.amdhsa_user_sgpr_kernarg_segment_ptr 1
		.amdhsa_user_sgpr_dispatch_id 0
		.amdhsa_user_sgpr_kernarg_preload_length 0
		.amdhsa_user_sgpr_kernarg_preload_offset 0
		.amdhsa_user_sgpr_private_segment_size 0
		.amdhsa_uses_dynamic_stack 0
		.amdhsa_enable_private_segment 0
		.amdhsa_system_sgpr_workgroup_id_x 1
		.amdhsa_system_sgpr_workgroup_id_y 0
		.amdhsa_system_sgpr_workgroup_id_z 0
		.amdhsa_system_sgpr_workgroup_info 0
		.amdhsa_system_vgpr_workitem_id 0
		.amdhsa_next_free_vgpr 32
		.amdhsa_next_free_sgpr 34
		.amdhsa_accum_offset 32
		.amdhsa_reserve_vcc 1
		.amdhsa_float_round_mode_32 0
		.amdhsa_float_round_mode_16_64 0
		.amdhsa_float_denorm_mode_32 3
		.amdhsa_float_denorm_mode_16_64 3
		.amdhsa_dx10_clamp 1
		.amdhsa_ieee_mode 1
		.amdhsa_fp16_overflow 0
		.amdhsa_tg_split 0
		.amdhsa_exception_fp_ieee_invalid_op 0
		.amdhsa_exception_fp_denorm_src 0
		.amdhsa_exception_fp_ieee_div_zero 0
		.amdhsa_exception_fp_ieee_overflow 0
		.amdhsa_exception_fp_ieee_underflow 0
		.amdhsa_exception_fp_ieee_inexact 0
		.amdhsa_exception_int_div_zero 0
	.end_amdhsa_kernel
	.section	.text._ZN2at6native12_GLOBAL__N_125multi_tensor_apply_kernelINS1_18TensorListMetadataILi2EEENS1_21BinaryOpScalarFunctorIN3c107complexIdEELi2ELi1ELi1EEEJSt10multipliesIS8_ES8_EEEvT_T0_DpT1_,"axG",@progbits,_ZN2at6native12_GLOBAL__N_125multi_tensor_apply_kernelINS1_18TensorListMetadataILi2EEENS1_21BinaryOpScalarFunctorIN3c107complexIdEELi2ELi1ELi1EEEJSt10multipliesIS8_ES8_EEEvT_T0_DpT1_,comdat
.Lfunc_end43:
	.size	_ZN2at6native12_GLOBAL__N_125multi_tensor_apply_kernelINS1_18TensorListMetadataILi2EEENS1_21BinaryOpScalarFunctorIN3c107complexIdEELi2ELi1ELi1EEEJSt10multipliesIS8_ES8_EEEvT_T0_DpT1_, .Lfunc_end43-_ZN2at6native12_GLOBAL__N_125multi_tensor_apply_kernelINS1_18TensorListMetadataILi2EEENS1_21BinaryOpScalarFunctorIN3c107complexIdEELi2ELi1ELi1EEEJSt10multipliesIS8_ES8_EEEvT_T0_DpT1_
                                        ; -- End function
	.set _ZN2at6native12_GLOBAL__N_125multi_tensor_apply_kernelINS1_18TensorListMetadataILi2EEENS1_21BinaryOpScalarFunctorIN3c107complexIdEELi2ELi1ELi1EEEJSt10multipliesIS8_ES8_EEEvT_T0_DpT1_.num_vgpr, 32
	.set _ZN2at6native12_GLOBAL__N_125multi_tensor_apply_kernelINS1_18TensorListMetadataILi2EEENS1_21BinaryOpScalarFunctorIN3c107complexIdEELi2ELi1ELi1EEEJSt10multipliesIS8_ES8_EEEvT_T0_DpT1_.num_agpr, 0
	.set _ZN2at6native12_GLOBAL__N_125multi_tensor_apply_kernelINS1_18TensorListMetadataILi2EEENS1_21BinaryOpScalarFunctorIN3c107complexIdEELi2ELi1ELi1EEEJSt10multipliesIS8_ES8_EEEvT_T0_DpT1_.numbered_sgpr, 34
	.set _ZN2at6native12_GLOBAL__N_125multi_tensor_apply_kernelINS1_18TensorListMetadataILi2EEENS1_21BinaryOpScalarFunctorIN3c107complexIdEELi2ELi1ELi1EEEJSt10multipliesIS8_ES8_EEEvT_T0_DpT1_.num_named_barrier, 0
	.set _ZN2at6native12_GLOBAL__N_125multi_tensor_apply_kernelINS1_18TensorListMetadataILi2EEENS1_21BinaryOpScalarFunctorIN3c107complexIdEELi2ELi1ELi1EEEJSt10multipliesIS8_ES8_EEEvT_T0_DpT1_.private_seg_size, 0
	.set _ZN2at6native12_GLOBAL__N_125multi_tensor_apply_kernelINS1_18TensorListMetadataILi2EEENS1_21BinaryOpScalarFunctorIN3c107complexIdEELi2ELi1ELi1EEEJSt10multipliesIS8_ES8_EEEvT_T0_DpT1_.uses_vcc, 1
	.set _ZN2at6native12_GLOBAL__N_125multi_tensor_apply_kernelINS1_18TensorListMetadataILi2EEENS1_21BinaryOpScalarFunctorIN3c107complexIdEELi2ELi1ELi1EEEJSt10multipliesIS8_ES8_EEEvT_T0_DpT1_.uses_flat_scratch, 0
	.set _ZN2at6native12_GLOBAL__N_125multi_tensor_apply_kernelINS1_18TensorListMetadataILi2EEENS1_21BinaryOpScalarFunctorIN3c107complexIdEELi2ELi1ELi1EEEJSt10multipliesIS8_ES8_EEEvT_T0_DpT1_.has_dyn_sized_stack, 0
	.set _ZN2at6native12_GLOBAL__N_125multi_tensor_apply_kernelINS1_18TensorListMetadataILi2EEENS1_21BinaryOpScalarFunctorIN3c107complexIdEELi2ELi1ELi1EEEJSt10multipliesIS8_ES8_EEEvT_T0_DpT1_.has_recursion, 0
	.set _ZN2at6native12_GLOBAL__N_125multi_tensor_apply_kernelINS1_18TensorListMetadataILi2EEENS1_21BinaryOpScalarFunctorIN3c107complexIdEELi2ELi1ELi1EEEJSt10multipliesIS8_ES8_EEEvT_T0_DpT1_.has_indirect_call, 0
	.section	.AMDGPU.csdata,"",@progbits
; Kernel info:
; codeLenInByte = 1180
; TotalNumSgprs: 40
; NumVgprs: 32
; NumAgprs: 0
; TotalNumVgprs: 32
; ScratchSize: 0
; MemoryBound: 1
; FloatMode: 240
; IeeeMode: 1
; LDSByteSize: 0 bytes/workgroup (compile time only)
; SGPRBlocks: 4
; VGPRBlocks: 3
; NumSGPRsForWavesPerEU: 40
; NumVGPRsForWavesPerEU: 32
; AccumOffset: 32
; Occupancy: 8
; WaveLimiterHint : 0
; COMPUTE_PGM_RSRC2:SCRATCH_EN: 0
; COMPUTE_PGM_RSRC2:USER_SGPR: 2
; COMPUTE_PGM_RSRC2:TRAP_HANDLER: 0
; COMPUTE_PGM_RSRC2:TGID_X_EN: 1
; COMPUTE_PGM_RSRC2:TGID_Y_EN: 0
; COMPUTE_PGM_RSRC2:TGID_Z_EN: 0
; COMPUTE_PGM_RSRC2:TIDIG_COMP_CNT: 0
; COMPUTE_PGM_RSRC3_GFX90A:ACCUM_OFFSET: 7
; COMPUTE_PGM_RSRC3_GFX90A:TG_SPLIT: 0
	.section	.text._ZN2at6native12_GLOBAL__N_125multi_tensor_apply_kernelINS1_18TensorListMetadataILi2EEENS1_21BinaryOpScalarFunctorIN3c107complexIfEELi2ELi1ELi1EEEJSt10multipliesIS8_ES8_EEEvT_T0_DpT1_,"axG",@progbits,_ZN2at6native12_GLOBAL__N_125multi_tensor_apply_kernelINS1_18TensorListMetadataILi2EEENS1_21BinaryOpScalarFunctorIN3c107complexIfEELi2ELi1ELi1EEEJSt10multipliesIS8_ES8_EEEvT_T0_DpT1_,comdat
	.globl	_ZN2at6native12_GLOBAL__N_125multi_tensor_apply_kernelINS1_18TensorListMetadataILi2EEENS1_21BinaryOpScalarFunctorIN3c107complexIfEELi2ELi1ELi1EEEJSt10multipliesIS8_ES8_EEEvT_T0_DpT1_ ; -- Begin function _ZN2at6native12_GLOBAL__N_125multi_tensor_apply_kernelINS1_18TensorListMetadataILi2EEENS1_21BinaryOpScalarFunctorIN3c107complexIfEELi2ELi1ELi1EEEJSt10multipliesIS8_ES8_EEEvT_T0_DpT1_
	.p2align	8
	.type	_ZN2at6native12_GLOBAL__N_125multi_tensor_apply_kernelINS1_18TensorListMetadataILi2EEENS1_21BinaryOpScalarFunctorIN3c107complexIfEELi2ELi1ELi1EEEJSt10multipliesIS8_ES8_EEEvT_T0_DpT1_,@function
_ZN2at6native12_GLOBAL__N_125multi_tensor_apply_kernelINS1_18TensorListMetadataILi2EEENS1_21BinaryOpScalarFunctorIN3c107complexIfEELi2ELi1ELi1EEEJSt10multipliesIS8_ES8_EEEvT_T0_DpT1_: ; @_ZN2at6native12_GLOBAL__N_125multi_tensor_apply_kernelINS1_18TensorListMetadataILi2EEENS1_21BinaryOpScalarFunctorIN3c107complexIfEELi2ELi1ELi1EEEJSt10multipliesIS8_ES8_EEEvT_T0_DpT1_
; %bb.0:
	v_mov_b32_e32 v1, s2
	global_load_ubyte v1, v1, s[0:1] offset:1536
	s_add_u32 s3, s0, s2
	s_mul_hi_u32 s4, s2, 3
	s_mul_i32 s2, s2, 3
	s_addc_u32 s5, s1, 0
	s_add_u32 s2, s3, s2
	s_addc_u32 s3, s5, s4
	s_load_dword s6, s[2:3], 0x740
	s_mov_b32 s19, 0
	s_mov_b32 s21, s19
	s_waitcnt lgkmcnt(0)
	s_ashr_i32 s7, s6, 31
	s_lshl_b64 s[16:17], s[6:7], 19
	s_waitcnt vmcnt(0)
	v_readfirstlane_b32 s2, v1
	s_lshl_b32 s10, s2, 3
	s_load_dwordx2 s[2:3], s[0:1], s10 offset:0x0
	s_load_dwordx2 s[8:9], s[0:1], 0xc50
	s_load_dwordx2 s[22:23], s[0:1], s10 offset:0x400
	s_load_dwordx2 s[4:5], s[0:1], s10 offset:0x200
	s_waitcnt lgkmcnt(0)
	s_add_u32 s10, s2, s16
	s_addc_u32 s11, s3, s17
	s_and_b32 s18, s10, 31
	s_add_u32 s12, s4, s16
	s_addc_u32 s13, s5, s17
	s_and_b32 s20, s12, 31
	s_lshl_b64 s[6:7], s[6:7], 16
	s_sub_u32 s14, s22, s6
	s_subb_u32 s15, s23, s7
	s_and_b32 s6, s22, 3
	s_mov_b32 s7, s19
	s_or_b64 s[6:7], s[20:21], s[6:7]
	s_or_b64 s[6:7], s[6:7], s[18:19]
	s_cmp_eq_u64 s[6:7], 0
	s_mov_b64 s[6:7], -1
	s_cbranch_scc1 .LBB44_19
; %bb.1:
	v_cmp_lt_i64_e64 s[6:7], s[14:15], 1
	s_and_b64 vcc, exec, s[6:7]
	s_cbranch_vccnz .LBB44_18
; %bb.2:
	s_load_dword s6, s[0:1], 0xc64
	v_mov_b64_e32 v[2:3], 0x10000
	v_cmp_lt_i64_e32 vcc, s[14:15], v[2:3]
	s_and_b64 s[20:21], vcc, exec
	s_mov_b32 s7, 0
	s_cselect_b32 s21, s15, 0
	s_cselect_b32 s20, s14, 0x10000
	s_waitcnt lgkmcnt(0)
	s_and_b32 s6, s6, 0xffff
	v_cmp_lt_u64_e32 vcc, s[14:15], v[2:3]
	v_mov_b32_e32 v1, 0
	s_and_b64 s[22:23], vcc, exec
	s_mul_i32 s30, s6, 3
	s_mov_b32 s31, s7
	s_cselect_b32 s23, s15, 0
	s_cselect_b32 s22, s14, 0x10000
	v_lshlrev_b32_e32 v12, 3, v0
	v_mov_b32_e32 v13, v1
	v_lshl_add_u64 v[10:11], s[30:31], 0, v[0:1]
	s_lshl_b32 s30, s6, 4
	v_lshl_add_u64 v[18:19], v[0:1], 0, s[6:7]
	s_mov_b64 s[18:19], src_private_base
	s_lshl_b32 s28, s6, 1
	s_mov_b32 s29, s7
	v_mad_u64_u32 v[8:9], s[34:35], s6, 24, v[12:13]
	v_lshl_add_u64 v[14:15], s[30:31], 0, v[12:13]
	v_lshlrev_b32_e32 v22, 3, v18
	v_mov_b32_e32 v23, v1
	s_lshl_b32 s18, s6, 2
	s_mov_b32 s24, s9
	s_mov_b32 s25, s8
	v_lshl_add_u64 v[2:3], s[2:3], 0, v[12:13]
	s_lshl_b32 s26, s6, 5
	s_mov_b32 s27, s7
	v_lshl_add_u64 v[4:5], s[4:5], 0, v[12:13]
	v_lshl_add_u64 v[6:7], s[2:3], 0, v[8:9]
	;; [unrolled: 1-line block ×8, first 2 shown]
	s_mov_b64 s[28:29], 0
	v_mov_b32_e32 v34, v1
	v_mov_b32_e32 v35, v1
	;; [unrolled: 1-line block ×3, first 2 shown]
	s_branch .LBB44_4
.LBB44_3:                               ;   in Loop: Header=BB44_4 Depth=1
	s_or_b64 exec, exec, s[2:3]
	s_add_u32 s28, s28, s18
	s_addc_u32 s29, s29, 0
	v_mov_b64_e32 v[24:25], s[20:21]
	v_cmp_ge_i64_e32 vcc, s[28:29], v[24:25]
	v_lshl_add_u64 v[2:3], v[2:3], 0, s[26:27]
	v_lshl_add_u64 v[4:5], v[4:5], 0, s[26:27]
	;; [unrolled: 1-line block ×8, first 2 shown]
	s_cbranch_vccnz .LBB44_18
.LBB44_4:                               ; =>This Inner Loop Header: Depth=1
	v_lshl_add_u64 v[24:25], v[0:1], 0, s[28:29]
	v_cmp_gt_u64_e32 vcc, s[22:23], v[24:25]
	v_mov_b32_e32 v24, 0
	v_mov_b32_e32 v25, 0
	s_and_saveexec_b64 s[2:3], vcc
	s_cbranch_execz .LBB44_6
; %bb.5:                                ;   in Loop: Header=BB44_4 Depth=1
	v_lshl_add_u64 v[24:25], v[2:3], 0, s[16:17]
	global_load_dwordx2 v[24:25], v[24:25], off
.LBB44_6:                               ;   in Loop: Header=BB44_4 Depth=1
	s_or_b64 exec, exec, s[2:3]
	v_lshl_add_u64 v[26:27], v[18:19], 0, s[28:29]
	v_cmp_gt_u64_e64 s[2:3], s[22:23], v[26:27]
	v_mov_b32_e32 v26, 0
	v_mov_b32_e32 v27, 0
	s_and_saveexec_b64 s[4:5], s[2:3]
	s_cbranch_execz .LBB44_8
; %bb.7:                                ;   in Loop: Header=BB44_4 Depth=1
	v_lshl_add_u64 v[26:27], v[20:21], 0, s[16:17]
	global_load_dwordx2 v[26:27], v[26:27], off
.LBB44_8:                               ;   in Loop: Header=BB44_4 Depth=1
	s_or_b64 exec, exec, s[4:5]
	v_lshl_add_u64 v[28:29], v[16:17], 0, s[28:29]
	v_cmp_gt_u64_e64 s[4:5], s[22:23], v[28:29]
	v_mov_b64_e32 v[28:29], 0
	s_and_saveexec_b64 s[6:7], s[4:5]
	s_cbranch_execz .LBB44_10
; %bb.9:                                ;   in Loop: Header=BB44_4 Depth=1
	v_lshl_add_u64 v[28:29], v[12:13], 0, s[16:17]
	global_load_dwordx2 v[28:29], v[28:29], off
.LBB44_10:                              ;   in Loop: Header=BB44_4 Depth=1
	s_or_b64 exec, exec, s[6:7]
	v_lshl_add_u64 v[30:31], v[10:11], 0, s[28:29]
	v_lshl_add_u64 v[36:37], v[6:7], 0, s[16:17]
	v_mov_b32_e32 v33, s19
	v_cmp_gt_u64_e64 s[6:7], s[22:23], v[30:31]
	scratch_store_dwordx2 off, v[34:35], off
	s_nop 0
	v_cndmask_b32_e64 v31, v33, v37, s[6:7]
	v_cndmask_b32_e64 v30, v32, v36, s[6:7]
	flat_load_dwordx2 v[36:37], v[30:31]
	s_waitcnt vmcnt(0) lgkmcnt(0)
	v_pk_mul_f32 v[38:39], s[24:25], v[36:37] op_sel:[0,1]
	s_nop 0
	v_pk_fma_f32 v[30:31], v[36:37], s[8:9], v[38:39] neg_lo:[0,0,1] neg_hi:[0,0,1]
	v_pk_fma_f32 v[36:37], v[36:37], s[8:9], v[38:39] op_sel_hi:[0,1,1]
	v_mov_b32_e32 v31, v37
	scratch_store_dwordx2 off, v[30:31], off
	s_and_saveexec_b64 s[30:31], vcc
	s_cbranch_execnz .LBB44_14
; %bb.11:                               ;   in Loop: Header=BB44_4 Depth=1
	s_or_b64 exec, exec, s[30:31]
	s_and_saveexec_b64 s[30:31], s[2:3]
	s_cbranch_execnz .LBB44_15
.LBB44_12:                              ;   in Loop: Header=BB44_4 Depth=1
	s_or_b64 exec, exec, s[30:31]
	s_and_saveexec_b64 s[2:3], s[4:5]
	s_cbranch_execnz .LBB44_16
.LBB44_13:                              ;   in Loop: Header=BB44_4 Depth=1
	s_or_b64 exec, exec, s[2:3]
	s_and_saveexec_b64 s[2:3], s[6:7]
	s_cbranch_execz .LBB44_3
	s_branch .LBB44_17
.LBB44_14:                              ;   in Loop: Header=BB44_4 Depth=1
	v_pk_mul_f32 v[38:39], v[24:25], s[24:25] op_sel:[1,0]
	v_lshl_add_u64 v[36:37], v[4:5], 0, s[16:17]
	v_pk_fma_f32 v[40:41], v[24:25], s[8:9], v[38:39] neg_lo:[0,0,1] neg_hi:[0,0,1]
	v_pk_fma_f32 v[24:25], v[24:25], s[8:9], v[38:39] op_sel_hi:[0,1,1]
	v_mov_b32_e32 v41, v25
	global_store_dwordx2 v[36:37], v[40:41], off
	s_or_b64 exec, exec, s[30:31]
	s_and_saveexec_b64 s[30:31], s[2:3]
	s_cbranch_execz .LBB44_12
.LBB44_15:                              ;   in Loop: Header=BB44_4 Depth=1
	v_pk_mul_f32 v[24:25], v[26:27], s[24:25] op_sel:[1,0]
	s_nop 0
	v_pk_fma_f32 v[36:37], v[26:27], s[8:9], v[24:25] neg_lo:[0,0,1] neg_hi:[0,0,1]
	v_pk_fma_f32 v[24:25], v[26:27], s[8:9], v[24:25] op_sel_hi:[0,1,1]
	v_mov_b32_e32 v37, v25
	v_lshl_add_u64 v[24:25], v[22:23], 0, s[16:17]
	global_store_dwordx2 v[24:25], v[36:37], off
	s_or_b64 exec, exec, s[30:31]
	s_and_saveexec_b64 s[2:3], s[4:5]
	s_cbranch_execz .LBB44_13
.LBB44_16:                              ;   in Loop: Header=BB44_4 Depth=1
	v_pk_mul_f32 v[24:25], s[24:25], v[28:29] op_sel:[0,1]
	s_nop 0
	v_pk_fma_f32 v[26:27], v[28:29], s[8:9], v[24:25] neg_lo:[0,0,1] neg_hi:[0,0,1]
	v_pk_fma_f32 v[24:25], v[28:29], s[8:9], v[24:25] op_sel_hi:[0,1,1]
	v_mov_b32_e32 v27, v25
	v_lshl_add_u64 v[24:25], v[14:15], 0, s[16:17]
	global_store_dwordx2 v[24:25], v[26:27], off
	s_or_b64 exec, exec, s[2:3]
	s_and_saveexec_b64 s[2:3], s[6:7]
	s_cbranch_execz .LBB44_3
.LBB44_17:                              ;   in Loop: Header=BB44_4 Depth=1
	v_lshl_add_u64 v[24:25], v[8:9], 0, s[16:17]
	global_store_dwordx2 v[24:25], v[30:31], off
	s_branch .LBB44_3
.LBB44_18:
	s_mov_b64 s[6:7], 0
.LBB44_19:
	s_andn2_b64 vcc, exec, s[6:7]
	s_cbranch_vccnz .LBB44_24
; %bb.20:
	v_mov_b64_e32 v[2:3], 0x10000
	v_cmp_lt_i64_e32 vcc, s[14:15], v[2:3]
	s_and_b64 s[4:5], vcc, exec
	v_mov_b32_e32 v7, 0
	s_cselect_b32 s5, s15, 0
	s_cselect_b32 s4, s14, 0x10000
	v_lshlrev_b32_e32 v6, 2, v0
	s_mov_b32 s3, 0
	v_cmp_gt_i64_e32 vcc, s[4:5], v[6:7]
	s_and_saveexec_b64 s[6:7], vcc
	s_cbranch_execz .LBB44_24
; %bb.21:
	s_load_dword s2, s[0:1], 0xc64
	v_mov_b32_e32 v1, v7
	s_mov_b32 s0, s9
	s_mov_b32 s1, s8
	v_lshlrev_b32_e32 v6, 5, v0
	s_waitcnt lgkmcnt(0)
	s_and_b32 s2, s2, 0xffff
	s_lshl_b32 s14, s2, 5
	s_mov_b64 s[6:7], 0
.LBB44_22:                              ; =>This Inner Loop Header: Depth=1
	v_lshl_add_u64 v[2:3], s[10:11], 0, v[6:7]
	global_load_dwordx4 v[8:11], v[2:3], off offset:16
	global_load_dwordx4 v[12:15], v[2:3], off
	v_lshl_add_u64 v[16:17], s[12:13], 0, v[6:7]
	v_lshl_add_u64 v[0:1], v[0:1], 0, s[2:3]
	s_add_u32 s12, s12, s14
	v_lshlrev_b64 v[2:3], 2, v[0:1]
	s_addc_u32 s13, s13, 0
	s_add_u32 s10, s10, s14
	v_cmp_le_i64_e32 vcc, s[4:5], v[2:3]
	s_addc_u32 s11, s11, 0
	s_or_b64 s[6:7], vcc, s[6:7]
	s_waitcnt vmcnt(1)
	v_pk_mul_f32 v[2:3], s[0:1], v[10:11] op_sel:[0,1]
	s_waitcnt vmcnt(0)
	v_mov_b32_e32 v20, v15
	v_pk_mul_f32 v[22:23], v[8:9], s[0:1] op_sel:[1,0]
	v_pk_mul_f32 v[18:19], v[12:13], s[0:1] op_sel:[1,0]
	v_pk_fma_f32 v[4:5], v[10:11], s[8:9], v[2:3] neg_lo:[0,0,1] neg_hi:[0,0,1]
	v_pk_fma_f32 v[24:25], v[10:11], s[8:9], v[2:3] op_sel_hi:[0,1,1]
	v_pk_mul_f32 v[20:21], v[20:21], s[0:1] op_sel_hi:[0,1]
	v_pk_fma_f32 v[2:3], v[8:9], s[8:9], v[22:23] neg_lo:[0,0,1] neg_hi:[0,0,1]
	v_pk_fma_f32 v[8:9], v[8:9], s[8:9], v[22:23] op_sel_hi:[0,1,1]
	v_pk_fma_f32 v[10:11], v[12:13], s[8:9], v[18:19] neg_lo:[0,0,1] neg_hi:[0,0,1]
	v_pk_fma_f32 v[18:19], v[12:13], s[8:9], v[18:19] op_sel_hi:[0,1,1]
	v_mov_b32_e32 v5, v25
	v_pk_fma_f32 v[12:13], v[14:15], s[8:9], v[20:21] neg_lo:[0,0,1] neg_hi:[0,0,1]
	v_pk_fma_f32 v[14:15], v[14:15], s[8:9], v[20:21] op_sel_hi:[0,1,1]
	v_mov_b32_e32 v3, v9
	v_mov_b32_e32 v11, v19
	;; [unrolled: 1-line block ×3, first 2 shown]
	global_store_dwordx4 v[16:17], v[2:5], off offset:16
	global_store_dwordx4 v[16:17], v[10:13], off
	s_andn2_b64 exec, exec, s[6:7]
	s_cbranch_execnz .LBB44_22
; %bb.23:
	s_or_b64 exec, exec, s[6:7]
	scratch_store_dwordx2 off, v[4:5], off
.LBB44_24:
	s_endpgm
	.section	.rodata,"a",@progbits
	.p2align	6, 0x0
	.amdhsa_kernel _ZN2at6native12_GLOBAL__N_125multi_tensor_apply_kernelINS1_18TensorListMetadataILi2EEENS1_21BinaryOpScalarFunctorIN3c107complexIfEELi2ELi1ELi1EEEJSt10multipliesIS8_ES8_EEEvT_T0_DpT1_
		.amdhsa_group_segment_fixed_size 0
		.amdhsa_private_segment_fixed_size 16
		.amdhsa_kernarg_size 3416
		.amdhsa_user_sgpr_count 2
		.amdhsa_user_sgpr_dispatch_ptr 0
		.amdhsa_user_sgpr_queue_ptr 0
		.amdhsa_user_sgpr_kernarg_segment_ptr 1
		.amdhsa_user_sgpr_dispatch_id 0
		.amdhsa_user_sgpr_kernarg_preload_length 0
		.amdhsa_user_sgpr_kernarg_preload_offset 0
		.amdhsa_user_sgpr_private_segment_size 0
		.amdhsa_uses_dynamic_stack 0
		.amdhsa_enable_private_segment 1
		.amdhsa_system_sgpr_workgroup_id_x 1
		.amdhsa_system_sgpr_workgroup_id_y 0
		.amdhsa_system_sgpr_workgroup_id_z 0
		.amdhsa_system_sgpr_workgroup_info 0
		.amdhsa_system_vgpr_workitem_id 0
		.amdhsa_next_free_vgpr 42
		.amdhsa_next_free_sgpr 36
		.amdhsa_accum_offset 44
		.amdhsa_reserve_vcc 1
		.amdhsa_float_round_mode_32 0
		.amdhsa_float_round_mode_16_64 0
		.amdhsa_float_denorm_mode_32 3
		.amdhsa_float_denorm_mode_16_64 3
		.amdhsa_dx10_clamp 1
		.amdhsa_ieee_mode 1
		.amdhsa_fp16_overflow 0
		.amdhsa_tg_split 0
		.amdhsa_exception_fp_ieee_invalid_op 0
		.amdhsa_exception_fp_denorm_src 0
		.amdhsa_exception_fp_ieee_div_zero 0
		.amdhsa_exception_fp_ieee_overflow 0
		.amdhsa_exception_fp_ieee_underflow 0
		.amdhsa_exception_fp_ieee_inexact 0
		.amdhsa_exception_int_div_zero 0
	.end_amdhsa_kernel
	.section	.text._ZN2at6native12_GLOBAL__N_125multi_tensor_apply_kernelINS1_18TensorListMetadataILi2EEENS1_21BinaryOpScalarFunctorIN3c107complexIfEELi2ELi1ELi1EEEJSt10multipliesIS8_ES8_EEEvT_T0_DpT1_,"axG",@progbits,_ZN2at6native12_GLOBAL__N_125multi_tensor_apply_kernelINS1_18TensorListMetadataILi2EEENS1_21BinaryOpScalarFunctorIN3c107complexIfEELi2ELi1ELi1EEEJSt10multipliesIS8_ES8_EEEvT_T0_DpT1_,comdat
.Lfunc_end44:
	.size	_ZN2at6native12_GLOBAL__N_125multi_tensor_apply_kernelINS1_18TensorListMetadataILi2EEENS1_21BinaryOpScalarFunctorIN3c107complexIfEELi2ELi1ELi1EEEJSt10multipliesIS8_ES8_EEEvT_T0_DpT1_, .Lfunc_end44-_ZN2at6native12_GLOBAL__N_125multi_tensor_apply_kernelINS1_18TensorListMetadataILi2EEENS1_21BinaryOpScalarFunctorIN3c107complexIfEELi2ELi1ELi1EEEJSt10multipliesIS8_ES8_EEEvT_T0_DpT1_
                                        ; -- End function
	.set _ZN2at6native12_GLOBAL__N_125multi_tensor_apply_kernelINS1_18TensorListMetadataILi2EEENS1_21BinaryOpScalarFunctorIN3c107complexIfEELi2ELi1ELi1EEEJSt10multipliesIS8_ES8_EEEvT_T0_DpT1_.num_vgpr, 42
	.set _ZN2at6native12_GLOBAL__N_125multi_tensor_apply_kernelINS1_18TensorListMetadataILi2EEENS1_21BinaryOpScalarFunctorIN3c107complexIfEELi2ELi1ELi1EEEJSt10multipliesIS8_ES8_EEEvT_T0_DpT1_.num_agpr, 0
	.set _ZN2at6native12_GLOBAL__N_125multi_tensor_apply_kernelINS1_18TensorListMetadataILi2EEENS1_21BinaryOpScalarFunctorIN3c107complexIfEELi2ELi1ELi1EEEJSt10multipliesIS8_ES8_EEEvT_T0_DpT1_.numbered_sgpr, 36
	.set _ZN2at6native12_GLOBAL__N_125multi_tensor_apply_kernelINS1_18TensorListMetadataILi2EEENS1_21BinaryOpScalarFunctorIN3c107complexIfEELi2ELi1ELi1EEEJSt10multipliesIS8_ES8_EEEvT_T0_DpT1_.num_named_barrier, 0
	.set _ZN2at6native12_GLOBAL__N_125multi_tensor_apply_kernelINS1_18TensorListMetadataILi2EEENS1_21BinaryOpScalarFunctorIN3c107complexIfEELi2ELi1ELi1EEEJSt10multipliesIS8_ES8_EEEvT_T0_DpT1_.private_seg_size, 16
	.set _ZN2at6native12_GLOBAL__N_125multi_tensor_apply_kernelINS1_18TensorListMetadataILi2EEENS1_21BinaryOpScalarFunctorIN3c107complexIfEELi2ELi1ELi1EEEJSt10multipliesIS8_ES8_EEEvT_T0_DpT1_.uses_vcc, 1
	.set _ZN2at6native12_GLOBAL__N_125multi_tensor_apply_kernelINS1_18TensorListMetadataILi2EEENS1_21BinaryOpScalarFunctorIN3c107complexIfEELi2ELi1ELi1EEEJSt10multipliesIS8_ES8_EEEvT_T0_DpT1_.uses_flat_scratch, 0
	.set _ZN2at6native12_GLOBAL__N_125multi_tensor_apply_kernelINS1_18TensorListMetadataILi2EEENS1_21BinaryOpScalarFunctorIN3c107complexIfEELi2ELi1ELi1EEEJSt10multipliesIS8_ES8_EEEvT_T0_DpT1_.has_dyn_sized_stack, 0
	.set _ZN2at6native12_GLOBAL__N_125multi_tensor_apply_kernelINS1_18TensorListMetadataILi2EEENS1_21BinaryOpScalarFunctorIN3c107complexIfEELi2ELi1ELi1EEEJSt10multipliesIS8_ES8_EEEvT_T0_DpT1_.has_recursion, 0
	.set _ZN2at6native12_GLOBAL__N_125multi_tensor_apply_kernelINS1_18TensorListMetadataILi2EEENS1_21BinaryOpScalarFunctorIN3c107complexIfEELi2ELi1ELi1EEEJSt10multipliesIS8_ES8_EEEvT_T0_DpT1_.has_indirect_call, 0
	.section	.AMDGPU.csdata,"",@progbits
; Kernel info:
; codeLenInByte = 1384
; TotalNumSgprs: 42
; NumVgprs: 42
; NumAgprs: 0
; TotalNumVgprs: 42
; ScratchSize: 16
; MemoryBound: 0
; FloatMode: 240
; IeeeMode: 1
; LDSByteSize: 0 bytes/workgroup (compile time only)
; SGPRBlocks: 5
; VGPRBlocks: 5
; NumSGPRsForWavesPerEU: 42
; NumVGPRsForWavesPerEU: 42
; AccumOffset: 44
; Occupancy: 8
; WaveLimiterHint : 0
; COMPUTE_PGM_RSRC2:SCRATCH_EN: 1
; COMPUTE_PGM_RSRC2:USER_SGPR: 2
; COMPUTE_PGM_RSRC2:TRAP_HANDLER: 0
; COMPUTE_PGM_RSRC2:TGID_X_EN: 1
; COMPUTE_PGM_RSRC2:TGID_Y_EN: 0
; COMPUTE_PGM_RSRC2:TGID_Z_EN: 0
; COMPUTE_PGM_RSRC2:TIDIG_COMP_CNT: 0
; COMPUTE_PGM_RSRC3_GFX90A:ACCUM_OFFSET: 10
; COMPUTE_PGM_RSRC3_GFX90A:TG_SPLIT: 0
	.section	.text._ZN2at6native12_GLOBAL__N_125multi_tensor_apply_kernelINS1_18TensorListMetadataILi2EEENS1_21BinaryOpScalarFunctorIbLi2ELi1ELi1EEEJSt10multipliesIbEbEEEvT_T0_DpT1_,"axG",@progbits,_ZN2at6native12_GLOBAL__N_125multi_tensor_apply_kernelINS1_18TensorListMetadataILi2EEENS1_21BinaryOpScalarFunctorIbLi2ELi1ELi1EEEJSt10multipliesIbEbEEEvT_T0_DpT1_,comdat
	.globl	_ZN2at6native12_GLOBAL__N_125multi_tensor_apply_kernelINS1_18TensorListMetadataILi2EEENS1_21BinaryOpScalarFunctorIbLi2ELi1ELi1EEEJSt10multipliesIbEbEEEvT_T0_DpT1_ ; -- Begin function _ZN2at6native12_GLOBAL__N_125multi_tensor_apply_kernelINS1_18TensorListMetadataILi2EEENS1_21BinaryOpScalarFunctorIbLi2ELi1ELi1EEEJSt10multipliesIbEbEEEvT_T0_DpT1_
	.p2align	8
	.type	_ZN2at6native12_GLOBAL__N_125multi_tensor_apply_kernelINS1_18TensorListMetadataILi2EEENS1_21BinaryOpScalarFunctorIbLi2ELi1ELi1EEEJSt10multipliesIbEbEEEvT_T0_DpT1_,@function
_ZN2at6native12_GLOBAL__N_125multi_tensor_apply_kernelINS1_18TensorListMetadataILi2EEENS1_21BinaryOpScalarFunctorIbLi2ELi1ELi1EEEJSt10multipliesIbEbEEEvT_T0_DpT1_: ; @_ZN2at6native12_GLOBAL__N_125multi_tensor_apply_kernelINS1_18TensorListMetadataILi2EEENS1_21BinaryOpScalarFunctorIbLi2ELi1ELi1EEEJSt10multipliesIbEbEEEvT_T0_DpT1_
; %bb.0:
	v_mov_b32_e32 v1, s2
	global_load_ubyte v1, v1, s[0:1] offset:1536
	s_load_dword s3, s[0:1], 0xc48
	s_mul_hi_u32 s4, s2, 3
	s_mul_i32 s5, s2, 3
	s_waitcnt lgkmcnt(0)
	s_bitcmp1_b32 s3, 16
	s_cselect_b64 s[10:11], -1, 0
	s_add_u32 s2, s0, s2
	s_addc_u32 s3, s1, 0
	s_add_u32 s2, s2, s5
	s_addc_u32 s3, s3, s4
	s_load_dword s2, s[2:3], 0x740
	s_waitcnt vmcnt(0)
	v_readfirstlane_b32 s3, v1
	s_lshl_b32 s6, s3, 3
	s_load_dwordx2 s[12:13], s[0:1], s6 offset:0x0
	s_load_dwordx2 s[4:5], s[0:1], s6 offset:0x400
	;; [unrolled: 1-line block ×3, first 2 shown]
	s_waitcnt lgkmcnt(0)
	s_ashr_i32 s3, s2, 31
	s_lshl_b64 s[16:17], s[2:3], 16
	s_add_u32 s2, s12, s16
	s_sub_u32 s18, s4, s16
	s_subb_u32 s19, s5, s17
	s_or_b32 s3, s4, s14
	s_or_b32 s2, s3, s2
	s_and_b32 s2, s2, 3
	s_cmp_eq_u32 s2, 0
	s_mov_b64 s[2:3], -1
	s_cbranch_scc1 .LBB45_21
; %bb.1:
	v_cmp_lt_i64_e64 s[2:3], s[18:19], 1
	s_and_b64 vcc, exec, s[2:3]
	s_cbranch_vccnz .LBB45_20
; %bb.2:
	s_load_dword s2, s[0:1], 0xc5c
	v_mov_b64_e32 v[2:3], 0x10000
	v_cmp_lt_i64_e32 vcc, s[18:19], v[2:3]
	s_and_b64 s[4:5], vcc, exec
	s_cselect_b32 s5, s19, 0
	s_cselect_b32 s4, s18, 0x10000
	s_waitcnt lgkmcnt(0)
	s_and_b32 s2, s2, 0xffff
	v_cmp_lt_u64_e32 vcc, s[18:19], v[2:3]
	s_and_b64 s[6:7], vcc, exec
	s_cselect_b32 s21, s19, 0
	s_cselect_b32 s20, s18, 0x10000
	s_lshl_b32 s6, s2, 1
	s_mul_i32 s8, s2, 3
	s_lshl_b32 s33, s2, 2
	s_mov_b32 s3, 0
	s_add_u32 s22, s16, s8
	v_mov_b32_e32 v1, 0
	s_mov_b32 s9, s3
	s_addc_u32 s23, s17, 0
	v_lshl_add_u64 v[10:11], s[8:9], 0, v[0:1]
	s_add_u32 s8, s16, s6
	v_lshl_add_u64 v[18:19], s[16:17], 0, v[0:1]
	s_addc_u32 s9, s17, 0
	s_mov_b32 s7, s3
	v_lshl_add_u64 v[8:9], s[22:23], 0, v[0:1]
	v_lshl_add_u64 v[14:15], s[8:9], 0, v[0:1]
	;; [unrolled: 1-line block ×13, first 2 shown]
	s_mov_b64 s[22:23], 0
	v_mov_b64_e32 v[24:25], s[4:5]
	s_branch .LBB45_4
.LBB45_3:                               ;   in Loop: Header=BB45_4 Depth=1
	s_or_b64 exec, exec, s[2:3]
	s_add_u32 s22, s22, s33
	s_addc_u32 s23, s23, 0
	v_cmp_lt_i64_e32 vcc, s[22:23], v[24:25]
	s_cbranch_vccz .LBB45_20
.LBB45_4:                               ; =>This Inner Loop Header: Depth=1
	v_lshl_add_u64 v[26:27], v[0:1], 0, s[22:23]
	v_cmp_gt_u64_e32 vcc, s[20:21], v[26:27]
	s_mov_b64 s[26:27], 0
	s_and_saveexec_b64 s[4:5], vcc
	s_cbranch_execz .LBB45_6
; %bb.5:                                ;   in Loop: Header=BB45_4 Depth=1
	v_lshl_add_u64 v[26:27], v[2:3], 0, s[22:23]
	global_load_ubyte v26, v[26:27], off
	s_waitcnt vmcnt(0)
	v_cmp_ne_u16_e64 s[2:3], 0, v26
	s_and_b64 s[26:27], s[2:3], exec
.LBB45_6:                               ;   in Loop: Header=BB45_4 Depth=1
	s_or_b64 exec, exec, s[4:5]
	v_lshl_add_u64 v[26:27], v[22:23], 0, s[22:23]
	v_cmp_gt_u64_e64 s[2:3], s[20:21], v[26:27]
	s_mov_b64 s[24:25], 0
	s_mov_b64 s[28:29], 0
	s_and_saveexec_b64 s[6:7], s[2:3]
	s_cbranch_execz .LBB45_8
; %bb.7:                                ;   in Loop: Header=BB45_4 Depth=1
	v_lshl_add_u64 v[26:27], v[18:19], 0, s[22:23]
	global_load_ubyte v26, v[26:27], off
	s_waitcnt vmcnt(0)
	v_cmp_ne_u16_e64 s[4:5], 0, v26
	s_and_b64 s[28:29], s[4:5], exec
.LBB45_8:                               ;   in Loop: Header=BB45_4 Depth=1
	s_or_b64 exec, exec, s[6:7]
	v_lshl_add_u64 v[26:27], v[16:17], 0, s[22:23]
	v_cmp_gt_u64_e64 s[4:5], s[20:21], v[26:27]
	s_and_saveexec_b64 s[8:9], s[4:5]
	s_cbranch_execz .LBB45_10
; %bb.9:                                ;   in Loop: Header=BB45_4 Depth=1
	v_lshl_add_u64 v[26:27], v[12:13], 0, s[22:23]
	global_load_ubyte v26, v[26:27], off
	s_waitcnt vmcnt(0)
	v_cmp_ne_u16_e64 s[6:7], 0, v26
	s_and_b64 s[24:25], s[6:7], exec
.LBB45_10:                              ;   in Loop: Header=BB45_4 Depth=1
	s_or_b64 exec, exec, s[8:9]
	v_lshl_add_u64 v[26:27], v[10:11], 0, s[22:23]
	v_cmp_gt_u64_e64 s[6:7], s[20:21], v[26:27]
	s_mov_b64 s[8:9], 0
	s_and_saveexec_b64 s[30:31], s[6:7]
	s_cbranch_execnz .LBB45_15
; %bb.11:                               ;   in Loop: Header=BB45_4 Depth=1
	s_or_b64 exec, exec, s[30:31]
	s_and_saveexec_b64 s[30:31], vcc
	s_cbranch_execnz .LBB45_16
.LBB45_12:                              ;   in Loop: Header=BB45_4 Depth=1
	s_or_b64 exec, exec, s[30:31]
	s_and_saveexec_b64 s[26:27], s[2:3]
	s_cbranch_execnz .LBB45_17
.LBB45_13:                              ;   in Loop: Header=BB45_4 Depth=1
	s_or_b64 exec, exec, s[26:27]
	s_and_saveexec_b64 s[2:3], s[4:5]
	s_cbranch_execnz .LBB45_18
.LBB45_14:                              ;   in Loop: Header=BB45_4 Depth=1
	s_or_b64 exec, exec, s[2:3]
	s_and_saveexec_b64 s[2:3], s[6:7]
	s_cbranch_execz .LBB45_3
	s_branch .LBB45_19
.LBB45_15:                              ;   in Loop: Header=BB45_4 Depth=1
	v_lshl_add_u64 v[26:27], v[6:7], 0, s[22:23]
	global_load_ubyte v26, v[26:27], off
	s_waitcnt vmcnt(0)
	v_cmp_ne_u16_e64 s[8:9], 0, v26
	s_and_b64 s[8:9], s[8:9], exec
	s_or_b64 exec, exec, s[30:31]
	s_and_saveexec_b64 s[30:31], vcc
	s_cbranch_execz .LBB45_12
.LBB45_16:                              ;   in Loop: Header=BB45_4 Depth=1
	s_and_b64 s[26:27], s[10:11], s[26:27]
	v_cndmask_b32_e64 v28, 0, 1, s[26:27]
	v_lshl_add_u64 v[26:27], v[4:5], 0, s[22:23]
	global_store_byte v[26:27], v28, off
	s_or_b64 exec, exec, s[30:31]
	s_and_saveexec_b64 s[26:27], s[2:3]
	s_cbranch_execz .LBB45_13
.LBB45_17:                              ;   in Loop: Header=BB45_4 Depth=1
	s_and_b64 s[2:3], s[10:11], s[28:29]
	v_cndmask_b32_e64 v28, 0, 1, s[2:3]
	v_lshl_add_u64 v[26:27], v[20:21], 0, s[22:23]
	global_store_byte v[26:27], v28, off
	s_or_b64 exec, exec, s[26:27]
	s_and_saveexec_b64 s[2:3], s[4:5]
	s_cbranch_execz .LBB45_14
.LBB45_18:                              ;   in Loop: Header=BB45_4 Depth=1
	s_and_b64 s[4:5], s[10:11], s[24:25]
	v_cndmask_b32_e64 v28, 0, 1, s[4:5]
	v_lshl_add_u64 v[26:27], v[14:15], 0, s[22:23]
	global_store_byte v[26:27], v28, off
	s_or_b64 exec, exec, s[2:3]
	s_and_saveexec_b64 s[2:3], s[6:7]
	s_cbranch_execz .LBB45_3
.LBB45_19:                              ;   in Loop: Header=BB45_4 Depth=1
	s_and_b64 s[4:5], s[10:11], s[8:9]
	v_cndmask_b32_e64 v28, 0, 1, s[4:5]
	v_lshl_add_u64 v[26:27], v[8:9], 0, s[22:23]
	global_store_byte v[26:27], v28, off
	s_branch .LBB45_3
.LBB45_20:
	s_mov_b64 s[2:3], 0
.LBB45_21:
	s_andn2_b64 vcc, exec, s[2:3]
	s_cbranch_vccnz .LBB45_25
; %bb.22:
	v_mov_b64_e32 v[4:5], 0x10000
	v_cmp_lt_i64_e32 vcc, s[18:19], v[4:5]
	s_and_b64 s[2:3], vcc, exec
	v_mov_b32_e32 v3, 0
	s_cselect_b32 s9, s19, 0
	s_cselect_b32 s8, s18, 0x10000
	v_lshlrev_b32_e32 v2, 2, v0
	s_mov_b32 s7, 0
	v_cmp_gt_i64_e32 vcc, s[8:9], v[2:3]
	s_and_saveexec_b64 s[2:3], vcc
	s_cbranch_execz .LBB45_25
; %bb.23:
	s_load_dword s0, s[0:1], 0xc5c
	v_mov_b32_e32 v1, v3
	v_lshl_add_u64 v[4:5], s[16:17], 0, v[2:3]
	s_mov_b32 s17, s7
	s_mov_b64 s[18:19], 0
	s_waitcnt lgkmcnt(0)
	s_and_b32 s6, s0, 0xffff
	s_lshl_b32 s16, s6, 2
	s_mov_b32 s20, 0xffffff
.LBB45_24:                              ; =>This Inner Loop Header: Depth=1
	v_lshl_add_u64 v[6:7], s[12:13], 0, v[4:5]
	global_load_dword v2, v[6:7], off
	v_lshl_add_u64 v[0:1], v[0:1], 0, s[6:7]
	v_lshlrev_b64 v[8:9], 2, v[0:1]
	v_cmp_le_i64_e32 vcc, s[8:9], v[8:9]
	v_lshl_add_u64 v[6:7], s[14:15], 0, v[4:5]
	v_lshl_add_u64 v[4:5], v[4:5], 0, s[16:17]
	s_waitcnt vmcnt(0)
	v_cmp_ne_u32_sdwa s[2:3], v2, v3 src0_sel:BYTE_0 src1_sel:DWORD
	v_and_b32_e32 v8, 0xff00, v2
	v_cmp_lt_u32_e64 s[0:1], s20, v2
	s_and_b64 s[2:3], s[10:11], s[2:3]
	v_and_b32_e32 v9, 0xff0000, v2
	v_cndmask_b32_e64 v2, 0, 1, s[2:3]
	v_cmp_ne_u32_e64 s[2:3], 0, v8
	s_and_b64 s[0:1], s[10:11], s[0:1]
	v_cmp_ne_u32_e64 s[4:5], 0, v9
	v_cndmask_b32_e64 v8, 0, 1, s[0:1]
	s_and_b64 s[0:1], s[10:11], s[2:3]
	v_cndmask_b32_e64 v9, 0, 1, s[0:1]
	s_and_b64 s[0:1], s[10:11], s[4:5]
	v_cndmask_b32_e64 v10, 0, 1, s[0:1]
	v_lshlrev_b16_e32 v8, 8, v8
	v_lshlrev_b16_e32 v9, 8, v9
	v_or_b32_sdwa v8, v10, v8 dst_sel:WORD_1 dst_unused:UNUSED_PAD src0_sel:DWORD src1_sel:DWORD
	v_or_b32_e32 v2, v2, v9
	s_or_b64 s[18:19], vcc, s[18:19]
	v_or_b32_sdwa v2, v2, v8 dst_sel:DWORD dst_unused:UNUSED_PAD src0_sel:WORD_0 src1_sel:DWORD
	global_store_dword v[6:7], v2, off
	s_andn2_b64 exec, exec, s[18:19]
	s_cbranch_execnz .LBB45_24
.LBB45_25:
	s_endpgm
	.section	.rodata,"a",@progbits
	.p2align	6, 0x0
	.amdhsa_kernel _ZN2at6native12_GLOBAL__N_125multi_tensor_apply_kernelINS1_18TensorListMetadataILi2EEENS1_21BinaryOpScalarFunctorIbLi2ELi1ELi1EEEJSt10multipliesIbEbEEEvT_T0_DpT1_
		.amdhsa_group_segment_fixed_size 0
		.amdhsa_private_segment_fixed_size 0
		.amdhsa_kernarg_size 3408
		.amdhsa_user_sgpr_count 2
		.amdhsa_user_sgpr_dispatch_ptr 0
		.amdhsa_user_sgpr_queue_ptr 0
		.amdhsa_user_sgpr_kernarg_segment_ptr 1
		.amdhsa_user_sgpr_dispatch_id 0
		.amdhsa_user_sgpr_kernarg_preload_length 0
		.amdhsa_user_sgpr_kernarg_preload_offset 0
		.amdhsa_user_sgpr_private_segment_size 0
		.amdhsa_uses_dynamic_stack 0
		.amdhsa_enable_private_segment 0
		.amdhsa_system_sgpr_workgroup_id_x 1
		.amdhsa_system_sgpr_workgroup_id_y 0
		.amdhsa_system_sgpr_workgroup_id_z 0
		.amdhsa_system_sgpr_workgroup_info 0
		.amdhsa_system_vgpr_workitem_id 0
		.amdhsa_next_free_vgpr 29
		.amdhsa_next_free_sgpr 34
		.amdhsa_accum_offset 32
		.amdhsa_reserve_vcc 1
		.amdhsa_float_round_mode_32 0
		.amdhsa_float_round_mode_16_64 0
		.amdhsa_float_denorm_mode_32 3
		.amdhsa_float_denorm_mode_16_64 3
		.amdhsa_dx10_clamp 1
		.amdhsa_ieee_mode 1
		.amdhsa_fp16_overflow 0
		.amdhsa_tg_split 0
		.amdhsa_exception_fp_ieee_invalid_op 0
		.amdhsa_exception_fp_denorm_src 0
		.amdhsa_exception_fp_ieee_div_zero 0
		.amdhsa_exception_fp_ieee_overflow 0
		.amdhsa_exception_fp_ieee_underflow 0
		.amdhsa_exception_fp_ieee_inexact 0
		.amdhsa_exception_int_div_zero 0
	.end_amdhsa_kernel
	.section	.text._ZN2at6native12_GLOBAL__N_125multi_tensor_apply_kernelINS1_18TensorListMetadataILi2EEENS1_21BinaryOpScalarFunctorIbLi2ELi1ELi1EEEJSt10multipliesIbEbEEEvT_T0_DpT1_,"axG",@progbits,_ZN2at6native12_GLOBAL__N_125multi_tensor_apply_kernelINS1_18TensorListMetadataILi2EEENS1_21BinaryOpScalarFunctorIbLi2ELi1ELi1EEEJSt10multipliesIbEbEEEvT_T0_DpT1_,comdat
.Lfunc_end45:
	.size	_ZN2at6native12_GLOBAL__N_125multi_tensor_apply_kernelINS1_18TensorListMetadataILi2EEENS1_21BinaryOpScalarFunctorIbLi2ELi1ELi1EEEJSt10multipliesIbEbEEEvT_T0_DpT1_, .Lfunc_end45-_ZN2at6native12_GLOBAL__N_125multi_tensor_apply_kernelINS1_18TensorListMetadataILi2EEENS1_21BinaryOpScalarFunctorIbLi2ELi1ELi1EEEJSt10multipliesIbEbEEEvT_T0_DpT1_
                                        ; -- End function
	.set _ZN2at6native12_GLOBAL__N_125multi_tensor_apply_kernelINS1_18TensorListMetadataILi2EEENS1_21BinaryOpScalarFunctorIbLi2ELi1ELi1EEEJSt10multipliesIbEbEEEvT_T0_DpT1_.num_vgpr, 29
	.set _ZN2at6native12_GLOBAL__N_125multi_tensor_apply_kernelINS1_18TensorListMetadataILi2EEENS1_21BinaryOpScalarFunctorIbLi2ELi1ELi1EEEJSt10multipliesIbEbEEEvT_T0_DpT1_.num_agpr, 0
	.set _ZN2at6native12_GLOBAL__N_125multi_tensor_apply_kernelINS1_18TensorListMetadataILi2EEENS1_21BinaryOpScalarFunctorIbLi2ELi1ELi1EEEJSt10multipliesIbEbEEEvT_T0_DpT1_.numbered_sgpr, 34
	.set _ZN2at6native12_GLOBAL__N_125multi_tensor_apply_kernelINS1_18TensorListMetadataILi2EEENS1_21BinaryOpScalarFunctorIbLi2ELi1ELi1EEEJSt10multipliesIbEbEEEvT_T0_DpT1_.num_named_barrier, 0
	.set _ZN2at6native12_GLOBAL__N_125multi_tensor_apply_kernelINS1_18TensorListMetadataILi2EEENS1_21BinaryOpScalarFunctorIbLi2ELi1ELi1EEEJSt10multipliesIbEbEEEvT_T0_DpT1_.private_seg_size, 0
	.set _ZN2at6native12_GLOBAL__N_125multi_tensor_apply_kernelINS1_18TensorListMetadataILi2EEENS1_21BinaryOpScalarFunctorIbLi2ELi1ELi1EEEJSt10multipliesIbEbEEEvT_T0_DpT1_.uses_vcc, 1
	.set _ZN2at6native12_GLOBAL__N_125multi_tensor_apply_kernelINS1_18TensorListMetadataILi2EEENS1_21BinaryOpScalarFunctorIbLi2ELi1ELi1EEEJSt10multipliesIbEbEEEvT_T0_DpT1_.uses_flat_scratch, 0
	.set _ZN2at6native12_GLOBAL__N_125multi_tensor_apply_kernelINS1_18TensorListMetadataILi2EEENS1_21BinaryOpScalarFunctorIbLi2ELi1ELi1EEEJSt10multipliesIbEbEEEvT_T0_DpT1_.has_dyn_sized_stack, 0
	.set _ZN2at6native12_GLOBAL__N_125multi_tensor_apply_kernelINS1_18TensorListMetadataILi2EEENS1_21BinaryOpScalarFunctorIbLi2ELi1ELi1EEEJSt10multipliesIbEbEEEvT_T0_DpT1_.has_recursion, 0
	.set _ZN2at6native12_GLOBAL__N_125multi_tensor_apply_kernelINS1_18TensorListMetadataILi2EEENS1_21BinaryOpScalarFunctorIbLi2ELi1ELi1EEEJSt10multipliesIbEbEEEvT_T0_DpT1_.has_indirect_call, 0
	.section	.AMDGPU.csdata,"",@progbits
; Kernel info:
; codeLenInByte = 1212
; TotalNumSgprs: 40
; NumVgprs: 29
; NumAgprs: 0
; TotalNumVgprs: 29
; ScratchSize: 0
; MemoryBound: 0
; FloatMode: 240
; IeeeMode: 1
; LDSByteSize: 0 bytes/workgroup (compile time only)
; SGPRBlocks: 4
; VGPRBlocks: 3
; NumSGPRsForWavesPerEU: 40
; NumVGPRsForWavesPerEU: 29
; AccumOffset: 32
; Occupancy: 8
; WaveLimiterHint : 0
; COMPUTE_PGM_RSRC2:SCRATCH_EN: 0
; COMPUTE_PGM_RSRC2:USER_SGPR: 2
; COMPUTE_PGM_RSRC2:TRAP_HANDLER: 0
; COMPUTE_PGM_RSRC2:TGID_X_EN: 1
; COMPUTE_PGM_RSRC2:TGID_Y_EN: 0
; COMPUTE_PGM_RSRC2:TGID_Z_EN: 0
; COMPUTE_PGM_RSRC2:TIDIG_COMP_CNT: 0
; COMPUTE_PGM_RSRC3_GFX90A:ACCUM_OFFSET: 7
; COMPUTE_PGM_RSRC3_GFX90A:TG_SPLIT: 0
	.section	.text._ZN2at6native12_GLOBAL__N_125multi_tensor_apply_kernelINS1_18TensorListMetadataILi2EEENS1_21BinaryOpScalarFunctorIN3c104HalfELi2ELi1ELi1EEEJSt10multipliesIfEfEEEvT_T0_DpT1_,"axG",@progbits,_ZN2at6native12_GLOBAL__N_125multi_tensor_apply_kernelINS1_18TensorListMetadataILi2EEENS1_21BinaryOpScalarFunctorIN3c104HalfELi2ELi1ELi1EEEJSt10multipliesIfEfEEEvT_T0_DpT1_,comdat
	.globl	_ZN2at6native12_GLOBAL__N_125multi_tensor_apply_kernelINS1_18TensorListMetadataILi2EEENS1_21BinaryOpScalarFunctorIN3c104HalfELi2ELi1ELi1EEEJSt10multipliesIfEfEEEvT_T0_DpT1_ ; -- Begin function _ZN2at6native12_GLOBAL__N_125multi_tensor_apply_kernelINS1_18TensorListMetadataILi2EEENS1_21BinaryOpScalarFunctorIN3c104HalfELi2ELi1ELi1EEEJSt10multipliesIfEfEEEvT_T0_DpT1_
	.p2align	8
	.type	_ZN2at6native12_GLOBAL__N_125multi_tensor_apply_kernelINS1_18TensorListMetadataILi2EEENS1_21BinaryOpScalarFunctorIN3c104HalfELi2ELi1ELi1EEEJSt10multipliesIfEfEEEvT_T0_DpT1_,@function
_ZN2at6native12_GLOBAL__N_125multi_tensor_apply_kernelINS1_18TensorListMetadataILi2EEENS1_21BinaryOpScalarFunctorIN3c104HalfELi2ELi1ELi1EEEJSt10multipliesIfEfEEEvT_T0_DpT1_: ; @_ZN2at6native12_GLOBAL__N_125multi_tensor_apply_kernelINS1_18TensorListMetadataILi2EEENS1_21BinaryOpScalarFunctorIN3c104HalfELi2ELi1ELi1EEEJSt10multipliesIfEfEEEvT_T0_DpT1_
; %bb.0:
	v_mov_b32_e32 v1, s2
	global_load_ubyte v1, v1, s[0:1] offset:1536
	s_add_u32 s4, s0, s2
	s_mul_hi_u32 s7, s2, 3
	s_mul_i32 s2, s2, 3
	s_addc_u32 s8, s1, 0
	s_add_u32 s6, s4, s2
	s_addc_u32 s7, s8, s7
	s_load_dword s6, s[6:7], 0x740
	s_mov_b32 s3, 0
	s_mov_b32 s5, s3
	s_waitcnt lgkmcnt(0)
	s_ashr_i32 s7, s6, 31
	s_lshl_b64 s[14:15], s[6:7], 17
	s_lshl_b64 s[6:7], s[6:7], 16
	s_waitcnt vmcnt(0)
	v_readfirstlane_b32 s2, v1
	s_lshl_b32 s2, s2, 3
	s_load_dword s8, s[0:1], 0xc4c
	s_load_dwordx2 s[18:19], s[0:1], s2 offset:0x400
	s_load_dwordx2 s[10:11], s[0:1], s2 offset:0x0
	s_load_dwordx2 s[12:13], s[0:1], s2 offset:0x200
	s_waitcnt lgkmcnt(0)
	s_add_u32 s2, s10, s14
	s_and_b32 s4, s12, 7
	s_and_b32 s2, s2, 7
	s_sub_u32 s16, s18, s6
	s_subb_u32 s17, s19, s7
	s_and_b32 s6, s18, 3
	s_mov_b32 s7, s3
	s_or_b64 s[4:5], s[4:5], s[6:7]
	s_or_b64 s[2:3], s[4:5], s[2:3]
	s_cmp_eq_u64 s[2:3], 0
	s_mov_b64 s[2:3], -1
	s_cbranch_scc1 .LBB46_21
; %bb.1:
	v_cmp_lt_i64_e64 s[2:3], s[16:17], 1
	s_and_b64 vcc, exec, s[2:3]
	s_cbranch_vccnz .LBB46_20
; %bb.2:
	s_load_dword s2, s[0:1], 0xc5c
	v_mov_b64_e32 v[2:3], 0x10000
	v_cmp_lt_i64_e32 vcc, s[16:17], v[2:3]
	s_and_b64 s[4:5], vcc, exec
	s_cselect_b32 s5, s17, 0
	s_cselect_b32 s4, s16, 0x10000
	s_waitcnt lgkmcnt(0)
	s_and_b32 s2, s2, 0xffff
	v_cmp_lt_u64_e32 vcc, s[16:17], v[2:3]
	s_mov_b32 s3, 0
	v_mov_b32_e32 v1, 0
	s_and_b64 s[6:7], vcc, exec
	s_cselect_b32 s19, s17, 0
	s_cselect_b32 s18, s16, 0x10000
	s_lshl_b32 s20, s2, 2
	s_mov_b32 s21, s3
	v_lshlrev_b32_e32 v12, 1, v0
	v_mov_b32_e32 v13, v1
	v_lshl_add_u64 v[18:19], v[0:1], 0, s[2:3]
	s_lshl_b32 s6, s2, 1
	s_mov_b32 s7, s3
	s_mul_i32 s24, s2, 3
	s_mov_b32 s25, s3
	v_mad_u64_u32 v[8:9], s[26:27], s2, 6, v[12:13]
	v_lshl_add_u64 v[14:15], s[20:21], 0, v[12:13]
	v_lshlrev_b32_e32 v22, 1, v18
	v_mov_b32_e32 v23, v1
	v_lshl_add_u64 v[2:3], s[10:11], 0, v[12:13]
	s_lshl_b32 s22, s2, 3
	s_mov_b32 s23, s3
	v_lshl_add_u64 v[4:5], s[12:13], 0, v[12:13]
	v_lshl_add_u64 v[6:7], s[10:11], 0, v[8:9]
	;; [unrolled: 1-line block ×9, first 2 shown]
	s_mov_b64 s[24:25], 0
	v_mov_b64_e32 v[24:25], s[4:5]
	s_branch .LBB46_4
.LBB46_3:                               ;   in Loop: Header=BB46_4 Depth=1
	s_or_b64 exec, exec, s[2:3]
	s_add_u32 s24, s24, s20
	s_addc_u32 s25, s25, 0
	v_cmp_lt_i64_e32 vcc, s[24:25], v[24:25]
	v_lshl_add_u64 v[2:3], v[2:3], 0, s[22:23]
	v_lshl_add_u64 v[4:5], v[4:5], 0, s[22:23]
	;; [unrolled: 1-line block ×8, first 2 shown]
	s_cbranch_vccz .LBB46_20
.LBB46_4:                               ; =>This Inner Loop Header: Depth=1
	v_lshl_add_u64 v[26:27], v[0:1], 0, s[24:25]
	v_cmp_gt_u64_e32 vcc, s[18:19], v[26:27]
	v_mov_b32_e32 v27, 0
	s_and_saveexec_b64 s[2:3], vcc
	s_cbranch_execz .LBB46_6
; %bb.5:                                ;   in Loop: Header=BB46_4 Depth=1
	v_lshl_add_u64 v[26:27], v[2:3], 0, s[14:15]
	global_load_ushort v26, v[26:27], off
	s_waitcnt vmcnt(0)
	v_cvt_f32_f16_e32 v27, v26
.LBB46_6:                               ;   in Loop: Header=BB46_4 Depth=1
	s_or_b64 exec, exec, s[2:3]
	v_lshl_add_u64 v[28:29], v[18:19], 0, s[24:25]
	v_cmp_gt_u64_e64 s[2:3], s[18:19], v[28:29]
	v_mov_b32_e32 v26, 0
	v_mov_b32_e32 v28, 0
	s_and_saveexec_b64 s[4:5], s[2:3]
	s_cbranch_execz .LBB46_8
; %bb.7:                                ;   in Loop: Header=BB46_4 Depth=1
	v_lshl_add_u64 v[28:29], v[20:21], 0, s[14:15]
	global_load_ushort v28, v[28:29], off
	s_waitcnt vmcnt(0)
	v_cvt_f32_f16_e32 v28, v28
.LBB46_8:                               ;   in Loop: Header=BB46_4 Depth=1
	s_or_b64 exec, exec, s[4:5]
	v_lshl_add_u64 v[30:31], v[16:17], 0, s[24:25]
	v_cmp_gt_u64_e64 s[4:5], s[18:19], v[30:31]
	s_and_saveexec_b64 s[6:7], s[4:5]
	s_cbranch_execz .LBB46_10
; %bb.9:                                ;   in Loop: Header=BB46_4 Depth=1
	v_lshl_add_u64 v[30:31], v[12:13], 0, s[14:15]
	global_load_ushort v26, v[30:31], off
	s_waitcnt vmcnt(0)
	v_cvt_f32_f16_e32 v26, v26
.LBB46_10:                              ;   in Loop: Header=BB46_4 Depth=1
	s_or_b64 exec, exec, s[6:7]
	v_lshl_add_u64 v[30:31], v[10:11], 0, s[24:25]
	v_cmp_gt_u64_e64 s[6:7], s[18:19], v[30:31]
	v_mov_b32_e32 v29, 0
	s_and_saveexec_b64 s[26:27], s[6:7]
	s_cbranch_execnz .LBB46_15
; %bb.11:                               ;   in Loop: Header=BB46_4 Depth=1
	s_or_b64 exec, exec, s[26:27]
	s_and_saveexec_b64 s[26:27], vcc
	s_cbranch_execnz .LBB46_16
.LBB46_12:                              ;   in Loop: Header=BB46_4 Depth=1
	s_or_b64 exec, exec, s[26:27]
	s_and_saveexec_b64 s[26:27], s[2:3]
	s_cbranch_execnz .LBB46_17
.LBB46_13:                              ;   in Loop: Header=BB46_4 Depth=1
	s_or_b64 exec, exec, s[26:27]
	s_and_saveexec_b64 s[2:3], s[4:5]
	s_cbranch_execnz .LBB46_18
.LBB46_14:                              ;   in Loop: Header=BB46_4 Depth=1
	s_or_b64 exec, exec, s[2:3]
	s_and_saveexec_b64 s[2:3], s[6:7]
	s_cbranch_execz .LBB46_3
	s_branch .LBB46_19
.LBB46_15:                              ;   in Loop: Header=BB46_4 Depth=1
	v_lshl_add_u64 v[30:31], v[6:7], 0, s[14:15]
	global_load_ushort v29, v[30:31], off
	s_waitcnt vmcnt(0)
	v_cvt_f32_f16_e32 v29, v29
	s_or_b64 exec, exec, s[26:27]
	s_and_saveexec_b64 s[26:27], vcc
	s_cbranch_execz .LBB46_12
.LBB46_16:                              ;   in Loop: Header=BB46_4 Depth=1
	v_fma_mixlo_f16 v27, s8, v27, 0
	v_lshl_add_u64 v[30:31], v[4:5], 0, s[14:15]
	global_store_short v[30:31], v27, off
	s_or_b64 exec, exec, s[26:27]
	s_and_saveexec_b64 s[26:27], s[2:3]
	s_cbranch_execz .LBB46_13
.LBB46_17:                              ;   in Loop: Header=BB46_4 Depth=1
	v_fma_mixlo_f16 v27, s8, v28, 0
	v_lshl_add_u64 v[30:31], v[22:23], 0, s[14:15]
	global_store_short v[30:31], v27, off
	s_or_b64 exec, exec, s[26:27]
	s_and_saveexec_b64 s[2:3], s[4:5]
	s_cbranch_execz .LBB46_14
.LBB46_18:                              ;   in Loop: Header=BB46_4 Depth=1
	v_fma_mixlo_f16 v28, s8, v26, 0
	v_lshl_add_u64 v[26:27], v[14:15], 0, s[14:15]
	global_store_short v[26:27], v28, off
	s_or_b64 exec, exec, s[2:3]
	s_and_saveexec_b64 s[2:3], s[6:7]
	s_cbranch_execz .LBB46_3
.LBB46_19:                              ;   in Loop: Header=BB46_4 Depth=1
	v_fma_mixlo_f16 v28, s8, v29, 0
	v_lshl_add_u64 v[26:27], v[8:9], 0, s[14:15]
	global_store_short v[26:27], v28, off
	s_branch .LBB46_3
.LBB46_20:
	s_mov_b64 s[2:3], 0
.LBB46_21:
	s_andn2_b64 vcc, exec, s[2:3]
	s_cbranch_vccnz .LBB46_25
; %bb.22:
	v_mov_b64_e32 v[4:5], 0x10000
	v_cmp_lt_i64_e32 vcc, s[16:17], v[4:5]
	s_and_b64 s[4:5], vcc, exec
	v_mov_b32_e32 v3, 0
	s_cselect_b32 s5, s17, 0
	s_cselect_b32 s4, s16, 0x10000
	v_lshlrev_b32_e32 v2, 2, v0
	s_mov_b32 s3, 0
	v_cmp_gt_i64_e32 vcc, s[4:5], v[2:3]
	s_and_saveexec_b64 s[6:7], vcc
	s_cbranch_execz .LBB46_25
; %bb.23:
	s_load_dword s2, s[0:1], 0xc5c
	v_lshlrev_b32_e32 v2, 3, v0
	v_mov_b32_e32 v1, v3
	s_mov_b32 s9, s8
	s_mov_b32 s0, s8
	s_waitcnt lgkmcnt(0)
	s_and_b32 s2, s2, 0xffff
	s_mov_b32 s1, s8
	v_lshl_add_u64 v[2:3], s[14:15], 0, v[2:3]
	s_lshl_b32 s6, s2, 3
	s_mov_b32 s7, s3
	s_mov_b64 s[14:15], 0
.LBB46_24:                              ; =>This Inner Loop Header: Depth=1
	v_lshl_add_u64 v[4:5], s[10:11], 0, v[2:3]
	global_load_dwordx2 v[4:5], v[4:5], off
	v_lshl_add_u64 v[0:1], v[0:1], 0, s[2:3]
	v_lshlrev_b64 v[8:9], 2, v[0:1]
	v_cmp_le_i64_e32 vcc, s[4:5], v[8:9]
	v_lshl_add_u64 v[6:7], s[12:13], 0, v[2:3]
	v_lshl_add_u64 v[2:3], v[2:3], 0, s[6:7]
	s_or_b64 s[14:15], vcc, s[14:15]
	s_waitcnt vmcnt(0)
	v_cvt_f32_f16_e32 v8, v5
	v_cvt_f32_f16_e32 v10, v4
	v_cvt_f32_f16_sdwa v11, v4 dst_sel:DWORD dst_unused:UNUSED_PAD src0_sel:WORD_1
	v_cvt_f32_f16_sdwa v9, v5 dst_sel:DWORD dst_unused:UNUSED_PAD src0_sel:WORD_1
	v_pk_mul_f32 v[4:5], s[8:9], v[10:11]
	v_pk_mul_f32 v[8:9], s[0:1], v[8:9]
	s_nop 0
	v_cvt_pk_f16_f32 v9, v8, v9
	v_cvt_pk_f16_f32 v8, v4, v5
	global_store_dwordx2 v[6:7], v[8:9], off
	s_andn2_b64 exec, exec, s[14:15]
	s_cbranch_execnz .LBB46_24
.LBB46_25:
	s_endpgm
	.section	.rodata,"a",@progbits
	.p2align	6, 0x0
	.amdhsa_kernel _ZN2at6native12_GLOBAL__N_125multi_tensor_apply_kernelINS1_18TensorListMetadataILi2EEENS1_21BinaryOpScalarFunctorIN3c104HalfELi2ELi1ELi1EEEJSt10multipliesIfEfEEEvT_T0_DpT1_
		.amdhsa_group_segment_fixed_size 0
		.amdhsa_private_segment_fixed_size 0
		.amdhsa_kernarg_size 3408
		.amdhsa_user_sgpr_count 2
		.amdhsa_user_sgpr_dispatch_ptr 0
		.amdhsa_user_sgpr_queue_ptr 0
		.amdhsa_user_sgpr_kernarg_segment_ptr 1
		.amdhsa_user_sgpr_dispatch_id 0
		.amdhsa_user_sgpr_kernarg_preload_length 0
		.amdhsa_user_sgpr_kernarg_preload_offset 0
		.amdhsa_user_sgpr_private_segment_size 0
		.amdhsa_uses_dynamic_stack 0
		.amdhsa_enable_private_segment 0
		.amdhsa_system_sgpr_workgroup_id_x 1
		.amdhsa_system_sgpr_workgroup_id_y 0
		.amdhsa_system_sgpr_workgroup_id_z 0
		.amdhsa_system_sgpr_workgroup_info 0
		.amdhsa_system_vgpr_workitem_id 0
		.amdhsa_next_free_vgpr 32
		.amdhsa_next_free_sgpr 28
		.amdhsa_accum_offset 32
		.amdhsa_reserve_vcc 1
		.amdhsa_float_round_mode_32 0
		.amdhsa_float_round_mode_16_64 0
		.amdhsa_float_denorm_mode_32 3
		.amdhsa_float_denorm_mode_16_64 3
		.amdhsa_dx10_clamp 1
		.amdhsa_ieee_mode 1
		.amdhsa_fp16_overflow 0
		.amdhsa_tg_split 0
		.amdhsa_exception_fp_ieee_invalid_op 0
		.amdhsa_exception_fp_denorm_src 0
		.amdhsa_exception_fp_ieee_div_zero 0
		.amdhsa_exception_fp_ieee_overflow 0
		.amdhsa_exception_fp_ieee_underflow 0
		.amdhsa_exception_fp_ieee_inexact 0
		.amdhsa_exception_int_div_zero 0
	.end_amdhsa_kernel
	.section	.text._ZN2at6native12_GLOBAL__N_125multi_tensor_apply_kernelINS1_18TensorListMetadataILi2EEENS1_21BinaryOpScalarFunctorIN3c104HalfELi2ELi1ELi1EEEJSt10multipliesIfEfEEEvT_T0_DpT1_,"axG",@progbits,_ZN2at6native12_GLOBAL__N_125multi_tensor_apply_kernelINS1_18TensorListMetadataILi2EEENS1_21BinaryOpScalarFunctorIN3c104HalfELi2ELi1ELi1EEEJSt10multipliesIfEfEEEvT_T0_DpT1_,comdat
.Lfunc_end46:
	.size	_ZN2at6native12_GLOBAL__N_125multi_tensor_apply_kernelINS1_18TensorListMetadataILi2EEENS1_21BinaryOpScalarFunctorIN3c104HalfELi2ELi1ELi1EEEJSt10multipliesIfEfEEEvT_T0_DpT1_, .Lfunc_end46-_ZN2at6native12_GLOBAL__N_125multi_tensor_apply_kernelINS1_18TensorListMetadataILi2EEENS1_21BinaryOpScalarFunctorIN3c104HalfELi2ELi1ELi1EEEJSt10multipliesIfEfEEEvT_T0_DpT1_
                                        ; -- End function
	.set _ZN2at6native12_GLOBAL__N_125multi_tensor_apply_kernelINS1_18TensorListMetadataILi2EEENS1_21BinaryOpScalarFunctorIN3c104HalfELi2ELi1ELi1EEEJSt10multipliesIfEfEEEvT_T0_DpT1_.num_vgpr, 32
	.set _ZN2at6native12_GLOBAL__N_125multi_tensor_apply_kernelINS1_18TensorListMetadataILi2EEENS1_21BinaryOpScalarFunctorIN3c104HalfELi2ELi1ELi1EEEJSt10multipliesIfEfEEEvT_T0_DpT1_.num_agpr, 0
	.set _ZN2at6native12_GLOBAL__N_125multi_tensor_apply_kernelINS1_18TensorListMetadataILi2EEENS1_21BinaryOpScalarFunctorIN3c104HalfELi2ELi1ELi1EEEJSt10multipliesIfEfEEEvT_T0_DpT1_.numbered_sgpr, 28
	.set _ZN2at6native12_GLOBAL__N_125multi_tensor_apply_kernelINS1_18TensorListMetadataILi2EEENS1_21BinaryOpScalarFunctorIN3c104HalfELi2ELi1ELi1EEEJSt10multipliesIfEfEEEvT_T0_DpT1_.num_named_barrier, 0
	.set _ZN2at6native12_GLOBAL__N_125multi_tensor_apply_kernelINS1_18TensorListMetadataILi2EEENS1_21BinaryOpScalarFunctorIN3c104HalfELi2ELi1ELi1EEEJSt10multipliesIfEfEEEvT_T0_DpT1_.private_seg_size, 0
	.set _ZN2at6native12_GLOBAL__N_125multi_tensor_apply_kernelINS1_18TensorListMetadataILi2EEENS1_21BinaryOpScalarFunctorIN3c104HalfELi2ELi1ELi1EEEJSt10multipliesIfEfEEEvT_T0_DpT1_.uses_vcc, 1
	.set _ZN2at6native12_GLOBAL__N_125multi_tensor_apply_kernelINS1_18TensorListMetadataILi2EEENS1_21BinaryOpScalarFunctorIN3c104HalfELi2ELi1ELi1EEEJSt10multipliesIfEfEEEvT_T0_DpT1_.uses_flat_scratch, 0
	.set _ZN2at6native12_GLOBAL__N_125multi_tensor_apply_kernelINS1_18TensorListMetadataILi2EEENS1_21BinaryOpScalarFunctorIN3c104HalfELi2ELi1ELi1EEEJSt10multipliesIfEfEEEvT_T0_DpT1_.has_dyn_sized_stack, 0
	.set _ZN2at6native12_GLOBAL__N_125multi_tensor_apply_kernelINS1_18TensorListMetadataILi2EEENS1_21BinaryOpScalarFunctorIN3c104HalfELi2ELi1ELi1EEEJSt10multipliesIfEfEEEvT_T0_DpT1_.has_recursion, 0
	.set _ZN2at6native12_GLOBAL__N_125multi_tensor_apply_kernelINS1_18TensorListMetadataILi2EEENS1_21BinaryOpScalarFunctorIN3c104HalfELi2ELi1ELi1EEEJSt10multipliesIfEfEEEvT_T0_DpT1_.has_indirect_call, 0
	.section	.AMDGPU.csdata,"",@progbits
; Kernel info:
; codeLenInByte = 1184
; TotalNumSgprs: 34
; NumVgprs: 32
; NumAgprs: 0
; TotalNumVgprs: 32
; ScratchSize: 0
; MemoryBound: 0
; FloatMode: 240
; IeeeMode: 1
; LDSByteSize: 0 bytes/workgroup (compile time only)
; SGPRBlocks: 4
; VGPRBlocks: 3
; NumSGPRsForWavesPerEU: 34
; NumVGPRsForWavesPerEU: 32
; AccumOffset: 32
; Occupancy: 8
; WaveLimiterHint : 0
; COMPUTE_PGM_RSRC2:SCRATCH_EN: 0
; COMPUTE_PGM_RSRC2:USER_SGPR: 2
; COMPUTE_PGM_RSRC2:TRAP_HANDLER: 0
; COMPUTE_PGM_RSRC2:TGID_X_EN: 1
; COMPUTE_PGM_RSRC2:TGID_Y_EN: 0
; COMPUTE_PGM_RSRC2:TGID_Z_EN: 0
; COMPUTE_PGM_RSRC2:TIDIG_COMP_CNT: 0
; COMPUTE_PGM_RSRC3_GFX90A:ACCUM_OFFSET: 7
; COMPUTE_PGM_RSRC3_GFX90A:TG_SPLIT: 0
	.section	.text._ZN2at6native12_GLOBAL__N_125multi_tensor_apply_kernelINS1_18TensorListMetadataILi2EEENS1_21BinaryOpScalarFunctorIN3c108BFloat16ELi2ELi1ELi1EEEJSt10multipliesIfEfEEEvT_T0_DpT1_,"axG",@progbits,_ZN2at6native12_GLOBAL__N_125multi_tensor_apply_kernelINS1_18TensorListMetadataILi2EEENS1_21BinaryOpScalarFunctorIN3c108BFloat16ELi2ELi1ELi1EEEJSt10multipliesIfEfEEEvT_T0_DpT1_,comdat
	.globl	_ZN2at6native12_GLOBAL__N_125multi_tensor_apply_kernelINS1_18TensorListMetadataILi2EEENS1_21BinaryOpScalarFunctorIN3c108BFloat16ELi2ELi1ELi1EEEJSt10multipliesIfEfEEEvT_T0_DpT1_ ; -- Begin function _ZN2at6native12_GLOBAL__N_125multi_tensor_apply_kernelINS1_18TensorListMetadataILi2EEENS1_21BinaryOpScalarFunctorIN3c108BFloat16ELi2ELi1ELi1EEEJSt10multipliesIfEfEEEvT_T0_DpT1_
	.p2align	8
	.type	_ZN2at6native12_GLOBAL__N_125multi_tensor_apply_kernelINS1_18TensorListMetadataILi2EEENS1_21BinaryOpScalarFunctorIN3c108BFloat16ELi2ELi1ELi1EEEJSt10multipliesIfEfEEEvT_T0_DpT1_,@function
_ZN2at6native12_GLOBAL__N_125multi_tensor_apply_kernelINS1_18TensorListMetadataILi2EEENS1_21BinaryOpScalarFunctorIN3c108BFloat16ELi2ELi1ELi1EEEJSt10multipliesIfEfEEEvT_T0_DpT1_: ; @_ZN2at6native12_GLOBAL__N_125multi_tensor_apply_kernelINS1_18TensorListMetadataILi2EEENS1_21BinaryOpScalarFunctorIN3c108BFloat16ELi2ELi1ELi1EEEJSt10multipliesIfEfEEEvT_T0_DpT1_
; %bb.0:
	v_mov_b32_e32 v1, s2
	global_load_ubyte v1, v1, s[0:1] offset:1536
	s_add_u32 s4, s0, s2
	s_mul_hi_u32 s7, s2, 3
	s_mul_i32 s2, s2, 3
	s_addc_u32 s8, s1, 0
	s_add_u32 s6, s4, s2
	s_addc_u32 s7, s8, s7
	s_load_dword s6, s[6:7], 0x740
	s_mov_b32 s3, 0
	s_mov_b32 s5, s3
	s_waitcnt lgkmcnt(0)
	s_ashr_i32 s7, s6, 31
	s_lshl_b64 s[12:13], s[6:7], 17
	s_lshl_b64 s[6:7], s[6:7], 16
	s_waitcnt vmcnt(0)
	v_readfirstlane_b32 s2, v1
	s_lshl_b32 s2, s2, 3
	s_load_dword s26, s[0:1], 0xc4c
	s_load_dwordx2 s[16:17], s[0:1], s2 offset:0x400
	s_load_dwordx2 s[8:9], s[0:1], s2 offset:0x0
	;; [unrolled: 1-line block ×3, first 2 shown]
	s_waitcnt lgkmcnt(0)
	s_add_u32 s2, s8, s12
	s_and_b32 s4, s10, 7
	s_and_b32 s2, s2, 7
	s_sub_u32 s14, s16, s6
	s_subb_u32 s15, s17, s7
	s_and_b32 s6, s16, 3
	s_mov_b32 s7, s3
	s_or_b64 s[4:5], s[4:5], s[6:7]
	s_or_b64 s[2:3], s[4:5], s[2:3]
	s_cmp_eq_u64 s[2:3], 0
	s_mov_b64 s[2:3], -1
	s_cbranch_scc1 .LBB47_21
; %bb.1:
	v_cmp_lt_i64_e64 s[2:3], s[14:15], 1
	s_and_b64 vcc, exec, s[2:3]
	s_cbranch_vccnz .LBB47_20
; %bb.2:
	s_load_dword s2, s[0:1], 0xc5c
	v_mov_b64_e32 v[2:3], 0x10000
	v_cmp_lt_i64_e32 vcc, s[14:15], v[2:3]
	s_and_b64 s[4:5], vcc, exec
	s_cselect_b32 s5, s15, 0
	s_cselect_b32 s4, s14, 0x10000
	s_waitcnt lgkmcnt(0)
	s_and_b32 s2, s2, 0xffff
	v_cmp_lt_u64_e32 vcc, s[14:15], v[2:3]
	s_mov_b32 s3, 0
	v_mov_b32_e32 v1, 0
	s_and_b64 s[6:7], vcc, exec
	s_cselect_b32 s17, s15, 0
	s_cselect_b32 s16, s14, 0x10000
	s_lshl_b32 s18, s2, 2
	s_mov_b32 s19, s3
	v_lshlrev_b32_e32 v12, 1, v0
	v_mov_b32_e32 v13, v1
	v_lshl_add_u64 v[18:19], v[0:1], 0, s[2:3]
	s_lshl_b32 s6, s2, 1
	s_mov_b32 s7, s3
	s_mul_i32 s22, s2, 3
	s_mov_b32 s23, s3
	v_mad_u64_u32 v[8:9], s[24:25], s2, 6, v[12:13]
	v_lshl_add_u64 v[14:15], s[18:19], 0, v[12:13]
	v_lshlrev_b32_e32 v22, 1, v18
	v_mov_b32_e32 v23, v1
	v_lshl_add_u64 v[2:3], s[8:9], 0, v[12:13]
	s_lshl_b32 s20, s2, 3
	s_mov_b32 s21, s3
	v_lshl_add_u64 v[4:5], s[10:11], 0, v[12:13]
	v_lshl_add_u64 v[6:7], s[8:9], 0, v[8:9]
	;; [unrolled: 1-line block ×9, first 2 shown]
	s_mov_b64 s[22:23], 0
	s_movk_i32 s19, 0x7fff
	v_mov_b64_e32 v[24:25], s[4:5]
	v_mov_b32_e32 v26, 0x7fc0
	s_branch .LBB47_4
.LBB47_3:                               ;   in Loop: Header=BB47_4 Depth=1
	s_or_b64 exec, exec, s[2:3]
	s_add_u32 s22, s22, s18
	s_addc_u32 s23, s23, 0
	v_cmp_lt_i64_e32 vcc, s[22:23], v[24:25]
	v_lshl_add_u64 v[2:3], v[2:3], 0, s[20:21]
	v_lshl_add_u64 v[4:5], v[4:5], 0, s[20:21]
	;; [unrolled: 1-line block ×8, first 2 shown]
	s_cbranch_vccz .LBB47_20
.LBB47_4:                               ; =>This Inner Loop Header: Depth=1
	v_lshl_add_u64 v[28:29], v[0:1], 0, s[22:23]
	v_cmp_gt_u64_e32 vcc, s[16:17], v[28:29]
	v_mov_b32_e32 v28, 0
	s_and_saveexec_b64 s[2:3], vcc
	s_cbranch_execz .LBB47_6
; %bb.5:                                ;   in Loop: Header=BB47_4 Depth=1
	v_lshl_add_u64 v[28:29], v[2:3], 0, s[12:13]
	global_load_ushort v27, v[28:29], off
	s_waitcnt vmcnt(0)
	v_lshlrev_b32_e32 v28, 16, v27
.LBB47_6:                               ;   in Loop: Header=BB47_4 Depth=1
	s_or_b64 exec, exec, s[2:3]
	v_lshl_add_u64 v[30:31], v[18:19], 0, s[22:23]
	v_cmp_gt_u64_e64 s[2:3], s[16:17], v[30:31]
	v_mov_b32_e32 v27, 0
	v_mov_b32_e32 v29, 0
	s_and_saveexec_b64 s[4:5], s[2:3]
	s_cbranch_execz .LBB47_8
; %bb.7:                                ;   in Loop: Header=BB47_4 Depth=1
	v_lshl_add_u64 v[30:31], v[20:21], 0, s[12:13]
	global_load_ushort v29, v[30:31], off
	s_waitcnt vmcnt(0)
	v_lshlrev_b32_e32 v29, 16, v29
.LBB47_8:                               ;   in Loop: Header=BB47_4 Depth=1
	s_or_b64 exec, exec, s[4:5]
	v_lshl_add_u64 v[30:31], v[16:17], 0, s[22:23]
	v_cmp_gt_u64_e64 s[4:5], s[16:17], v[30:31]
	s_and_saveexec_b64 s[6:7], s[4:5]
	s_cbranch_execz .LBB47_10
; %bb.9:                                ;   in Loop: Header=BB47_4 Depth=1
	v_lshl_add_u64 v[30:31], v[12:13], 0, s[12:13]
	global_load_ushort v27, v[30:31], off
	s_waitcnt vmcnt(0)
	v_lshlrev_b32_e32 v27, 16, v27
.LBB47_10:                              ;   in Loop: Header=BB47_4 Depth=1
	s_or_b64 exec, exec, s[6:7]
	v_lshl_add_u64 v[30:31], v[10:11], 0, s[22:23]
	v_cmp_gt_u64_e64 s[6:7], s[16:17], v[30:31]
	v_mov_b32_e32 v30, 0
	s_and_saveexec_b64 s[24:25], s[6:7]
	s_cbranch_execnz .LBB47_15
; %bb.11:                               ;   in Loop: Header=BB47_4 Depth=1
	s_or_b64 exec, exec, s[24:25]
	s_and_saveexec_b64 s[24:25], vcc
	s_cbranch_execnz .LBB47_16
.LBB47_12:                              ;   in Loop: Header=BB47_4 Depth=1
	s_or_b64 exec, exec, s[24:25]
	s_and_saveexec_b64 s[24:25], s[2:3]
	s_cbranch_execnz .LBB47_17
.LBB47_13:                              ;   in Loop: Header=BB47_4 Depth=1
	s_or_b64 exec, exec, s[24:25]
	s_and_saveexec_b64 s[2:3], s[4:5]
	s_cbranch_execnz .LBB47_18
.LBB47_14:                              ;   in Loop: Header=BB47_4 Depth=1
	s_or_b64 exec, exec, s[2:3]
	s_and_saveexec_b64 s[2:3], s[6:7]
	s_cbranch_execz .LBB47_3
	s_branch .LBB47_19
.LBB47_15:                              ;   in Loop: Header=BB47_4 Depth=1
	v_lshl_add_u64 v[30:31], v[6:7], 0, s[12:13]
	global_load_ushort v30, v[30:31], off
	s_waitcnt vmcnt(0)
	v_lshlrev_b32_e32 v30, 16, v30
	s_or_b64 exec, exec, s[24:25]
	s_and_saveexec_b64 s[24:25], vcc
	s_cbranch_execz .LBB47_12
.LBB47_16:                              ;   in Loop: Header=BB47_4 Depth=1
	v_mul_f32_e32 v28, s26, v28
	v_bfe_u32 v31, v28, 16, 1
	v_add3_u32 v31, v28, v31, s19
	v_cmp_o_f32_e32 vcc, v28, v28
	v_lshl_add_u64 v[32:33], v[4:5], 0, s[12:13]
	s_nop 0
	v_cndmask_b32_sdwa v28, v26, v31, vcc dst_sel:DWORD dst_unused:UNUSED_PAD src0_sel:DWORD src1_sel:WORD_1
	global_store_short v[32:33], v28, off
	s_or_b64 exec, exec, s[24:25]
	s_and_saveexec_b64 s[24:25], s[2:3]
	s_cbranch_execz .LBB47_13
.LBB47_17:                              ;   in Loop: Header=BB47_4 Depth=1
	v_mul_f32_e32 v28, s26, v29
	v_bfe_u32 v29, v28, 16, 1
	v_add3_u32 v29, v28, v29, s19
	v_cmp_o_f32_e32 vcc, v28, v28
	s_nop 1
	v_cndmask_b32_sdwa v31, v26, v29, vcc dst_sel:DWORD dst_unused:UNUSED_PAD src0_sel:DWORD src1_sel:WORD_1
	v_lshl_add_u64 v[28:29], v[22:23], 0, s[12:13]
	global_store_short v[28:29], v31, off
	s_or_b64 exec, exec, s[24:25]
	s_and_saveexec_b64 s[2:3], s[4:5]
	s_cbranch_execz .LBB47_14
.LBB47_18:                              ;   in Loop: Header=BB47_4 Depth=1
	v_mul_f32_e32 v27, s26, v27
	v_bfe_u32 v28, v27, 16, 1
	v_add3_u32 v28, v27, v28, s19
	v_cmp_o_f32_e32 vcc, v27, v27
	s_nop 1
	v_cndmask_b32_sdwa v27, v26, v28, vcc dst_sel:DWORD dst_unused:UNUSED_PAD src0_sel:DWORD src1_sel:WORD_1
	v_lshl_add_u64 v[28:29], v[14:15], 0, s[12:13]
	global_store_short v[28:29], v27, off
	s_or_b64 exec, exec, s[2:3]
	s_and_saveexec_b64 s[2:3], s[6:7]
	s_cbranch_execz .LBB47_3
.LBB47_19:                              ;   in Loop: Header=BB47_4 Depth=1
	v_mul_f32_e32 v27, s26, v30
	v_bfe_u32 v28, v27, 16, 1
	v_add3_u32 v28, v27, v28, s19
	v_cmp_o_f32_e32 vcc, v27, v27
	s_nop 1
	v_cndmask_b32_sdwa v27, v26, v28, vcc dst_sel:DWORD dst_unused:UNUSED_PAD src0_sel:DWORD src1_sel:WORD_1
	v_lshl_add_u64 v[28:29], v[8:9], 0, s[12:13]
	global_store_short v[28:29], v27, off
	s_branch .LBB47_3
.LBB47_20:
	s_mov_b64 s[2:3], 0
.LBB47_21:
	s_andn2_b64 vcc, exec, s[2:3]
	s_cbranch_vccnz .LBB47_25
; %bb.22:
	v_mov_b64_e32 v[4:5], 0x10000
	v_cmp_lt_i64_e32 vcc, s[14:15], v[4:5]
	s_and_b64 s[2:3], vcc, exec
	v_mov_b32_e32 v3, 0
	s_cselect_b32 s7, s15, 0
	s_cselect_b32 s6, s14, 0x10000
	v_lshlrev_b32_e32 v2, 2, v0
	s_mov_b32 s5, 0
	v_cmp_gt_i64_e32 vcc, s[6:7], v[2:3]
	s_and_saveexec_b64 s[2:3], vcc
	s_cbranch_execz .LBB47_25
; %bb.23:
	s_load_dword s0, s[0:1], 0xc5c
	v_lshlrev_b32_e32 v2, 3, v0
	v_mov_b32_e32 v1, v3
	s_mov_b32 s15, s5
	v_lshl_add_u64 v[2:3], s[12:13], 0, v[2:3]
	s_waitcnt lgkmcnt(0)
	s_and_b32 s4, s0, 0xffff
	s_lshl_b32 s14, s4, 3
	s_mov_b64 s[12:13], 0
	s_movk_i32 s16, 0x7fff
	v_mov_b32_e32 v4, 0x7fc00000
	v_mov_b32_e32 v5, 0x7fc0
.LBB47_24:                              ; =>This Inner Loop Header: Depth=1
	v_lshl_add_u64 v[6:7], s[8:9], 0, v[2:3]
	global_load_dwordx2 v[6:7], v[6:7], off
	v_lshl_add_u64 v[0:1], v[0:1], 0, s[4:5]
	v_lshlrev_b64 v[10:11], 2, v[0:1]
	v_cmp_le_i64_e32 vcc, s[6:7], v[10:11]
	s_or_b64 s[12:13], vcc, s[12:13]
	v_lshl_add_u64 v[8:9], s[10:11], 0, v[2:3]
	v_lshl_add_u64 v[2:3], v[2:3], 0, s[14:15]
	s_waitcnt vmcnt(0)
	v_lshlrev_b32_e32 v10, 16, v6
	v_and_b32_e32 v11, 0xffff0000, v6
	v_alignbit_b32 v6, v7, v6, 16
	v_and_b32_e32 v7, 0xffff0000, v7
	v_mul_f32_e32 v10, s26, v10
	v_mul_f32_e32 v11, s26, v11
	v_and_b32_e32 v6, 0xffff0000, v6
	v_mul_f32_e32 v7, s26, v7
	v_bfe_u32 v12, v10, 16, 1
	v_bfe_u32 v13, v11, 16, 1
	v_mul_f32_e32 v6, s26, v6
	v_bfe_u32 v14, v7, 16, 1
	v_add3_u32 v12, v10, v12, s16
	v_add3_u32 v13, v11, v13, s16
	v_bfe_u32 v15, v6, 16, 1
	v_add3_u32 v14, v7, v14, s16
	v_lshrrev_b32_e32 v12, 16, v12
	v_and_b32_e32 v13, 0xffff0000, v13
	v_add3_u32 v15, v6, v15, s16
	v_and_b32_e32 v14, 0xffff0000, v14
	v_cmp_o_f32_e32 vcc, v7, v7
	v_cmp_o_f32_e64 s[0:1], v11, v11
	v_cmp_o_f32_e64 s[2:3], v10, v10
	v_lshrrev_b32_e32 v7, 16, v15
	v_cndmask_b32_e32 v10, v4, v14, vcc
	v_cndmask_b32_e64 v11, v4, v13, s[0:1]
	v_cndmask_b32_e64 v12, v5, v12, s[2:3]
	v_cmp_o_f32_e32 vcc, v6, v6
	v_or_b32_e32 v11, v12, v11
	s_nop 0
	v_cndmask_b32_e32 v6, v5, v7, vcc
	v_or3_b32 v7, 0, v6, v10
	v_or3_b32 v6, v11, 0, 0
	global_store_dwordx2 v[8:9], v[6:7], off
	s_andn2_b64 exec, exec, s[12:13]
	s_cbranch_execnz .LBB47_24
.LBB47_25:
	s_endpgm
	.section	.rodata,"a",@progbits
	.p2align	6, 0x0
	.amdhsa_kernel _ZN2at6native12_GLOBAL__N_125multi_tensor_apply_kernelINS1_18TensorListMetadataILi2EEENS1_21BinaryOpScalarFunctorIN3c108BFloat16ELi2ELi1ELi1EEEJSt10multipliesIfEfEEEvT_T0_DpT1_
		.amdhsa_group_segment_fixed_size 0
		.amdhsa_private_segment_fixed_size 0
		.amdhsa_kernarg_size 3408
		.amdhsa_user_sgpr_count 2
		.amdhsa_user_sgpr_dispatch_ptr 0
		.amdhsa_user_sgpr_queue_ptr 0
		.amdhsa_user_sgpr_kernarg_segment_ptr 1
		.amdhsa_user_sgpr_dispatch_id 0
		.amdhsa_user_sgpr_kernarg_preload_length 0
		.amdhsa_user_sgpr_kernarg_preload_offset 0
		.amdhsa_user_sgpr_private_segment_size 0
		.amdhsa_uses_dynamic_stack 0
		.amdhsa_enable_private_segment 0
		.amdhsa_system_sgpr_workgroup_id_x 1
		.amdhsa_system_sgpr_workgroup_id_y 0
		.amdhsa_system_sgpr_workgroup_id_z 0
		.amdhsa_system_sgpr_workgroup_info 0
		.amdhsa_system_vgpr_workitem_id 0
		.amdhsa_next_free_vgpr 34
		.amdhsa_next_free_sgpr 27
		.amdhsa_accum_offset 36
		.amdhsa_reserve_vcc 1
		.amdhsa_float_round_mode_32 0
		.amdhsa_float_round_mode_16_64 0
		.amdhsa_float_denorm_mode_32 3
		.amdhsa_float_denorm_mode_16_64 3
		.amdhsa_dx10_clamp 1
		.amdhsa_ieee_mode 1
		.amdhsa_fp16_overflow 0
		.amdhsa_tg_split 0
		.amdhsa_exception_fp_ieee_invalid_op 0
		.amdhsa_exception_fp_denorm_src 0
		.amdhsa_exception_fp_ieee_div_zero 0
		.amdhsa_exception_fp_ieee_overflow 0
		.amdhsa_exception_fp_ieee_underflow 0
		.amdhsa_exception_fp_ieee_inexact 0
		.amdhsa_exception_int_div_zero 0
	.end_amdhsa_kernel
	.section	.text._ZN2at6native12_GLOBAL__N_125multi_tensor_apply_kernelINS1_18TensorListMetadataILi2EEENS1_21BinaryOpScalarFunctorIN3c108BFloat16ELi2ELi1ELi1EEEJSt10multipliesIfEfEEEvT_T0_DpT1_,"axG",@progbits,_ZN2at6native12_GLOBAL__N_125multi_tensor_apply_kernelINS1_18TensorListMetadataILi2EEENS1_21BinaryOpScalarFunctorIN3c108BFloat16ELi2ELi1ELi1EEEJSt10multipliesIfEfEEEvT_T0_DpT1_,comdat
.Lfunc_end47:
	.size	_ZN2at6native12_GLOBAL__N_125multi_tensor_apply_kernelINS1_18TensorListMetadataILi2EEENS1_21BinaryOpScalarFunctorIN3c108BFloat16ELi2ELi1ELi1EEEJSt10multipliesIfEfEEEvT_T0_DpT1_, .Lfunc_end47-_ZN2at6native12_GLOBAL__N_125multi_tensor_apply_kernelINS1_18TensorListMetadataILi2EEENS1_21BinaryOpScalarFunctorIN3c108BFloat16ELi2ELi1ELi1EEEJSt10multipliesIfEfEEEvT_T0_DpT1_
                                        ; -- End function
	.set _ZN2at6native12_GLOBAL__N_125multi_tensor_apply_kernelINS1_18TensorListMetadataILi2EEENS1_21BinaryOpScalarFunctorIN3c108BFloat16ELi2ELi1ELi1EEEJSt10multipliesIfEfEEEvT_T0_DpT1_.num_vgpr, 34
	.set _ZN2at6native12_GLOBAL__N_125multi_tensor_apply_kernelINS1_18TensorListMetadataILi2EEENS1_21BinaryOpScalarFunctorIN3c108BFloat16ELi2ELi1ELi1EEEJSt10multipliesIfEfEEEvT_T0_DpT1_.num_agpr, 0
	.set _ZN2at6native12_GLOBAL__N_125multi_tensor_apply_kernelINS1_18TensorListMetadataILi2EEENS1_21BinaryOpScalarFunctorIN3c108BFloat16ELi2ELi1ELi1EEEJSt10multipliesIfEfEEEvT_T0_DpT1_.numbered_sgpr, 27
	.set _ZN2at6native12_GLOBAL__N_125multi_tensor_apply_kernelINS1_18TensorListMetadataILi2EEENS1_21BinaryOpScalarFunctorIN3c108BFloat16ELi2ELi1ELi1EEEJSt10multipliesIfEfEEEvT_T0_DpT1_.num_named_barrier, 0
	.set _ZN2at6native12_GLOBAL__N_125multi_tensor_apply_kernelINS1_18TensorListMetadataILi2EEENS1_21BinaryOpScalarFunctorIN3c108BFloat16ELi2ELi1ELi1EEEJSt10multipliesIfEfEEEvT_T0_DpT1_.private_seg_size, 0
	.set _ZN2at6native12_GLOBAL__N_125multi_tensor_apply_kernelINS1_18TensorListMetadataILi2EEENS1_21BinaryOpScalarFunctorIN3c108BFloat16ELi2ELi1ELi1EEEJSt10multipliesIfEfEEEvT_T0_DpT1_.uses_vcc, 1
	.set _ZN2at6native12_GLOBAL__N_125multi_tensor_apply_kernelINS1_18TensorListMetadataILi2EEENS1_21BinaryOpScalarFunctorIN3c108BFloat16ELi2ELi1ELi1EEEJSt10multipliesIfEfEEEvT_T0_DpT1_.uses_flat_scratch, 0
	.set _ZN2at6native12_GLOBAL__N_125multi_tensor_apply_kernelINS1_18TensorListMetadataILi2EEENS1_21BinaryOpScalarFunctorIN3c108BFloat16ELi2ELi1ELi1EEEJSt10multipliesIfEfEEEvT_T0_DpT1_.has_dyn_sized_stack, 0
	.set _ZN2at6native12_GLOBAL__N_125multi_tensor_apply_kernelINS1_18TensorListMetadataILi2EEENS1_21BinaryOpScalarFunctorIN3c108BFloat16ELi2ELi1ELi1EEEJSt10multipliesIfEfEEEvT_T0_DpT1_.has_recursion, 0
	.set _ZN2at6native12_GLOBAL__N_125multi_tensor_apply_kernelINS1_18TensorListMetadataILi2EEENS1_21BinaryOpScalarFunctorIN3c108BFloat16ELi2ELi1ELi1EEEJSt10multipliesIfEfEEEvT_T0_DpT1_.has_indirect_call, 0
	.section	.AMDGPU.csdata,"",@progbits
; Kernel info:
; codeLenInByte = 1468
; TotalNumSgprs: 33
; NumVgprs: 34
; NumAgprs: 0
; TotalNumVgprs: 34
; ScratchSize: 0
; MemoryBound: 0
; FloatMode: 240
; IeeeMode: 1
; LDSByteSize: 0 bytes/workgroup (compile time only)
; SGPRBlocks: 4
; VGPRBlocks: 4
; NumSGPRsForWavesPerEU: 33
; NumVGPRsForWavesPerEU: 34
; AccumOffset: 36
; Occupancy: 8
; WaveLimiterHint : 0
; COMPUTE_PGM_RSRC2:SCRATCH_EN: 0
; COMPUTE_PGM_RSRC2:USER_SGPR: 2
; COMPUTE_PGM_RSRC2:TRAP_HANDLER: 0
; COMPUTE_PGM_RSRC2:TGID_X_EN: 1
; COMPUTE_PGM_RSRC2:TGID_Y_EN: 0
; COMPUTE_PGM_RSRC2:TGID_Z_EN: 0
; COMPUTE_PGM_RSRC2:TIDIG_COMP_CNT: 0
; COMPUTE_PGM_RSRC3_GFX90A:ACCUM_OFFSET: 8
; COMPUTE_PGM_RSRC3_GFX90A:TG_SPLIT: 0
	.section	.text._ZN2at6native12_GLOBAL__N_125multi_tensor_apply_kernelINS1_18TensorListMetadataILi1EEENS1_21BinaryOpScalarFunctorIhLi1ELi1ELi0EEEJNS1_13power_functorIhEEhEEEvT_T0_DpT1_,"axG",@progbits,_ZN2at6native12_GLOBAL__N_125multi_tensor_apply_kernelINS1_18TensorListMetadataILi1EEENS1_21BinaryOpScalarFunctorIhLi1ELi1ELi0EEEJNS1_13power_functorIhEEhEEEvT_T0_DpT1_,comdat
	.globl	_ZN2at6native12_GLOBAL__N_125multi_tensor_apply_kernelINS1_18TensorListMetadataILi1EEENS1_21BinaryOpScalarFunctorIhLi1ELi1ELi0EEEJNS1_13power_functorIhEEhEEEvT_T0_DpT1_ ; -- Begin function _ZN2at6native12_GLOBAL__N_125multi_tensor_apply_kernelINS1_18TensorListMetadataILi1EEENS1_21BinaryOpScalarFunctorIhLi1ELi1ELi0EEEJNS1_13power_functorIhEEhEEEvT_T0_DpT1_
	.p2align	8
	.type	_ZN2at6native12_GLOBAL__N_125multi_tensor_apply_kernelINS1_18TensorListMetadataILi1EEENS1_21BinaryOpScalarFunctorIhLi1ELi1ELi0EEEJNS1_13power_functorIhEEhEEEvT_T0_DpT1_,@function
_ZN2at6native12_GLOBAL__N_125multi_tensor_apply_kernelINS1_18TensorListMetadataILi1EEENS1_21BinaryOpScalarFunctorIhLi1ELi1ELi0EEEJNS1_13power_functorIhEEhEEEvT_T0_DpT1_: ; @_ZN2at6native12_GLOBAL__N_125multi_tensor_apply_kernelINS1_18TensorListMetadataILi1EEENS1_21BinaryOpScalarFunctorIhLi1ELi1ELi0EEEJNS1_13power_functorIhEEhEEEvT_T0_DpT1_
; %bb.0:
	v_mov_b32_e32 v1, s2
	global_load_ubyte v1, v1, s[0:1] offset:1760
	s_load_dword s29, s[0:1], 0xd28
	s_mul_hi_u32 s3, s2, 3
	s_mul_i32 s4, s2, 3
	s_waitcnt lgkmcnt(0)
	s_lshr_b32 s28, s29, 16
	s_add_u32 s2, s0, s2
	s_addc_u32 s5, s1, 0
	s_add_u32 s2, s2, s4
	s_addc_u32 s3, s5, s3
	s_load_dword s2, s[2:3], 0x820
	s_waitcnt vmcnt(0)
	v_readfirstlane_b32 s3, v1
	s_lshl_b32 s3, s3, 3
	s_load_dwordx2 s[4:5], s[0:1], s3 offset:0x0
	s_load_dwordx2 s[6:7], s[0:1], s3 offset:0x370
	s_waitcnt lgkmcnt(0)
	s_ashr_i32 s3, s2, 31
	s_lshl_b64 s[2:3], s[2:3], 16
	s_add_u32 s12, s4, s2
	s_addc_u32 s13, s5, s3
	s_sub_u32 s14, s6, s2
	s_subb_u32 s15, s7, s3
	s_or_b32 s2, s6, s12
	s_and_b32 s2, s2, 3
	s_cmp_eq_u32 s2, 0
	s_cbranch_scc1 .LBB48_33
; %bb.1:
	v_cmp_lt_i64_e64 s[2:3], s[14:15], 1
	s_and_b64 vcc, exec, s[2:3]
	s_cbranch_vccnz .LBB48_32
; %bb.2:
	s_load_dword s6, s[0:1], 0xd3c
	v_mov_b64_e32 v[2:3], 0x10000
	v_cmp_lt_i64_e32 vcc, s[14:15], v[2:3]
	s_and_b64 s[2:3], vcc, exec
	s_cselect_b32 s5, s15, 0
	s_cselect_b32 s4, s14, 0x10000
	s_waitcnt lgkmcnt(0)
	s_and_b32 s16, s6, 0xffff
	v_cmp_lt_u64_e32 vcc, s[14:15], v[2:3]
	s_and_b64 s[2:3], vcc, exec
	s_cselect_b32 s19, s15, 0
	s_cselect_b32 s18, s14, 0x10000
	s_lshl_b32 s20, s16, 1
	s_bfe_u32 s2, s29, 0x80010
	s_cmp_lg_u32 s2, 0
	s_cselect_b64 s[2:3], -1, 0
	s_mov_b32 s17, 0
	v_cndmask_b32_e64 v2, 0, 1, s[2:3]
	v_mov_b32_e32 v1, 0
	s_mov_b32 s21, s17
	s_mul_i32 s22, s16, 3
	s_mov_b32 s23, s17
	s_lshl_b32 s30, s16, 2
	s_mov_b64 s[24:25], 0
	v_cmp_ne_u32_e64 s[2:3], 1, v2
	v_mov_b64_e32 v[2:3], s[4:5]
	s_branch .LBB48_4
.LBB48_3:                               ;   in Loop: Header=BB48_4 Depth=1
	s_or_b64 exec, exec, s[4:5]
	s_add_u32 s24, s24, s30
	s_addc_u32 s25, s25, 0
	v_cmp_ge_i64_e32 vcc, s[24:25], v[2:3]
	s_cbranch_vccnz .LBB48_32
.LBB48_4:                               ; =>This Loop Header: Depth=1
                                        ;     Child Loop BB48_14 Depth 2
                                        ;     Child Loop BB48_17 Depth 2
	;; [unrolled: 1-line block ×4, first 2 shown]
	v_lshl_add_u64 v[4:5], s[24:25], 0, v[0:1]
	v_cmp_gt_u64_e64 s[4:5], s[18:19], v[4:5]
	v_mov_b32_e32 v15, 0
	s_and_saveexec_b64 s[6:7], s[4:5]
	s_cbranch_execz .LBB48_6
; %bb.5:                                ;   in Loop: Header=BB48_4 Depth=1
	v_lshl_add_u64 v[6:7], s[12:13], 0, v[4:5]
	global_load_ubyte v15, v[6:7], off
.LBB48_6:                               ;   in Loop: Header=BB48_4 Depth=1
	s_or_b64 exec, exec, s[6:7]
	v_lshl_add_u64 v[6:7], v[4:5], 0, s[16:17]
	v_cmp_gt_u64_e64 s[6:7], s[18:19], v[6:7]
	v_mov_b32_e32 v14, 0
	v_mov_b32_e32 v16, 0
	s_and_saveexec_b64 s[8:9], s[6:7]
	s_cbranch_execz .LBB48_8
; %bb.7:                                ;   in Loop: Header=BB48_4 Depth=1
	v_lshl_add_u64 v[8:9], s[12:13], 0, v[6:7]
	global_load_ubyte v16, v[8:9], off
.LBB48_8:                               ;   in Loop: Header=BB48_4 Depth=1
	s_or_b64 exec, exec, s[8:9]
	v_lshl_add_u64 v[8:9], v[4:5], 0, s[20:21]
	v_cmp_gt_u64_e64 s[8:9], s[18:19], v[8:9]
	s_and_saveexec_b64 s[10:11], s[8:9]
	s_cbranch_execz .LBB48_10
; %bb.9:                                ;   in Loop: Header=BB48_4 Depth=1
	v_lshl_add_u64 v[10:11], s[12:13], 0, v[8:9]
	global_load_ubyte v14, v[10:11], off
.LBB48_10:                              ;   in Loop: Header=BB48_4 Depth=1
	s_or_b64 exec, exec, s[10:11]
	v_lshl_add_u64 v[10:11], v[4:5], 0, s[22:23]
	v_cmp_gt_u64_e64 s[10:11], s[18:19], v[10:11]
	v_mov_b32_e32 v13, 0
	s_and_saveexec_b64 s[26:27], s[10:11]
	s_cbranch_execz .LBB48_12
; %bb.11:                               ;   in Loop: Header=BB48_4 Depth=1
	v_lshl_add_u64 v[12:13], s[12:13], 0, v[10:11]
	global_load_ubyte v13, v[12:13], off
.LBB48_12:                              ;   in Loop: Header=BB48_4 Depth=1
	s_or_b64 exec, exec, s[26:27]
	v_mov_b32_e32 v12, 1
	s_and_b64 vcc, exec, s[2:3]
	s_cbranch_vccnz .LBB48_15
; %bb.13:                               ;   in Loop: Header=BB48_4 Depth=1
	s_mov_b32 s26, s28
.LBB48_14:                              ;   Parent Loop BB48_4 Depth=1
                                        ; =>  This Inner Loop Header: Depth=2
	s_and_b32 s27, s26, 0xff
	s_bitcmp1_b32 s26, 0
	s_cselect_b64 vcc, -1, 0
	s_waitcnt vmcnt(0)
	v_cndmask_b32_e32 v17, 1, v15, vcc
	s_bfe_u32 s26, s26, 0x70001
	v_mul_lo_u16_e32 v15, v15, v15
	s_cmp_gt_u32 s27, 1
	v_mul_lo_u16_e32 v12, v17, v12
	s_cbranch_scc1 .LBB48_14
.LBB48_15:                              ;   in Loop: Header=BB48_4 Depth=1
	s_and_b64 vcc, exec, s[2:3]
	s_cbranch_vccnz .LBB48_21
; %bb.16:                               ;   in Loop: Header=BB48_4 Depth=1
	s_waitcnt vmcnt(0)
	v_mov_b32_e32 v15, 1
	s_mov_b32 s26, s28
.LBB48_17:                              ;   Parent Loop BB48_4 Depth=1
                                        ; =>  This Inner Loop Header: Depth=2
	s_and_b32 s27, s26, 0xff
	s_bitcmp1_b32 s26, 0
	s_cselect_b64 vcc, -1, 0
	v_cndmask_b32_e32 v17, 1, v16, vcc
	s_bfe_u32 s26, s26, 0x70001
	v_mul_lo_u16_e32 v16, v16, v16
	s_cmp_gt_u32 s27, 1
	v_mul_lo_u16_e32 v15, v17, v15
	s_cbranch_scc1 .LBB48_17
; %bb.18:                               ;   in Loop: Header=BB48_4 Depth=1
	v_mov_b32_e32 v16, 1
	s_mov_b32 s26, s28
.LBB48_19:                              ;   Parent Loop BB48_4 Depth=1
                                        ; =>  This Inner Loop Header: Depth=2
	s_and_b32 s27, s26, 0xff
	s_bitcmp1_b32 s26, 0
	s_cselect_b64 vcc, -1, 0
	v_cndmask_b32_e32 v17, 1, v14, vcc
	s_bfe_u32 s26, s26, 0x70001
	v_mul_lo_u16_e32 v14, v14, v14
	s_cmp_gt_u32 s27, 1
	v_mul_lo_u16_e32 v16, v17, v16
	s_cbranch_scc1 .LBB48_19
; %bb.20:                               ;   in Loop: Header=BB48_4 Depth=1
	v_mov_b32_e32 v14, 1
	s_and_b64 vcc, exec, s[2:3]
	s_cbranch_vccz .LBB48_22
	s_branch .LBB48_24
.LBB48_21:                              ;   in Loop: Header=BB48_4 Depth=1
	s_waitcnt vmcnt(0)
	v_mov_b32_e32 v16, 1
	v_mov_b32_e32 v15, 1
	;; [unrolled: 1-line block ×3, first 2 shown]
	s_and_b64 vcc, exec, s[2:3]
	s_cbranch_vccnz .LBB48_24
.LBB48_22:                              ;   in Loop: Header=BB48_4 Depth=1
	s_mov_b32 s26, s28
.LBB48_23:                              ;   Parent Loop BB48_4 Depth=1
                                        ; =>  This Inner Loop Header: Depth=2
	s_and_b32 s27, s26, 0xff
	s_bitcmp1_b32 s26, 0
	s_cselect_b64 vcc, -1, 0
	v_cndmask_b32_e32 v17, 1, v13, vcc
	s_bfe_u32 s26, s26, 0x70001
	v_mul_lo_u16_e32 v13, v13, v13
	s_cmp_gt_u32 s27, 1
	v_mul_lo_u16_e32 v14, v17, v14
	s_cbranch_scc1 .LBB48_23
.LBB48_24:                              ;   in Loop: Header=BB48_4 Depth=1
	s_and_saveexec_b64 s[26:27], s[4:5]
	s_xor_b64 s[4:5], exec, s[26:27]
	s_cbranch_execz .LBB48_26
; %bb.25:                               ;   in Loop: Header=BB48_4 Depth=1
	v_lshl_add_u64 v[4:5], s[12:13], 0, v[4:5]
	global_store_byte v[4:5], v12, off
.LBB48_26:                              ;   in Loop: Header=BB48_4 Depth=1
	s_or_b64 exec, exec, s[4:5]
	s_and_saveexec_b64 s[4:5], s[6:7]
	s_cbranch_execnz .LBB48_29
; %bb.27:                               ;   in Loop: Header=BB48_4 Depth=1
	s_or_b64 exec, exec, s[4:5]
	s_and_saveexec_b64 s[4:5], s[8:9]
	s_cbranch_execnz .LBB48_30
.LBB48_28:                              ;   in Loop: Header=BB48_4 Depth=1
	s_or_b64 exec, exec, s[4:5]
	s_and_saveexec_b64 s[4:5], s[10:11]
	s_cbranch_execz .LBB48_3
	s_branch .LBB48_31
.LBB48_29:                              ;   in Loop: Header=BB48_4 Depth=1
	v_lshl_add_u64 v[4:5], s[12:13], 0, v[6:7]
	global_store_byte v[4:5], v15, off
	s_or_b64 exec, exec, s[4:5]
	s_and_saveexec_b64 s[4:5], s[8:9]
	s_cbranch_execz .LBB48_28
.LBB48_30:                              ;   in Loop: Header=BB48_4 Depth=1
	v_lshl_add_u64 v[4:5], s[12:13], 0, v[8:9]
	global_store_byte v[4:5], v16, off
	s_or_b64 exec, exec, s[4:5]
	s_and_saveexec_b64 s[4:5], s[10:11]
	s_cbranch_execz .LBB48_3
.LBB48_31:                              ;   in Loop: Header=BB48_4 Depth=1
	v_lshl_add_u64 v[4:5], s[12:13], 0, v[10:11]
	global_store_byte v[4:5], v14, off
	s_branch .LBB48_3
.LBB48_32:
	s_cbranch_execz .LBB48_34
	s_branch .LBB48_49
.LBB48_33:
.LBB48_34:
	v_mov_b64_e32 v[4:5], 0x10000
	v_cmp_lt_i64_e32 vcc, s[14:15], v[4:5]
	s_and_b64 s[4:5], vcc, exec
	v_mov_b32_e32 v3, 0
	s_cselect_b32 s5, s15, 0
	s_cselect_b32 s4, s14, 0x10000
	v_lshlrev_b32_e32 v2, 2, v0
	s_mov_b32 s3, 0
	v_cmp_gt_i64_e32 vcc, s[4:5], v[2:3]
	s_and_saveexec_b64 s[6:7], vcc
	s_cbranch_execz .LBB48_49
; %bb.35:
	s_load_dword s2, s[0:1], 0xd3c
	s_bfe_u32 s0, s29, 0x80010
	s_cmp_lg_u32 s0, 0
	s_cselect_b64 s[0:1], -1, 0
	v_cndmask_b32_e64 v2, 0, 1, s[0:1]
	v_mov_b32_e32 v1, v3
	s_waitcnt lgkmcnt(0)
	s_and_b32 s2, s2, 0xffff
	s_mov_b64 s[6:7], 0
	v_cmp_ne_u32_e64 s[0:1], 1, v2
	s_mov_b32 s8, 0xc0c0004
	s_branch .LBB48_38
.LBB48_36:                              ;   in Loop: Header=BB48_38 Depth=1
	s_waitcnt vmcnt(0)
	v_mov_b32_e32 v6, 1
	v_mov_b32_e32 v7, 1
.LBB48_37:                              ;   in Loop: Header=BB48_38 Depth=1
	v_perm_b32 v4, v4, v5, s8
	v_perm_b32 v5, v7, v6, s8
	v_lshl_add_u64 v[0:1], v[0:1], 0, s[2:3]
	v_lshl_or_b32 v6, v5, 16, v4
	v_lshlrev_b64 v[4:5], 2, v[0:1]
	v_cmp_le_i64_e32 vcc, s[4:5], v[4:5]
	s_or_b64 s[6:7], vcc, s[6:7]
	global_store_dword v[2:3], v6, off
	s_andn2_b64 exec, exec, s[6:7]
	s_cbranch_execz .LBB48_49
.LBB48_38:                              ; =>This Loop Header: Depth=1
                                        ;     Child Loop BB48_40 Depth 2
                                        ;     Child Loop BB48_42 Depth 2
	;; [unrolled: 1-line block ×4, first 2 shown]
	v_lshl_add_u64 v[2:3], v[0:1], 2, s[12:13]
	global_load_dword v6, v[2:3], off
	s_and_b64 vcc, exec, s[0:1]
	s_cbranch_vccnz .LBB48_44
; %bb.39:                               ;   in Loop: Header=BB48_38 Depth=1
	v_mov_b32_e32 v4, 1
	s_mov_b32 s9, s28
	s_waitcnt vmcnt(0)
	v_mov_b32_e32 v5, v6
.LBB48_40:                              ;   Parent Loop BB48_38 Depth=1
                                        ; =>  This Inner Loop Header: Depth=2
	s_and_b32 s10, s9, 0xff
	s_bitcmp1_b32 s9, 0
	s_cselect_b64 vcc, -1, 0
	v_cndmask_b32_e32 v7, 1, v5, vcc
	s_bfe_u32 s9, s9, 0x70001
	v_mul_lo_u16_e32 v5, v5, v5
	s_cmp_gt_u32 s10, 1
	v_mul_lo_u16_e32 v4, v7, v4
	s_cbranch_scc1 .LBB48_40
; %bb.41:                               ;   in Loop: Header=BB48_38 Depth=1
	v_lshrrev_b32_e32 v7, 8, v6
	v_mov_b32_e32 v5, 1
	s_mov_b32 s9, s28
.LBB48_42:                              ;   Parent Loop BB48_38 Depth=1
                                        ; =>  This Inner Loop Header: Depth=2
	s_and_b32 s10, s9, 0xff
	s_bitcmp1_b32 s9, 0
	s_cselect_b64 vcc, -1, 0
	v_cndmask_b32_e32 v8, 1, v7, vcc
	s_bfe_u32 s9, s9, 0x70001
	v_mul_lo_u16_e32 v7, v7, v7
	s_cmp_gt_u32 s10, 1
	v_mul_lo_u16_e32 v5, v8, v5
	s_cbranch_scc1 .LBB48_42
; %bb.43:                               ;   in Loop: Header=BB48_38 Depth=1
	s_and_b64 vcc, exec, s[0:1]
	s_cbranch_vccz .LBB48_45
	s_branch .LBB48_36
.LBB48_44:                              ;   in Loop: Header=BB48_38 Depth=1
	v_mov_b32_e32 v5, 1
	v_mov_b32_e32 v4, 1
	s_and_b64 vcc, exec, s[0:1]
	s_cbranch_vccnz .LBB48_36
.LBB48_45:                              ;   in Loop: Header=BB48_38 Depth=1
	s_waitcnt vmcnt(0)
	v_lshrrev_b32_e32 v8, 16, v6
	v_mov_b32_e32 v7, 1
	s_mov_b32 s9, s28
.LBB48_46:                              ;   Parent Loop BB48_38 Depth=1
                                        ; =>  This Inner Loop Header: Depth=2
	s_and_b32 s10, s9, 0xff
	s_bitcmp1_b32 s9, 0
	s_cselect_b64 vcc, -1, 0
	v_cndmask_b32_e32 v9, 1, v8, vcc
	s_bfe_u32 s9, s9, 0x70001
	v_mul_lo_u16_e32 v8, v8, v8
	s_cmp_gt_u32 s10, 1
	v_mul_lo_u16_e32 v7, v9, v7
	s_cbranch_scc1 .LBB48_46
; %bb.47:                               ;   in Loop: Header=BB48_38 Depth=1
	v_lshrrev_b32_e32 v8, 24, v6
	v_mov_b32_e32 v6, 1
	s_mov_b32 s9, s28
.LBB48_48:                              ;   Parent Loop BB48_38 Depth=1
                                        ; =>  This Inner Loop Header: Depth=2
	s_and_b32 s10, s9, 0xff
	s_bitcmp1_b32 s9, 0
	s_cselect_b64 vcc, -1, 0
	v_cndmask_b32_e32 v9, 1, v8, vcc
	s_bfe_u32 s9, s9, 0x70001
	v_mul_lo_u16_e32 v8, v8, v8
	s_cmp_gt_u32 s10, 1
	v_mul_lo_u16_e32 v6, v9, v6
	s_cbranch_scc1 .LBB48_48
	s_branch .LBB48_37
.LBB48_49:
	s_endpgm
	.section	.rodata,"a",@progbits
	.p2align	6, 0x0
	.amdhsa_kernel _ZN2at6native12_GLOBAL__N_125multi_tensor_apply_kernelINS1_18TensorListMetadataILi1EEENS1_21BinaryOpScalarFunctorIhLi1ELi1ELi0EEEJNS1_13power_functorIhEEhEEEvT_T0_DpT1_
		.amdhsa_group_segment_fixed_size 0
		.amdhsa_private_segment_fixed_size 0
		.amdhsa_kernarg_size 3632
		.amdhsa_user_sgpr_count 2
		.amdhsa_user_sgpr_dispatch_ptr 0
		.amdhsa_user_sgpr_queue_ptr 0
		.amdhsa_user_sgpr_kernarg_segment_ptr 1
		.amdhsa_user_sgpr_dispatch_id 0
		.amdhsa_user_sgpr_kernarg_preload_length 0
		.amdhsa_user_sgpr_kernarg_preload_offset 0
		.amdhsa_user_sgpr_private_segment_size 0
		.amdhsa_uses_dynamic_stack 0
		.amdhsa_enable_private_segment 0
		.amdhsa_system_sgpr_workgroup_id_x 1
		.amdhsa_system_sgpr_workgroup_id_y 0
		.amdhsa_system_sgpr_workgroup_id_z 0
		.amdhsa_system_sgpr_workgroup_info 0
		.amdhsa_system_vgpr_workitem_id 0
		.amdhsa_next_free_vgpr 18
		.amdhsa_next_free_sgpr 31
		.amdhsa_accum_offset 20
		.amdhsa_reserve_vcc 1
		.amdhsa_float_round_mode_32 0
		.amdhsa_float_round_mode_16_64 0
		.amdhsa_float_denorm_mode_32 3
		.amdhsa_float_denorm_mode_16_64 3
		.amdhsa_dx10_clamp 1
		.amdhsa_ieee_mode 1
		.amdhsa_fp16_overflow 0
		.amdhsa_tg_split 0
		.amdhsa_exception_fp_ieee_invalid_op 0
		.amdhsa_exception_fp_denorm_src 0
		.amdhsa_exception_fp_ieee_div_zero 0
		.amdhsa_exception_fp_ieee_overflow 0
		.amdhsa_exception_fp_ieee_underflow 0
		.amdhsa_exception_fp_ieee_inexact 0
		.amdhsa_exception_int_div_zero 0
	.end_amdhsa_kernel
	.section	.text._ZN2at6native12_GLOBAL__N_125multi_tensor_apply_kernelINS1_18TensorListMetadataILi1EEENS1_21BinaryOpScalarFunctorIhLi1ELi1ELi0EEEJNS1_13power_functorIhEEhEEEvT_T0_DpT1_,"axG",@progbits,_ZN2at6native12_GLOBAL__N_125multi_tensor_apply_kernelINS1_18TensorListMetadataILi1EEENS1_21BinaryOpScalarFunctorIhLi1ELi1ELi0EEEJNS1_13power_functorIhEEhEEEvT_T0_DpT1_,comdat
.Lfunc_end48:
	.size	_ZN2at6native12_GLOBAL__N_125multi_tensor_apply_kernelINS1_18TensorListMetadataILi1EEENS1_21BinaryOpScalarFunctorIhLi1ELi1ELi0EEEJNS1_13power_functorIhEEhEEEvT_T0_DpT1_, .Lfunc_end48-_ZN2at6native12_GLOBAL__N_125multi_tensor_apply_kernelINS1_18TensorListMetadataILi1EEENS1_21BinaryOpScalarFunctorIhLi1ELi1ELi0EEEJNS1_13power_functorIhEEhEEEvT_T0_DpT1_
                                        ; -- End function
	.set _ZN2at6native12_GLOBAL__N_125multi_tensor_apply_kernelINS1_18TensorListMetadataILi1EEENS1_21BinaryOpScalarFunctorIhLi1ELi1ELi0EEEJNS1_13power_functorIhEEhEEEvT_T0_DpT1_.num_vgpr, 18
	.set _ZN2at6native12_GLOBAL__N_125multi_tensor_apply_kernelINS1_18TensorListMetadataILi1EEENS1_21BinaryOpScalarFunctorIhLi1ELi1ELi0EEEJNS1_13power_functorIhEEhEEEvT_T0_DpT1_.num_agpr, 0
	.set _ZN2at6native12_GLOBAL__N_125multi_tensor_apply_kernelINS1_18TensorListMetadataILi1EEENS1_21BinaryOpScalarFunctorIhLi1ELi1ELi0EEEJNS1_13power_functorIhEEhEEEvT_T0_DpT1_.numbered_sgpr, 31
	.set _ZN2at6native12_GLOBAL__N_125multi_tensor_apply_kernelINS1_18TensorListMetadataILi1EEENS1_21BinaryOpScalarFunctorIhLi1ELi1ELi0EEEJNS1_13power_functorIhEEhEEEvT_T0_DpT1_.num_named_barrier, 0
	.set _ZN2at6native12_GLOBAL__N_125multi_tensor_apply_kernelINS1_18TensorListMetadataILi1EEENS1_21BinaryOpScalarFunctorIhLi1ELi1ELi0EEEJNS1_13power_functorIhEEhEEEvT_T0_DpT1_.private_seg_size, 0
	.set _ZN2at6native12_GLOBAL__N_125multi_tensor_apply_kernelINS1_18TensorListMetadataILi1EEENS1_21BinaryOpScalarFunctorIhLi1ELi1ELi0EEEJNS1_13power_functorIhEEhEEEvT_T0_DpT1_.uses_vcc, 1
	.set _ZN2at6native12_GLOBAL__N_125multi_tensor_apply_kernelINS1_18TensorListMetadataILi1EEENS1_21BinaryOpScalarFunctorIhLi1ELi1ELi0EEEJNS1_13power_functorIhEEhEEEvT_T0_DpT1_.uses_flat_scratch, 0
	.set _ZN2at6native12_GLOBAL__N_125multi_tensor_apply_kernelINS1_18TensorListMetadataILi1EEENS1_21BinaryOpScalarFunctorIhLi1ELi1ELi0EEEJNS1_13power_functorIhEEhEEEvT_T0_DpT1_.has_dyn_sized_stack, 0
	.set _ZN2at6native12_GLOBAL__N_125multi_tensor_apply_kernelINS1_18TensorListMetadataILi1EEENS1_21BinaryOpScalarFunctorIhLi1ELi1ELi0EEEJNS1_13power_functorIhEEhEEEvT_T0_DpT1_.has_recursion, 0
	.set _ZN2at6native12_GLOBAL__N_125multi_tensor_apply_kernelINS1_18TensorListMetadataILi1EEENS1_21BinaryOpScalarFunctorIhLi1ELi1ELi0EEEJNS1_13power_functorIhEEhEEEvT_T0_DpT1_.has_indirect_call, 0
	.section	.AMDGPU.csdata,"",@progbits
; Kernel info:
; codeLenInByte = 1412
; TotalNumSgprs: 37
; NumVgprs: 18
; NumAgprs: 0
; TotalNumVgprs: 18
; ScratchSize: 0
; MemoryBound: 0
; FloatMode: 240
; IeeeMode: 1
; LDSByteSize: 0 bytes/workgroup (compile time only)
; SGPRBlocks: 4
; VGPRBlocks: 2
; NumSGPRsForWavesPerEU: 37
; NumVGPRsForWavesPerEU: 18
; AccumOffset: 20
; Occupancy: 8
; WaveLimiterHint : 0
; COMPUTE_PGM_RSRC2:SCRATCH_EN: 0
; COMPUTE_PGM_RSRC2:USER_SGPR: 2
; COMPUTE_PGM_RSRC2:TRAP_HANDLER: 0
; COMPUTE_PGM_RSRC2:TGID_X_EN: 1
; COMPUTE_PGM_RSRC2:TGID_Y_EN: 0
; COMPUTE_PGM_RSRC2:TGID_Z_EN: 0
; COMPUTE_PGM_RSRC2:TIDIG_COMP_CNT: 0
; COMPUTE_PGM_RSRC3_GFX90A:ACCUM_OFFSET: 4
; COMPUTE_PGM_RSRC3_GFX90A:TG_SPLIT: 0
	.section	.text._ZN2at6native12_GLOBAL__N_125multi_tensor_apply_kernelINS1_18TensorListMetadataILi1EEENS1_21BinaryOpScalarFunctorIaLi1ELi1ELi0EEEJNS1_13power_functorIaEEaEEEvT_T0_DpT1_,"axG",@progbits,_ZN2at6native12_GLOBAL__N_125multi_tensor_apply_kernelINS1_18TensorListMetadataILi1EEENS1_21BinaryOpScalarFunctorIaLi1ELi1ELi0EEEJNS1_13power_functorIaEEaEEEvT_T0_DpT1_,comdat
	.globl	_ZN2at6native12_GLOBAL__N_125multi_tensor_apply_kernelINS1_18TensorListMetadataILi1EEENS1_21BinaryOpScalarFunctorIaLi1ELi1ELi0EEEJNS1_13power_functorIaEEaEEEvT_T0_DpT1_ ; -- Begin function _ZN2at6native12_GLOBAL__N_125multi_tensor_apply_kernelINS1_18TensorListMetadataILi1EEENS1_21BinaryOpScalarFunctorIaLi1ELi1ELi0EEEJNS1_13power_functorIaEEaEEEvT_T0_DpT1_
	.p2align	8
	.type	_ZN2at6native12_GLOBAL__N_125multi_tensor_apply_kernelINS1_18TensorListMetadataILi1EEENS1_21BinaryOpScalarFunctorIaLi1ELi1ELi0EEEJNS1_13power_functorIaEEaEEEvT_T0_DpT1_,@function
_ZN2at6native12_GLOBAL__N_125multi_tensor_apply_kernelINS1_18TensorListMetadataILi1EEENS1_21BinaryOpScalarFunctorIaLi1ELi1ELi0EEEJNS1_13power_functorIaEEaEEEvT_T0_DpT1_: ; @_ZN2at6native12_GLOBAL__N_125multi_tensor_apply_kernelINS1_18TensorListMetadataILi1EEENS1_21BinaryOpScalarFunctorIaLi1ELi1ELi0EEEJNS1_13power_functorIaEEaEEEvT_T0_DpT1_
; %bb.0:
	v_mov_b32_e32 v1, s2
	global_load_ubyte v1, v1, s[0:1] offset:1760
	s_load_dword s38, s[0:1], 0xd28
	s_mul_hi_u32 s3, s2, 3
	s_mul_i32 s4, s2, 3
	s_waitcnt lgkmcnt(0)
	s_lshr_b32 s33, s38, 16
	s_add_u32 s2, s0, s2
	s_addc_u32 s5, s1, 0
	s_add_u32 s2, s2, s4
	s_addc_u32 s3, s5, s3
	s_load_dword s2, s[2:3], 0x820
	s_waitcnt vmcnt(0)
	v_readfirstlane_b32 s3, v1
	s_lshl_b32 s3, s3, 3
	s_load_dwordx2 s[4:5], s[0:1], s3 offset:0x0
	s_load_dwordx2 s[6:7], s[0:1], s3 offset:0x370
	s_waitcnt lgkmcnt(0)
	s_ashr_i32 s3, s2, 31
	s_lshl_b64 s[2:3], s[2:3], 16
	s_add_u32 s14, s4, s2
	s_addc_u32 s15, s5, s3
	s_sub_u32 s16, s6, s2
	s_subb_u32 s17, s7, s3
	s_or_b32 s2, s6, s14
	s_and_b32 s2, s2, 3
	s_cmp_eq_u32 s2, 0
	s_cbranch_scc1 .LBB49_73
; %bb.1:
	v_cmp_lt_i64_e64 s[2:3], s[16:17], 1
	s_and_b64 vcc, exec, s[2:3]
	s_cbranch_vccnz .LBB49_72
; %bb.2:
	s_load_dword s4, s[0:1], 0xd3c
	v_mov_b64_e32 v[2:3], 0x10000
	v_cmp_lt_i64_e32 vcc, s[16:17], v[2:3]
	s_and_b64 s[2:3], vcc, exec
	s_cselect_b32 s21, s17, 0
	s_cselect_b32 s20, s16, 0x10000
	s_waitcnt lgkmcnt(0)
	s_and_b32 s18, s4, 0xffff
	v_cmp_lt_u64_e32 vcc, s[16:17], v[2:3]
	s_and_b64 s[2:3], vcc, exec
	s_cselect_b32 s23, s17, 0
	s_cselect_b32 s22, s16, 0x10000
	s_lshl_b32 s24, s18, 1
	s_bfe_i32 s2, s38, 0x80010
	s_cmp_gt_i32 s2, -1
	s_cselect_b64 s[28:29], -1, 0
	s_bfe_u32 s2, s38, 0x80010
	s_cmp_lg_u32 s2, 0
	s_cselect_b64 s[2:3], -1, 0
	s_bfe_u32 s4, s38, 0x10010
	v_cndmask_b32_e64 v2, 0, 1, s[2:3]
	s_mov_b32 s19, 0
	s_cmp_eq_u32 s4, 0
	v_cmp_ne_u32_e64 s[2:3], 1, v2
	v_cndmask_b32_e64 v2, 0, 1, s[28:29]
	v_mov_b32_e32 v1, 0
	s_mov_b32 s25, s19
	s_mul_i32 s26, s18, 3
	s_mov_b32 s27, s19
	s_cselect_b32 s39, 1, 0xffff
	s_lshl_b32 s40, s18, 2
	s_mov_b64 s[30:31], 0
	s_movk_i32 s41, 0xfe
	v_cmp_ne_u32_e64 s[4:5], 1, v2
	v_mov_b32_e32 v10, 1
	s_branch .LBB49_4
.LBB49_3:                               ;   in Loop: Header=BB49_4 Depth=1
	s_or_b64 exec, exec, s[6:7]
	s_add_u32 s30, s30, s40
	s_addc_u32 s31, s31, 0
	v_mov_b64_e32 v[2:3], s[20:21]
	v_cmp_ge_i64_e32 vcc, s[30:31], v[2:3]
	s_cbranch_vccnz .LBB49_72
.LBB49_4:                               ; =>This Loop Header: Depth=1
                                        ;     Child Loop BB49_15 Depth 2
                                        ;     Child Loop BB49_20 Depth 2
                                        ;     Child Loop BB49_25 Depth 2
                                        ;     Child Loop BB49_30 Depth 2
	v_lshl_add_u64 v[8:9], s[30:31], 0, v[0:1]
	v_cmp_gt_u64_e64 s[6:7], s[22:23], v[8:9]
	v_lshl_add_u64 v[2:3], s[14:15], 0, v[8:9]
	s_waitcnt vmcnt(0)
	v_mov_b32_e32 v14, 0
	s_and_saveexec_b64 s[8:9], s[6:7]
	s_cbranch_execz .LBB49_6
; %bb.5:                                ;   in Loop: Header=BB49_4 Depth=1
	global_load_ubyte v14, v[2:3], off
.LBB49_6:                               ;   in Loop: Header=BB49_4 Depth=1
	s_or_b64 exec, exec, s[8:9]
	v_lshl_add_u64 v[4:5], v[8:9], 0, s[18:19]
	v_cmp_gt_u64_e64 s[8:9], s[22:23], v[4:5]
	v_mov_b32_e32 v13, 0
	v_lshl_add_u64 v[4:5], s[14:15], 0, v[4:5]
	v_mov_b32_e32 v15, 0
	s_and_saveexec_b64 s[10:11], s[8:9]
	s_cbranch_execz .LBB49_8
; %bb.7:                                ;   in Loop: Header=BB49_4 Depth=1
	global_load_ubyte v15, v[4:5], off
.LBB49_8:                               ;   in Loop: Header=BB49_4 Depth=1
	s_or_b64 exec, exec, s[10:11]
	v_lshl_add_u64 v[6:7], v[8:9], 0, s[24:25]
	v_cmp_gt_u64_e64 s[10:11], s[22:23], v[6:7]
	v_lshl_add_u64 v[6:7], s[14:15], 0, v[6:7]
	s_and_saveexec_b64 s[12:13], s[10:11]
	s_cbranch_execz .LBB49_10
; %bb.9:                                ;   in Loop: Header=BB49_4 Depth=1
	global_load_ubyte v13, v[6:7], off
.LBB49_10:                              ;   in Loop: Header=BB49_4 Depth=1
	s_or_b64 exec, exec, s[12:13]
	v_lshl_add_u64 v[8:9], v[8:9], 0, s[26:27]
	v_cmp_gt_u64_e64 s[12:13], s[22:23], v[8:9]
	v_mov_b32_e32 v11, 0
	v_lshl_add_u64 v[8:9], s[14:15], 0, v[8:9]
	s_and_saveexec_b64 s[34:35], s[12:13]
	s_cbranch_execz .LBB49_12
; %bb.11:                               ;   in Loop: Header=BB49_4 Depth=1
	global_load_ubyte v11, v[8:9], off
.LBB49_12:                              ;   in Loop: Header=BB49_4 Depth=1
	s_or_b64 exec, exec, s[34:35]
	s_mov_b64 s[34:35], -1
	s_and_b64 vcc, exec, s[28:29]
                                        ; implicit-def: $vgpr12
	s_cbranch_vccz .LBB49_36
; %bb.13:                               ;   in Loop: Header=BB49_4 Depth=1
	v_mov_b32_e32 v12, 1
	s_and_b64 vcc, exec, s[2:3]
	s_cbranch_vccnz .LBB49_16
; %bb.14:                               ;   in Loop: Header=BB49_4 Depth=1
	s_mov_b32 s34, s33
	s_waitcnt vmcnt(0)
	v_mov_b32_e32 v16, v14
.LBB49_15:                              ;   Parent Loop BB49_4 Depth=1
                                        ; =>  This Inner Loop Header: Depth=2
	s_bfe_i32 s35, s34, 0x80000
	s_bitcmp1_b32 s34, 0
	s_cselect_b64 vcc, -1, 0
	s_sext_i32_i16 s35, s35
	v_cndmask_b32_e32 v17, 1, v16, vcc
	s_bfe_u32 s34, s34, 0x70001
	v_mul_lo_u16_e32 v16, v16, v16
	s_cmp_gt_i32 s35, 1
	v_mul_lo_u16_e32 v12, v17, v12
	s_cbranch_scc1 .LBB49_15
.LBB49_16:                              ;   in Loop: Header=BB49_4 Depth=1
	s_cbranch_execz .LBB49_37
.LBB49_17:                              ;   in Loop: Header=BB49_4 Depth=1
	s_and_b64 vcc, exec, s[4:5]
	s_mov_b64 s[34:35], -1
                                        ; implicit-def: $vgpr14
	s_cbranch_vccnz .LBB49_44
.LBB49_18:                              ;   in Loop: Header=BB49_4 Depth=1
	s_waitcnt vmcnt(0)
	v_mov_b32_e32 v14, 1
	s_and_b64 vcc, exec, s[2:3]
	s_cbranch_vccnz .LBB49_21
; %bb.19:                               ;   in Loop: Header=BB49_4 Depth=1
	s_mov_b32 s34, s33
	v_mov_b32_e32 v16, v15
.LBB49_20:                              ;   Parent Loop BB49_4 Depth=1
                                        ; =>  This Inner Loop Header: Depth=2
	s_bfe_i32 s35, s34, 0x80000
	s_bitcmp1_b32 s34, 0
	s_cselect_b64 vcc, -1, 0
	s_sext_i32_i16 s35, s35
	v_cndmask_b32_e32 v17, 1, v16, vcc
	s_bfe_u32 s34, s34, 0x70001
	v_mul_lo_u16_e32 v16, v16, v16
	s_cmp_lt_i32 s35, 2
	v_mul_lo_u16_e32 v14, v17, v14
	s_cbranch_scc0 .LBB49_20
.LBB49_21:                              ;   in Loop: Header=BB49_4 Depth=1
	s_cbranch_execz .LBB49_45
.LBB49_22:                              ;   in Loop: Header=BB49_4 Depth=1
	s_and_b64 vcc, exec, s[4:5]
	s_mov_b64 s[34:35], -1
                                        ; implicit-def: $vgpr15
	s_cbranch_vccnz .LBB49_52
.LBB49_23:                              ;   in Loop: Header=BB49_4 Depth=1
	s_waitcnt vmcnt(0)
	v_mov_b32_e32 v15, 1
	s_and_b64 vcc, exec, s[2:3]
	s_cbranch_vccnz .LBB49_26
; %bb.24:                               ;   in Loop: Header=BB49_4 Depth=1
	s_mov_b32 s34, s33
	v_mov_b32_e32 v16, v13
.LBB49_25:                              ;   Parent Loop BB49_4 Depth=1
                                        ; =>  This Inner Loop Header: Depth=2
	s_bfe_i32 s35, s34, 0x80000
	s_bitcmp1_b32 s34, 0
	s_cselect_b64 vcc, -1, 0
	s_sext_i32_i16 s35, s35
	v_cndmask_b32_e32 v17, 1, v16, vcc
	s_bfe_u32 s34, s34, 0x70001
	v_mul_lo_u16_e32 v16, v16, v16
	s_cmp_lt_i32 s35, 2
	v_mul_lo_u16_e32 v15, v17, v15
	s_cbranch_scc0 .LBB49_25
.LBB49_26:                              ;   in Loop: Header=BB49_4 Depth=1
	s_cbranch_execz .LBB49_53
.LBB49_27:                              ;   in Loop: Header=BB49_4 Depth=1
	s_and_b64 vcc, exec, s[4:5]
	s_mov_b64 s[34:35], -1
                                        ; implicit-def: $vgpr13
	s_cbranch_vccnz .LBB49_60
.LBB49_28:                              ;   in Loop: Header=BB49_4 Depth=1
	s_waitcnt vmcnt(0)
	v_mov_b32_e32 v13, 1
	s_and_b64 vcc, exec, s[2:3]
	s_cbranch_vccnz .LBB49_31
; %bb.29:                               ;   in Loop: Header=BB49_4 Depth=1
	s_mov_b32 s34, s33
	v_mov_b32_e32 v16, v11
.LBB49_30:                              ;   Parent Loop BB49_4 Depth=1
                                        ; =>  This Inner Loop Header: Depth=2
	s_bfe_i32 s35, s34, 0x80000
	s_bitcmp1_b32 s34, 0
	s_cselect_b64 vcc, -1, 0
	s_sext_i32_i16 s35, s35
	v_cndmask_b32_e32 v17, 1, v16, vcc
	s_bfe_u32 s34, s34, 0x70001
	v_mul_lo_u16_e32 v16, v16, v16
	s_cmp_lt_i32 s35, 2
	v_mul_lo_u16_e32 v13, v17, v13
	s_cbranch_scc0 .LBB49_30
.LBB49_31:                              ;   in Loop: Header=BB49_4 Depth=1
	s_cbranch_execz .LBB49_61
.LBB49_32:                              ;   in Loop: Header=BB49_4 Depth=1
	s_and_saveexec_b64 s[34:35], s[6:7]
	s_xor_b64 s[6:7], exec, s[34:35]
	s_cbranch_execz .LBB49_68
.LBB49_33:                              ;   in Loop: Header=BB49_4 Depth=1
	global_store_byte v[2:3], v12, off
	s_or_b64 exec, exec, s[6:7]
	s_and_saveexec_b64 s[6:7], s[8:9]
	s_cbranch_execnz .LBB49_69
.LBB49_34:                              ;   in Loop: Header=BB49_4 Depth=1
	s_or_b64 exec, exec, s[6:7]
	s_and_saveexec_b64 s[6:7], s[10:11]
	s_cbranch_execz .LBB49_70
.LBB49_35:                              ;   in Loop: Header=BB49_4 Depth=1
	s_waitcnt vmcnt(0)
	global_store_byte v[6:7], v15, off
	s_or_b64 exec, exec, s[6:7]
	s_and_saveexec_b64 s[6:7], s[12:13]
	s_cbranch_execz .LBB49_3
	s_branch .LBB49_71
.LBB49_36:                              ;   in Loop: Header=BB49_4 Depth=1
	s_andn2_b64 vcc, exec, s[34:35]
	s_cbranch_vccnz .LBB49_17
.LBB49_37:                              ;   in Loop: Header=BB49_4 Depth=1
	s_waitcnt vmcnt(0)
	v_cmp_gt_i16_sdwa s[34:35], v14, s41 src0_sel:BYTE_0 src1_sel:DWORD
	s_and_saveexec_b64 s[36:37], s[34:35]
	s_xor_b64 s[34:35], exec, s[36:37]
; %bb.38:                               ;   in Loop: Header=BB49_4 Depth=1
                                        ; implicit-def: $vgpr14
; %bb.39:                               ;   in Loop: Header=BB49_4 Depth=1
	s_or_saveexec_b64 s[34:35], s[34:35]
	v_mov_b32_e32 v12, s39
	s_xor_b64 exec, exec, s[34:35]
	s_cbranch_execz .LBB49_43
; %bb.40:                               ;   in Loop: Header=BB49_4 Depth=1
	v_mov_b32_e32 v12, 1
	v_cmp_ne_u16_sdwa s[42:43], v14, v10 src0_sel:BYTE_0 src1_sel:DWORD
	s_and_saveexec_b64 s[36:37], s[42:43]
; %bb.41:                               ;   in Loop: Header=BB49_4 Depth=1
	v_mov_b32_e32 v12, 0
; %bb.42:                               ;   in Loop: Header=BB49_4 Depth=1
	s_or_b64 exec, exec, s[36:37]
.LBB49_43:                              ;   in Loop: Header=BB49_4 Depth=1
	s_or_b64 exec, exec, s[34:35]
	s_and_b64 vcc, exec, s[4:5]
	s_mov_b64 s[34:35], -1
                                        ; implicit-def: $vgpr14
	s_cbranch_vccz .LBB49_18
.LBB49_44:                              ;   in Loop: Header=BB49_4 Depth=1
	s_andn2_b64 vcc, exec, s[34:35]
	s_cbranch_vccnz .LBB49_22
.LBB49_45:                              ;   in Loop: Header=BB49_4 Depth=1
	s_waitcnt vmcnt(0)
	v_cmp_gt_i16_sdwa s[34:35], v15, s41 src0_sel:BYTE_0 src1_sel:DWORD
	s_and_saveexec_b64 s[36:37], s[34:35]
	s_xor_b64 s[34:35], exec, s[36:37]
; %bb.46:                               ;   in Loop: Header=BB49_4 Depth=1
                                        ; implicit-def: $vgpr15
; %bb.47:                               ;   in Loop: Header=BB49_4 Depth=1
	s_or_saveexec_b64 s[34:35], s[34:35]
	v_mov_b32_e32 v14, s39
	s_xor_b64 exec, exec, s[34:35]
	s_cbranch_execz .LBB49_51
; %bb.48:                               ;   in Loop: Header=BB49_4 Depth=1
	v_mov_b32_e32 v14, 1
	v_cmp_ne_u16_sdwa s[42:43], v15, v10 src0_sel:BYTE_0 src1_sel:DWORD
	s_and_saveexec_b64 s[36:37], s[42:43]
; %bb.49:                               ;   in Loop: Header=BB49_4 Depth=1
	v_mov_b32_e32 v14, 0
; %bb.50:                               ;   in Loop: Header=BB49_4 Depth=1
	s_or_b64 exec, exec, s[36:37]
.LBB49_51:                              ;   in Loop: Header=BB49_4 Depth=1
	s_or_b64 exec, exec, s[34:35]
	s_and_b64 vcc, exec, s[4:5]
	s_mov_b64 s[34:35], -1
                                        ; implicit-def: $vgpr15
	s_cbranch_vccz .LBB49_23
.LBB49_52:                              ;   in Loop: Header=BB49_4 Depth=1
	s_andn2_b64 vcc, exec, s[34:35]
	s_cbranch_vccnz .LBB49_27
.LBB49_53:                              ;   in Loop: Header=BB49_4 Depth=1
	s_waitcnt vmcnt(0)
	v_cmp_gt_i16_sdwa s[34:35], v13, s41 src0_sel:BYTE_0 src1_sel:DWORD
	s_and_saveexec_b64 s[36:37], s[34:35]
	s_xor_b64 s[34:35], exec, s[36:37]
; %bb.54:                               ;   in Loop: Header=BB49_4 Depth=1
                                        ; implicit-def: $vgpr13
; %bb.55:                               ;   in Loop: Header=BB49_4 Depth=1
	s_or_saveexec_b64 s[34:35], s[34:35]
	v_mov_b32_e32 v15, s39
	s_xor_b64 exec, exec, s[34:35]
	s_cbranch_execz .LBB49_59
; %bb.56:                               ;   in Loop: Header=BB49_4 Depth=1
	v_mov_b32_e32 v15, 1
	v_cmp_ne_u16_sdwa s[42:43], v13, v10 src0_sel:BYTE_0 src1_sel:DWORD
	s_and_saveexec_b64 s[36:37], s[42:43]
; %bb.57:                               ;   in Loop: Header=BB49_4 Depth=1
	v_mov_b32_e32 v15, 0
; %bb.58:                               ;   in Loop: Header=BB49_4 Depth=1
	s_or_b64 exec, exec, s[36:37]
.LBB49_59:                              ;   in Loop: Header=BB49_4 Depth=1
	s_or_b64 exec, exec, s[34:35]
	s_and_b64 vcc, exec, s[4:5]
	s_mov_b64 s[34:35], -1
                                        ; implicit-def: $vgpr13
	s_cbranch_vccz .LBB49_28
.LBB49_60:                              ;   in Loop: Header=BB49_4 Depth=1
	s_andn2_b64 vcc, exec, s[34:35]
	s_cbranch_vccnz .LBB49_32
.LBB49_61:                              ;   in Loop: Header=BB49_4 Depth=1
	s_waitcnt vmcnt(0)
	v_cmp_gt_i16_sdwa s[34:35], v11, s41 src0_sel:BYTE_0 src1_sel:DWORD
	s_and_saveexec_b64 s[36:37], s[34:35]
	s_xor_b64 s[34:35], exec, s[36:37]
; %bb.62:                               ;   in Loop: Header=BB49_4 Depth=1
                                        ; implicit-def: $vgpr11
; %bb.63:                               ;   in Loop: Header=BB49_4 Depth=1
	s_or_saveexec_b64 s[34:35], s[34:35]
	v_mov_b32_e32 v13, s39
	s_xor_b64 exec, exec, s[34:35]
	s_cbranch_execz .LBB49_67
; %bb.64:                               ;   in Loop: Header=BB49_4 Depth=1
	v_mov_b32_e32 v13, 1
	v_cmp_ne_u16_sdwa s[42:43], v11, v10 src0_sel:BYTE_0 src1_sel:DWORD
	s_and_saveexec_b64 s[36:37], s[42:43]
; %bb.65:                               ;   in Loop: Header=BB49_4 Depth=1
	v_mov_b32_e32 v13, 0
; %bb.66:                               ;   in Loop: Header=BB49_4 Depth=1
	s_or_b64 exec, exec, s[36:37]
.LBB49_67:                              ;   in Loop: Header=BB49_4 Depth=1
	s_or_b64 exec, exec, s[34:35]
	s_and_saveexec_b64 s[34:35], s[6:7]
	s_xor_b64 s[6:7], exec, s[34:35]
	s_cbranch_execnz .LBB49_33
.LBB49_68:                              ;   in Loop: Header=BB49_4 Depth=1
	s_or_b64 exec, exec, s[6:7]
	s_and_saveexec_b64 s[6:7], s[8:9]
	s_cbranch_execz .LBB49_34
.LBB49_69:                              ;   in Loop: Header=BB49_4 Depth=1
	s_waitcnt vmcnt(0)
	global_store_byte v[4:5], v14, off
	s_or_b64 exec, exec, s[6:7]
	s_and_saveexec_b64 s[6:7], s[10:11]
	s_cbranch_execnz .LBB49_35
.LBB49_70:                              ;   in Loop: Header=BB49_4 Depth=1
	s_or_b64 exec, exec, s[6:7]
	s_and_saveexec_b64 s[6:7], s[12:13]
	s_cbranch_execz .LBB49_3
.LBB49_71:                              ;   in Loop: Header=BB49_4 Depth=1
	s_waitcnt vmcnt(0)
	global_store_byte v[8:9], v13, off
	s_branch .LBB49_3
.LBB49_72:
	s_cbranch_execz .LBB49_74
	s_branch .LBB49_127
.LBB49_73:
.LBB49_74:
	v_mov_b64_e32 v[4:5], 0x10000
	v_cmp_lt_i64_e32 vcc, s[16:17], v[4:5]
	s_and_b64 s[2:3], vcc, exec
	v_mov_b32_e32 v3, 0
	s_cselect_b32 s7, s17, 0
	s_cselect_b32 s6, s16, 0x10000
	v_lshlrev_b32_e32 v2, 2, v0
	s_mov_b32 s5, 0
	v_cmp_gt_i64_e32 vcc, s[6:7], v[2:3]
	s_and_saveexec_b64 s[2:3], vcc
	s_cbranch_execz .LBB49_127
; %bb.75:
	s_bfe_i32 s2, s38, 0x80010
	s_cmp_gt_i32 s2, -1
	s_cselect_b64 s[8:9], -1, 0
	s_bfe_u32 s2, s38, 0x80010
	s_cmp_lg_u32 s2, 0
	s_load_dword s2, s[0:1], 0xd3c
	s_cselect_b64 s[0:1], -1, 0
	s_bfe_u32 s3, s38, 0x10010
	v_cndmask_b32_e64 v2, 0, 1, s[0:1]
	s_cmp_eq_u32 s3, 0
	v_cmp_ne_u32_e64 s[0:1], 1, v2
	v_cndmask_b32_e64 v2, 0, 1, s[8:9]
	v_mov_b32_e32 v1, v3
	s_cselect_b32 s18, 1, 0xffff
	s_waitcnt lgkmcnt(0)
	s_and_b32 s4, s2, 0xffff
	s_mov_b64 s[10:11], 0
	s_movk_i32 s19, 0xfe
	v_cmp_ne_u32_e64 s[2:3], 1, v2
	s_mov_b32 s20, 0xc0c0004
	v_mov_b32_e32 v4, 1
	s_branch .LBB49_79
.LBB49_76:                              ;   in Loop: Header=BB49_79 Depth=1
	s_or_b64 exec, exec, s[16:17]
.LBB49_77:                              ;   in Loop: Header=BB49_79 Depth=1
	s_or_b64 exec, exec, s[12:13]
.LBB49_78:                              ;   in Loop: Header=BB49_79 Depth=1
	v_perm_b32 v5, v5, v7, s20
	v_perm_b32 v6, v8, v9, s20
	v_lshl_add_u64 v[0:1], v[0:1], 0, s[4:5]
	v_lshl_or_b32 v5, v6, 16, v5
	v_lshlrev_b64 v[6:7], 2, v[0:1]
	v_cmp_le_i64_e32 vcc, s[6:7], v[6:7]
	s_or_b64 s[10:11], vcc, s[10:11]
	global_store_dword v[2:3], v5, off
	s_andn2_b64 exec, exec, s[10:11]
	s_cbranch_execz .LBB49_127
.LBB49_79:                              ; =>This Loop Header: Depth=1
                                        ;     Child Loop BB49_82 Depth 2
                                        ;     Child Loop BB49_87 Depth 2
	;; [unrolled: 1-line block ×4, first 2 shown]
	v_lshl_add_u64 v[2:3], v[0:1], 2, s[14:15]
	global_load_dword v6, v[2:3], off
	s_mov_b64 s[12:13], -1
	s_and_b64 vcc, exec, s[8:9]
                                        ; implicit-def: $vgpr5
	s_cbranch_vccz .LBB49_99
; %bb.80:                               ;   in Loop: Header=BB49_79 Depth=1
	v_mov_b32_e32 v5, 1
	s_and_b64 vcc, exec, s[0:1]
	s_cbranch_vccnz .LBB49_83
; %bb.81:                               ;   in Loop: Header=BB49_79 Depth=1
	s_mov_b32 s12, s33
	s_waitcnt vmcnt(0)
	v_mov_b32_e32 v7, v6
.LBB49_82:                              ;   Parent Loop BB49_79 Depth=1
                                        ; =>  This Inner Loop Header: Depth=2
	s_bfe_i32 s13, s12, 0x80000
	s_bitcmp1_b32 s12, 0
	s_cselect_b64 vcc, -1, 0
	s_sext_i32_i16 s13, s13
	v_cndmask_b32_e32 v8, 1, v7, vcc
	s_bfe_u32 s12, s12, 0x70001
	v_mul_lo_u16_e32 v7, v7, v7
	s_cmp_gt_i32 s13, 1
	v_mul_lo_u16_e32 v5, v8, v5
	s_cbranch_scc1 .LBB49_82
.LBB49_83:                              ;   in Loop: Header=BB49_79 Depth=1
	s_cbranch_execz .LBB49_100
.LBB49_84:                              ;   in Loop: Header=BB49_79 Depth=1
	s_waitcnt vmcnt(0)
	v_lshrrev_b32_e32 v8, 8, v6
	s_and_b64 vcc, exec, s[2:3]
	s_mov_b64 s[12:13], -1
                                        ; implicit-def: $vgpr7
	s_cbranch_vccnz .LBB49_105
.LBB49_85:                              ;   in Loop: Header=BB49_79 Depth=1
	v_mov_b32_e32 v7, 1
	s_and_b64 vcc, exec, s[0:1]
	s_cbranch_vccnz .LBB49_88
; %bb.86:                               ;   in Loop: Header=BB49_79 Depth=1
	s_mov_b32 s12, s33
	v_mov_b32_e32 v9, v8
.LBB49_87:                              ;   Parent Loop BB49_79 Depth=1
                                        ; =>  This Inner Loop Header: Depth=2
	s_bfe_i32 s13, s12, 0x80000
	s_bitcmp1_b32 s12, 0
	s_cselect_b64 vcc, -1, 0
	s_sext_i32_i16 s13, s13
	v_cndmask_b32_e32 v10, 1, v9, vcc
	s_bfe_u32 s12, s12, 0x70001
	v_mul_lo_u16_e32 v9, v9, v9
	s_cmp_lt_i32 s13, 2
	v_mul_lo_u16_e32 v7, v10, v7
	s_cbranch_scc0 .LBB49_87
.LBB49_88:                              ;   in Loop: Header=BB49_79 Depth=1
	s_cbranch_execz .LBB49_106
.LBB49_89:                              ;   in Loop: Header=BB49_79 Depth=1
	v_lshrrev_b32_e32 v9, 16, v6
	s_and_b64 vcc, exec, s[2:3]
	s_mov_b64 s[12:13], -1
                                        ; implicit-def: $vgpr8
	s_cbranch_vccnz .LBB49_113
.LBB49_90:                              ;   in Loop: Header=BB49_79 Depth=1
	v_mov_b32_e32 v8, 1
	s_and_b64 vcc, exec, s[0:1]
	s_cbranch_vccnz .LBB49_93
; %bb.91:                               ;   in Loop: Header=BB49_79 Depth=1
	s_mov_b32 s12, s33
	v_mov_b32_e32 v10, v9
.LBB49_92:                              ;   Parent Loop BB49_79 Depth=1
                                        ; =>  This Inner Loop Header: Depth=2
	s_bfe_i32 s13, s12, 0x80000
	s_bitcmp1_b32 s12, 0
	s_cselect_b64 vcc, -1, 0
	s_sext_i32_i16 s13, s13
	v_cndmask_b32_e32 v11, 1, v10, vcc
	s_bfe_u32 s12, s12, 0x70001
	v_mul_lo_u16_e32 v10, v10, v10
	s_cmp_lt_i32 s13, 2
	v_mul_lo_u16_e32 v8, v11, v8
	s_cbranch_scc0 .LBB49_92
.LBB49_93:                              ;   in Loop: Header=BB49_79 Depth=1
	s_cbranch_execz .LBB49_114
.LBB49_94:                              ;   in Loop: Header=BB49_79 Depth=1
	v_lshrrev_b32_e32 v6, 24, v6
	s_and_b64 vcc, exec, s[2:3]
	s_mov_b64 s[12:13], -1
                                        ; implicit-def: $vgpr9
	s_cbranch_vccnz .LBB49_121
.LBB49_95:                              ;   in Loop: Header=BB49_79 Depth=1
	v_mov_b32_e32 v9, 1
	s_and_b64 vcc, exec, s[0:1]
	s_cbranch_vccnz .LBB49_98
; %bb.96:                               ;   in Loop: Header=BB49_79 Depth=1
	s_mov_b32 s12, s33
	v_mov_b32_e32 v10, v6
.LBB49_97:                              ;   Parent Loop BB49_79 Depth=1
                                        ; =>  This Inner Loop Header: Depth=2
	s_bfe_i32 s13, s12, 0x80000
	s_bitcmp1_b32 s12, 0
	s_cselect_b64 vcc, -1, 0
	s_sext_i32_i16 s13, s13
	v_cndmask_b32_e32 v11, 1, v10, vcc
	s_bfe_u32 s12, s12, 0x70001
	v_mul_lo_u16_e32 v10, v10, v10
	s_cmp_lt_i32 s13, 2
	v_mul_lo_u16_e32 v9, v11, v9
	s_cbranch_scc0 .LBB49_97
.LBB49_98:                              ;   in Loop: Header=BB49_79 Depth=1
	s_cbranch_execnz .LBB49_78
	s_branch .LBB49_122
.LBB49_99:                              ;   in Loop: Header=BB49_79 Depth=1
	s_andn2_b64 vcc, exec, s[12:13]
	s_cbranch_vccnz .LBB49_84
.LBB49_100:                             ;   in Loop: Header=BB49_79 Depth=1
	s_waitcnt vmcnt(0)
	v_cmp_gt_i16_sdwa s[12:13], v6, s19 src0_sel:BYTE_0 src1_sel:DWORD
	s_and_saveexec_b64 s[16:17], s[12:13]
	s_xor_b64 s[12:13], exec, s[16:17]
	s_or_saveexec_b64 s[12:13], s[12:13]
	v_mov_b32_e32 v5, s18
	s_xor_b64 exec, exec, s[12:13]
	s_cbranch_execz .LBB49_104
; %bb.101:                              ;   in Loop: Header=BB49_79 Depth=1
	v_mov_b32_e32 v5, 1
	v_cmp_ne_u16_sdwa s[22:23], v6, v4 src0_sel:BYTE_0 src1_sel:DWORD
	s_and_saveexec_b64 s[16:17], s[22:23]
; %bb.102:                              ;   in Loop: Header=BB49_79 Depth=1
	v_mov_b32_e32 v5, 0
; %bb.103:                              ;   in Loop: Header=BB49_79 Depth=1
	s_or_b64 exec, exec, s[16:17]
.LBB49_104:                             ;   in Loop: Header=BB49_79 Depth=1
	s_or_b64 exec, exec, s[12:13]
	v_lshrrev_b32_e32 v8, 8, v6
	s_and_b64 vcc, exec, s[2:3]
	s_mov_b64 s[12:13], -1
                                        ; implicit-def: $vgpr7
	s_cbranch_vccz .LBB49_85
.LBB49_105:                             ;   in Loop: Header=BB49_79 Depth=1
	s_andn2_b64 vcc, exec, s[12:13]
	s_cbranch_vccnz .LBB49_89
.LBB49_106:                             ;   in Loop: Header=BB49_79 Depth=1
	v_cmp_gt_i16_sdwa s[12:13], v8, s19 src0_sel:BYTE_0 src1_sel:DWORD
	s_and_saveexec_b64 s[16:17], s[12:13]
	s_xor_b64 s[12:13], exec, s[16:17]
; %bb.107:                              ;   in Loop: Header=BB49_79 Depth=1
                                        ; implicit-def: $vgpr8
; %bb.108:                              ;   in Loop: Header=BB49_79 Depth=1
	s_or_saveexec_b64 s[12:13], s[12:13]
	v_mov_b32_e32 v7, s18
	s_xor_b64 exec, exec, s[12:13]
	s_cbranch_execz .LBB49_112
; %bb.109:                              ;   in Loop: Header=BB49_79 Depth=1
	v_mov_b32_e32 v7, 1
	v_cmp_ne_u16_sdwa s[22:23], v8, v4 src0_sel:BYTE_0 src1_sel:DWORD
	s_and_saveexec_b64 s[16:17], s[22:23]
; %bb.110:                              ;   in Loop: Header=BB49_79 Depth=1
	v_mov_b32_e32 v7, 0
; %bb.111:                              ;   in Loop: Header=BB49_79 Depth=1
	s_or_b64 exec, exec, s[16:17]
.LBB49_112:                             ;   in Loop: Header=BB49_79 Depth=1
	s_or_b64 exec, exec, s[12:13]
	v_lshrrev_b32_e32 v9, 16, v6
	s_and_b64 vcc, exec, s[2:3]
	s_mov_b64 s[12:13], -1
                                        ; implicit-def: $vgpr8
	s_cbranch_vccz .LBB49_90
.LBB49_113:                             ;   in Loop: Header=BB49_79 Depth=1
	s_andn2_b64 vcc, exec, s[12:13]
	s_cbranch_vccnz .LBB49_94
.LBB49_114:                             ;   in Loop: Header=BB49_79 Depth=1
	v_cmp_gt_i16_sdwa s[12:13], v9, s19 src0_sel:BYTE_0 src1_sel:DWORD
	s_and_saveexec_b64 s[16:17], s[12:13]
	s_xor_b64 s[12:13], exec, s[16:17]
; %bb.115:                              ;   in Loop: Header=BB49_79 Depth=1
                                        ; implicit-def: $vgpr9
; %bb.116:                              ;   in Loop: Header=BB49_79 Depth=1
	s_or_saveexec_b64 s[12:13], s[12:13]
	v_mov_b32_e32 v8, s18
	s_xor_b64 exec, exec, s[12:13]
	s_cbranch_execz .LBB49_120
; %bb.117:                              ;   in Loop: Header=BB49_79 Depth=1
	v_mov_b32_e32 v8, 1
	v_cmp_ne_u16_sdwa s[22:23], v9, v4 src0_sel:BYTE_0 src1_sel:DWORD
	s_and_saveexec_b64 s[16:17], s[22:23]
; %bb.118:                              ;   in Loop: Header=BB49_79 Depth=1
	v_mov_b32_e32 v8, 0
; %bb.119:                              ;   in Loop: Header=BB49_79 Depth=1
	s_or_b64 exec, exec, s[16:17]
.LBB49_120:                             ;   in Loop: Header=BB49_79 Depth=1
	s_or_b64 exec, exec, s[12:13]
	v_lshrrev_b32_e32 v6, 24, v6
	s_and_b64 vcc, exec, s[2:3]
	s_mov_b64 s[12:13], -1
                                        ; implicit-def: $vgpr9
	s_cbranch_vccz .LBB49_95
.LBB49_121:                             ;   in Loop: Header=BB49_79 Depth=1
	s_andn2_b64 vcc, exec, s[12:13]
	s_cbranch_vccnz .LBB49_78
.LBB49_122:                             ;   in Loop: Header=BB49_79 Depth=1
	v_cmp_lt_i16_e32 vcc, s19, v6
	s_and_saveexec_b64 s[12:13], vcc
	s_xor_b64 s[12:13], exec, s[12:13]
; %bb.123:                              ;   in Loop: Header=BB49_79 Depth=1
                                        ; implicit-def: $vgpr6
; %bb.124:                              ;   in Loop: Header=BB49_79 Depth=1
	s_or_saveexec_b64 s[12:13], s[12:13]
	v_mov_b32_e32 v9, s18
	s_xor_b64 exec, exec, s[12:13]
	s_cbranch_execz .LBB49_77
; %bb.125:                              ;   in Loop: Header=BB49_79 Depth=1
	v_mov_b32_e32 v9, 1
	v_cmp_ne_u16_e32 vcc, 1, v6
	s_and_saveexec_b64 s[16:17], vcc
	s_cbranch_execz .LBB49_76
; %bb.126:                              ;   in Loop: Header=BB49_79 Depth=1
	v_mov_b32_e32 v9, 0
	s_branch .LBB49_76
.LBB49_127:
	s_endpgm
	.section	.rodata,"a",@progbits
	.p2align	6, 0x0
	.amdhsa_kernel _ZN2at6native12_GLOBAL__N_125multi_tensor_apply_kernelINS1_18TensorListMetadataILi1EEENS1_21BinaryOpScalarFunctorIaLi1ELi1ELi0EEEJNS1_13power_functorIaEEaEEEvT_T0_DpT1_
		.amdhsa_group_segment_fixed_size 0
		.amdhsa_private_segment_fixed_size 0
		.amdhsa_kernarg_size 3632
		.amdhsa_user_sgpr_count 2
		.amdhsa_user_sgpr_dispatch_ptr 0
		.amdhsa_user_sgpr_queue_ptr 0
		.amdhsa_user_sgpr_kernarg_segment_ptr 1
		.amdhsa_user_sgpr_dispatch_id 0
		.amdhsa_user_sgpr_kernarg_preload_length 0
		.amdhsa_user_sgpr_kernarg_preload_offset 0
		.amdhsa_user_sgpr_private_segment_size 0
		.amdhsa_uses_dynamic_stack 0
		.amdhsa_enable_private_segment 0
		.amdhsa_system_sgpr_workgroup_id_x 1
		.amdhsa_system_sgpr_workgroup_id_y 0
		.amdhsa_system_sgpr_workgroup_id_z 0
		.amdhsa_system_sgpr_workgroup_info 0
		.amdhsa_system_vgpr_workitem_id 0
		.amdhsa_next_free_vgpr 18
		.amdhsa_next_free_sgpr 44
		.amdhsa_accum_offset 20
		.amdhsa_reserve_vcc 1
		.amdhsa_float_round_mode_32 0
		.amdhsa_float_round_mode_16_64 0
		.amdhsa_float_denorm_mode_32 3
		.amdhsa_float_denorm_mode_16_64 3
		.amdhsa_dx10_clamp 1
		.amdhsa_ieee_mode 1
		.amdhsa_fp16_overflow 0
		.amdhsa_tg_split 0
		.amdhsa_exception_fp_ieee_invalid_op 0
		.amdhsa_exception_fp_denorm_src 0
		.amdhsa_exception_fp_ieee_div_zero 0
		.amdhsa_exception_fp_ieee_overflow 0
		.amdhsa_exception_fp_ieee_underflow 0
		.amdhsa_exception_fp_ieee_inexact 0
		.amdhsa_exception_int_div_zero 0
	.end_amdhsa_kernel
	.section	.text._ZN2at6native12_GLOBAL__N_125multi_tensor_apply_kernelINS1_18TensorListMetadataILi1EEENS1_21BinaryOpScalarFunctorIaLi1ELi1ELi0EEEJNS1_13power_functorIaEEaEEEvT_T0_DpT1_,"axG",@progbits,_ZN2at6native12_GLOBAL__N_125multi_tensor_apply_kernelINS1_18TensorListMetadataILi1EEENS1_21BinaryOpScalarFunctorIaLi1ELi1ELi0EEEJNS1_13power_functorIaEEaEEEvT_T0_DpT1_,comdat
.Lfunc_end49:
	.size	_ZN2at6native12_GLOBAL__N_125multi_tensor_apply_kernelINS1_18TensorListMetadataILi1EEENS1_21BinaryOpScalarFunctorIaLi1ELi1ELi0EEEJNS1_13power_functorIaEEaEEEvT_T0_DpT1_, .Lfunc_end49-_ZN2at6native12_GLOBAL__N_125multi_tensor_apply_kernelINS1_18TensorListMetadataILi1EEENS1_21BinaryOpScalarFunctorIaLi1ELi1ELi0EEEJNS1_13power_functorIaEEaEEEvT_T0_DpT1_
                                        ; -- End function
	.set _ZN2at6native12_GLOBAL__N_125multi_tensor_apply_kernelINS1_18TensorListMetadataILi1EEENS1_21BinaryOpScalarFunctorIaLi1ELi1ELi0EEEJNS1_13power_functorIaEEaEEEvT_T0_DpT1_.num_vgpr, 18
	.set _ZN2at6native12_GLOBAL__N_125multi_tensor_apply_kernelINS1_18TensorListMetadataILi1EEENS1_21BinaryOpScalarFunctorIaLi1ELi1ELi0EEEJNS1_13power_functorIaEEaEEEvT_T0_DpT1_.num_agpr, 0
	.set _ZN2at6native12_GLOBAL__N_125multi_tensor_apply_kernelINS1_18TensorListMetadataILi1EEENS1_21BinaryOpScalarFunctorIaLi1ELi1ELi0EEEJNS1_13power_functorIaEEaEEEvT_T0_DpT1_.numbered_sgpr, 44
	.set _ZN2at6native12_GLOBAL__N_125multi_tensor_apply_kernelINS1_18TensorListMetadataILi1EEENS1_21BinaryOpScalarFunctorIaLi1ELi1ELi0EEEJNS1_13power_functorIaEEaEEEvT_T0_DpT1_.num_named_barrier, 0
	.set _ZN2at6native12_GLOBAL__N_125multi_tensor_apply_kernelINS1_18TensorListMetadataILi1EEENS1_21BinaryOpScalarFunctorIaLi1ELi1ELi0EEEJNS1_13power_functorIaEEaEEEvT_T0_DpT1_.private_seg_size, 0
	.set _ZN2at6native12_GLOBAL__N_125multi_tensor_apply_kernelINS1_18TensorListMetadataILi1EEENS1_21BinaryOpScalarFunctorIaLi1ELi1ELi0EEEJNS1_13power_functorIaEEaEEEvT_T0_DpT1_.uses_vcc, 1
	.set _ZN2at6native12_GLOBAL__N_125multi_tensor_apply_kernelINS1_18TensorListMetadataILi1EEENS1_21BinaryOpScalarFunctorIaLi1ELi1ELi0EEEJNS1_13power_functorIaEEaEEEvT_T0_DpT1_.uses_flat_scratch, 0
	.set _ZN2at6native12_GLOBAL__N_125multi_tensor_apply_kernelINS1_18TensorListMetadataILi1EEENS1_21BinaryOpScalarFunctorIaLi1ELi1ELi0EEEJNS1_13power_functorIaEEaEEEvT_T0_DpT1_.has_dyn_sized_stack, 0
	.set _ZN2at6native12_GLOBAL__N_125multi_tensor_apply_kernelINS1_18TensorListMetadataILi1EEENS1_21BinaryOpScalarFunctorIaLi1ELi1ELi0EEEJNS1_13power_functorIaEEaEEEvT_T0_DpT1_.has_recursion, 0
	.set _ZN2at6native12_GLOBAL__N_125multi_tensor_apply_kernelINS1_18TensorListMetadataILi1EEENS1_21BinaryOpScalarFunctorIaLi1ELi1ELi0EEEJNS1_13power_functorIaEEaEEEvT_T0_DpT1_.has_indirect_call, 0
	.section	.AMDGPU.csdata,"",@progbits
; Kernel info:
; codeLenInByte = 2348
; TotalNumSgprs: 50
; NumVgprs: 18
; NumAgprs: 0
; TotalNumVgprs: 18
; ScratchSize: 0
; MemoryBound: 0
; FloatMode: 240
; IeeeMode: 1
; LDSByteSize: 0 bytes/workgroup (compile time only)
; SGPRBlocks: 6
; VGPRBlocks: 2
; NumSGPRsForWavesPerEU: 50
; NumVGPRsForWavesPerEU: 18
; AccumOffset: 20
; Occupancy: 8
; WaveLimiterHint : 0
; COMPUTE_PGM_RSRC2:SCRATCH_EN: 0
; COMPUTE_PGM_RSRC2:USER_SGPR: 2
; COMPUTE_PGM_RSRC2:TRAP_HANDLER: 0
; COMPUTE_PGM_RSRC2:TGID_X_EN: 1
; COMPUTE_PGM_RSRC2:TGID_Y_EN: 0
; COMPUTE_PGM_RSRC2:TGID_Z_EN: 0
; COMPUTE_PGM_RSRC2:TIDIG_COMP_CNT: 0
; COMPUTE_PGM_RSRC3_GFX90A:ACCUM_OFFSET: 4
; COMPUTE_PGM_RSRC3_GFX90A:TG_SPLIT: 0
	.section	.text._ZN2at6native12_GLOBAL__N_125multi_tensor_apply_kernelINS1_18TensorListMetadataILi1EEENS1_21BinaryOpScalarFunctorIiLi1ELi1ELi0EEEJNS1_13power_functorIiEEiEEEvT_T0_DpT1_,"axG",@progbits,_ZN2at6native12_GLOBAL__N_125multi_tensor_apply_kernelINS1_18TensorListMetadataILi1EEENS1_21BinaryOpScalarFunctorIiLi1ELi1ELi0EEEJNS1_13power_functorIiEEiEEEvT_T0_DpT1_,comdat
	.globl	_ZN2at6native12_GLOBAL__N_125multi_tensor_apply_kernelINS1_18TensorListMetadataILi1EEENS1_21BinaryOpScalarFunctorIiLi1ELi1ELi0EEEJNS1_13power_functorIiEEiEEEvT_T0_DpT1_ ; -- Begin function _ZN2at6native12_GLOBAL__N_125multi_tensor_apply_kernelINS1_18TensorListMetadataILi1EEENS1_21BinaryOpScalarFunctorIiLi1ELi1ELi0EEEJNS1_13power_functorIiEEiEEEvT_T0_DpT1_
	.p2align	8
	.type	_ZN2at6native12_GLOBAL__N_125multi_tensor_apply_kernelINS1_18TensorListMetadataILi1EEENS1_21BinaryOpScalarFunctorIiLi1ELi1ELi0EEEJNS1_13power_functorIiEEiEEEvT_T0_DpT1_,@function
_ZN2at6native12_GLOBAL__N_125multi_tensor_apply_kernelINS1_18TensorListMetadataILi1EEENS1_21BinaryOpScalarFunctorIiLi1ELi1ELi0EEEJNS1_13power_functorIiEEiEEEvT_T0_DpT1_: ; @_ZN2at6native12_GLOBAL__N_125multi_tensor_apply_kernelINS1_18TensorListMetadataILi1EEENS1_21BinaryOpScalarFunctorIiLi1ELi1ELi0EEEJNS1_13power_functorIiEEiEEEvT_T0_DpT1_
; %bb.0:
	v_mov_b32_e32 v1, s2
	global_load_ubyte v1, v1, s[0:1] offset:1760
	s_add_u32 s3, s0, s2
	s_mul_hi_u32 s4, s2, 3
	s_mul_i32 s2, s2, 3
	s_addc_u32 s5, s1, 0
	s_add_u32 s2, s3, s2
	s_addc_u32 s3, s5, s4
	s_load_dword s2, s[2:3], 0x820
	s_mov_b32 s9, 0
	s_waitcnt vmcnt(0)
	v_lshlrev_b32_e32 v1, 3, v1
	s_nop 0
	v_readfirstlane_b32 s3, v1
	s_load_dword s33, s[0:1], 0xd2c
	s_load_dwordx2 s[4:5], s[0:1], s3 offset:0x0
	s_load_dwordx2 s[6:7], s[0:1], s3 offset:0x370
	s_waitcnt lgkmcnt(0)
	s_ashr_i32 s3, s2, 31
	s_lshl_b64 s[10:11], s[2:3], 18
	s_add_u32 s14, s4, s10
	s_addc_u32 s15, s5, s11
	s_and_b32 s8, s14, 15
	s_lshl_b64 s[2:3], s[2:3], 16
	s_sub_u32 s16, s6, s2
	s_subb_u32 s17, s7, s3
	s_and_b32 s2, s6, 3
	s_mov_b32 s3, s9
	s_or_b64 s[2:3], s[8:9], s[2:3]
	s_cmp_eq_u64 s[2:3], 0
	s_cbranch_scc1 .LBB50_81
; %bb.1:
	v_cmp_lt_i64_e64 s[2:3], s[16:17], 1
	s_and_b64 vcc, exec, s[2:3]
	s_cbranch_vccnz .LBB50_80
; %bb.2:
	s_load_dword s4, s[0:1], 0xd3c
	v_mov_b64_e32 v[2:3], 0x10000
	v_cmp_lt_i64_e32 vcc, s[16:17], v[2:3]
	s_and_b64 s[2:3], vcc, exec
	s_cselect_b32 s21, s17, 0
	s_cselect_b32 s20, s16, 0x10000
	s_waitcnt lgkmcnt(0)
	s_and_b32 s18, s4, 0xffff
	v_cmp_lt_u64_e32 vcc, s[16:17], v[2:3]
	s_and_b64 s[2:3], vcc, exec
	s_cselect_b32 s23, s17, 0
	s_cselect_b32 s22, s16, 0x10000
	s_lshl_b32 s24, s18, 1
	s_cmp_gt_i32 s33, -1
	s_cselect_b64 s[28:29], -1, 0
	s_cmp_lg_u32 s33, 0
	s_cselect_b64 s[2:3], -1, 0
	s_mov_b32 s19, 0
	s_bitcmp0_b32 s33, 0
	v_cndmask_b32_e64 v2, 0, 1, s[2:3]
	v_cndmask_b32_e64 v3, 0, 1, s[28:29]
	v_mov_b32_e32 v1, 0
	s_mov_b32 s25, s19
	s_mul_i32 s26, s18, 3
	s_mov_b32 s27, s19
	s_cselect_b32 s40, 1, -1
	s_lshl_b32 s41, s18, 2
	s_mov_b64 s[30:31], 0
	v_cmp_ne_u32_e64 s[2:3], 1, v2
	v_cmp_ne_u32_e64 s[4:5], 1, v3
	s_branch .LBB50_4
.LBB50_3:                               ;   in Loop: Header=BB50_4 Depth=1
	s_or_b64 exec, exec, s[6:7]
	s_add_u32 s30, s30, s41
	s_addc_u32 s31, s31, 0
	v_mov_b64_e32 v[2:3], s[20:21]
	v_cmp_ge_i64_e32 vcc, s[30:31], v[2:3]
	s_cbranch_vccnz .LBB50_80
.LBB50_4:                               ; =>This Loop Header: Depth=1
                                        ;     Child Loop BB50_15 Depth 2
                                        ;     Child Loop BB50_20 Depth 2
	;; [unrolled: 1-line block ×4, first 2 shown]
	v_lshl_add_u64 v[8:9], s[30:31], 0, v[0:1]
	v_cmp_gt_u64_e64 s[6:7], s[22:23], v[8:9]
	v_lshl_add_u64 v[2:3], v[8:9], 2, s[14:15]
	s_waitcnt vmcnt(0)
	v_mov_b32_e32 v13, 0
	s_and_saveexec_b64 s[8:9], s[6:7]
	s_cbranch_execz .LBB50_6
; %bb.5:                                ;   in Loop: Header=BB50_4 Depth=1
	global_load_dword v13, v[2:3], off
.LBB50_6:                               ;   in Loop: Header=BB50_4 Depth=1
	s_or_b64 exec, exec, s[8:9]
	v_lshl_add_u64 v[4:5], v[8:9], 0, s[18:19]
	v_cmp_gt_u64_e64 s[8:9], s[22:23], v[4:5]
	v_mov_b32_e32 v12, 0
	v_lshl_add_u64 v[4:5], v[4:5], 2, s[14:15]
	v_mov_b32_e32 v14, 0
	s_and_saveexec_b64 s[10:11], s[8:9]
	s_cbranch_execz .LBB50_8
; %bb.7:                                ;   in Loop: Header=BB50_4 Depth=1
	global_load_dword v14, v[4:5], off
.LBB50_8:                               ;   in Loop: Header=BB50_4 Depth=1
	s_or_b64 exec, exec, s[10:11]
	v_lshl_add_u64 v[6:7], v[8:9], 0, s[24:25]
	v_cmp_gt_u64_e64 s[10:11], s[22:23], v[6:7]
	v_lshl_add_u64 v[6:7], v[6:7], 2, s[14:15]
	s_and_saveexec_b64 s[12:13], s[10:11]
	s_cbranch_execz .LBB50_10
; %bb.9:                                ;   in Loop: Header=BB50_4 Depth=1
	global_load_dword v12, v[6:7], off
.LBB50_10:                              ;   in Loop: Header=BB50_4 Depth=1
	s_or_b64 exec, exec, s[12:13]
	v_lshl_add_u64 v[8:9], v[8:9], 0, s[26:27]
	v_cmp_gt_u64_e64 s[12:13], s[22:23], v[8:9]
	v_mov_b32_e32 v10, 0
	v_lshl_add_u64 v[8:9], v[8:9], 2, s[14:15]
	s_and_saveexec_b64 s[34:35], s[12:13]
	s_cbranch_execz .LBB50_12
; %bb.11:                               ;   in Loop: Header=BB50_4 Depth=1
	global_load_dword v10, v[8:9], off
.LBB50_12:                              ;   in Loop: Header=BB50_4 Depth=1
	s_or_b64 exec, exec, s[34:35]
	s_mov_b64 s[34:35], -1
	s_and_b64 vcc, exec, s[28:29]
                                        ; implicit-def: $vgpr11
	s_cbranch_vccz .LBB50_36
; %bb.13:                               ;   in Loop: Header=BB50_4 Depth=1
	v_mov_b32_e32 v11, 1
	s_and_b64 vcc, exec, s[2:3]
	s_cbranch_vccnz .LBB50_16
; %bb.14:                               ;   in Loop: Header=BB50_4 Depth=1
	s_mov_b32 s34, s33
	s_waitcnt vmcnt(0)
	v_mov_b32_e32 v15, v13
.LBB50_15:                              ;   Parent Loop BB50_4 Depth=1
                                        ; =>  This Inner Loop Header: Depth=2
	s_bitcmp1_b32 s34, 0
	s_cselect_b64 vcc, -1, 0
	v_cndmask_b32_e32 v16, 1, v15, vcc
	s_lshr_b32 s35, s34, 1
	v_mul_lo_u32 v11, v16, v11
	v_mul_lo_u32 v15, v15, v15
	s_cmp_gt_u32 s34, 1
	s_mov_b32 s34, s35
	s_cbranch_scc1 .LBB50_15
.LBB50_16:                              ;   in Loop: Header=BB50_4 Depth=1
	s_cbranch_execz .LBB50_37
.LBB50_17:                              ;   in Loop: Header=BB50_4 Depth=1
	s_and_b64 vcc, exec, s[4:5]
	s_mov_b64 s[34:35], -1
                                        ; implicit-def: $vgpr13
	s_cbranch_vccnz .LBB50_46
.LBB50_18:                              ;   in Loop: Header=BB50_4 Depth=1
	s_waitcnt vmcnt(0)
	v_mov_b32_e32 v13, 1
	s_and_b64 vcc, exec, s[2:3]
	s_cbranch_vccnz .LBB50_21
; %bb.19:                               ;   in Loop: Header=BB50_4 Depth=1
	s_mov_b32 s34, s33
	v_mov_b32_e32 v15, v14
.LBB50_20:                              ;   Parent Loop BB50_4 Depth=1
                                        ; =>  This Inner Loop Header: Depth=2
	s_bitcmp1_b32 s34, 0
	s_cselect_b64 vcc, -1, 0
	v_cndmask_b32_e32 v16, 1, v15, vcc
	s_lshr_b32 s35, s34, 1
	v_mul_lo_u32 v13, v16, v13
	v_mul_lo_u32 v15, v15, v15
	s_cmp_lt_u32 s34, 2
	s_mov_b32 s34, s35
	s_cbranch_scc0 .LBB50_20
.LBB50_21:                              ;   in Loop: Header=BB50_4 Depth=1
	s_cbranch_execz .LBB50_47
.LBB50_22:                              ;   in Loop: Header=BB50_4 Depth=1
	s_and_b64 vcc, exec, s[4:5]
	s_mov_b64 s[34:35], -1
                                        ; implicit-def: $vgpr14
	s_cbranch_vccnz .LBB50_56
.LBB50_23:                              ;   in Loop: Header=BB50_4 Depth=1
	s_waitcnt vmcnt(0)
	v_mov_b32_e32 v14, 1
	s_and_b64 vcc, exec, s[2:3]
	s_cbranch_vccnz .LBB50_26
; %bb.24:                               ;   in Loop: Header=BB50_4 Depth=1
	s_mov_b32 s34, s33
	v_mov_b32_e32 v15, v12
.LBB50_25:                              ;   Parent Loop BB50_4 Depth=1
                                        ; =>  This Inner Loop Header: Depth=2
	s_bitcmp1_b32 s34, 0
	s_cselect_b64 vcc, -1, 0
	v_cndmask_b32_e32 v16, 1, v15, vcc
	s_lshr_b32 s35, s34, 1
	v_mul_lo_u32 v14, v16, v14
	v_mul_lo_u32 v15, v15, v15
	s_cmp_lt_u32 s34, 2
	s_mov_b32 s34, s35
	s_cbranch_scc0 .LBB50_25
.LBB50_26:                              ;   in Loop: Header=BB50_4 Depth=1
	s_cbranch_execz .LBB50_57
.LBB50_27:                              ;   in Loop: Header=BB50_4 Depth=1
	s_and_b64 vcc, exec, s[4:5]
	s_mov_b64 s[34:35], -1
                                        ; implicit-def: $vgpr12
	s_cbranch_vccnz .LBB50_66
.LBB50_28:                              ;   in Loop: Header=BB50_4 Depth=1
	s_waitcnt vmcnt(0)
	v_mov_b32_e32 v12, 1
	s_and_b64 vcc, exec, s[2:3]
	s_cbranch_vccnz .LBB50_31
; %bb.29:                               ;   in Loop: Header=BB50_4 Depth=1
	s_mov_b32 s34, s33
	v_mov_b32_e32 v15, v10
.LBB50_30:                              ;   Parent Loop BB50_4 Depth=1
                                        ; =>  This Inner Loop Header: Depth=2
	s_bitcmp1_b32 s34, 0
	s_cselect_b64 vcc, -1, 0
	v_cndmask_b32_e32 v16, 1, v15, vcc
	s_lshr_b32 s35, s34, 1
	v_mul_lo_u32 v12, v16, v12
	v_mul_lo_u32 v15, v15, v15
	s_cmp_lt_u32 s34, 2
	s_mov_b32 s34, s35
	s_cbranch_scc0 .LBB50_30
.LBB50_31:                              ;   in Loop: Header=BB50_4 Depth=1
	s_cbranch_execz .LBB50_67
.LBB50_32:                              ;   in Loop: Header=BB50_4 Depth=1
	s_and_saveexec_b64 s[34:35], s[6:7]
	s_xor_b64 s[6:7], exec, s[34:35]
	s_cbranch_execz .LBB50_76
.LBB50_33:                              ;   in Loop: Header=BB50_4 Depth=1
	global_store_dword v[2:3], v11, off
	s_or_b64 exec, exec, s[6:7]
	s_and_saveexec_b64 s[6:7], s[8:9]
	s_cbranch_execnz .LBB50_77
.LBB50_34:                              ;   in Loop: Header=BB50_4 Depth=1
	s_or_b64 exec, exec, s[6:7]
	s_and_saveexec_b64 s[6:7], s[10:11]
	s_cbranch_execz .LBB50_78
.LBB50_35:                              ;   in Loop: Header=BB50_4 Depth=1
	s_waitcnt vmcnt(0)
	global_store_dword v[6:7], v14, off
	s_or_b64 exec, exec, s[6:7]
	s_and_saveexec_b64 s[6:7], s[12:13]
	s_cbranch_execz .LBB50_3
	s_branch .LBB50_79
.LBB50_36:                              ;   in Loop: Header=BB50_4 Depth=1
	s_andn2_b64 vcc, exec, s[34:35]
	s_cbranch_vccnz .LBB50_17
.LBB50_37:                              ;   in Loop: Header=BB50_4 Depth=1
	s_waitcnt vmcnt(0)
	v_cmp_lt_i32_e32 vcc, 0, v13
	s_mov_b64 s[34:35], 0
	s_mov_b64 s[36:37], 0
	s_and_saveexec_b64 s[38:39], vcc
	s_xor_b64 s[38:39], exec, s[38:39]
	s_cbranch_execz .LBB50_41
; %bb.38:                               ;   in Loop: Header=BB50_4 Depth=1
	v_cmp_ne_u32_e32 vcc, 1, v13
	s_and_b64 s[36:37], vcc, exec
	s_andn2_saveexec_b64 s[38:39], s[38:39]
	s_cbranch_execnz .LBB50_42
.LBB50_39:                              ;   in Loop: Header=BB50_4 Depth=1
	s_or_b64 exec, exec, s[38:39]
	s_and_saveexec_b64 s[38:39], s[36:37]
	s_xor_b64 s[36:37], exec, s[38:39]
	s_cbranch_execz .LBB50_43
.LBB50_40:                              ;   in Loop: Header=BB50_4 Depth=1
	v_mov_b32_e32 v13, 0
	s_andn2_b64 s[34:35], s[34:35], exec
	s_or_b64 exec, exec, s[36:37]
	s_and_saveexec_b64 s[36:37], s[34:35]
	s_cbranch_execnz .LBB50_44
	s_branch .LBB50_45
.LBB50_41:                              ;   in Loop: Header=BB50_4 Depth=1
	s_andn2_saveexec_b64 s[38:39], s[38:39]
	s_cbranch_execz .LBB50_39
.LBB50_42:                              ;   in Loop: Header=BB50_4 Depth=1
	v_cmp_ne_u32_e32 vcc, -1, v13
	s_andn2_b64 s[36:37], s[36:37], exec
	s_and_b64 s[42:43], vcc, exec
	s_mov_b64 s[34:35], exec
	s_or_b64 s[36:37], s[36:37], s[42:43]
	s_or_b64 exec, exec, s[38:39]
	s_and_saveexec_b64 s[38:39], s[36:37]
	s_xor_b64 s[36:37], exec, s[38:39]
	s_cbranch_execnz .LBB50_40
.LBB50_43:                              ;   in Loop: Header=BB50_4 Depth=1
	s_or_b64 exec, exec, s[36:37]
	s_and_saveexec_b64 s[36:37], s[34:35]
.LBB50_44:                              ;   in Loop: Header=BB50_4 Depth=1
	v_mov_b32_e32 v13, s40
.LBB50_45:                              ;   in Loop: Header=BB50_4 Depth=1
	s_or_b64 exec, exec, s[36:37]
	v_mov_b32_e32 v11, v13
	s_and_b64 vcc, exec, s[4:5]
	s_mov_b64 s[34:35], -1
                                        ; implicit-def: $vgpr13
	s_cbranch_vccz .LBB50_18
.LBB50_46:                              ;   in Loop: Header=BB50_4 Depth=1
	s_andn2_b64 vcc, exec, s[34:35]
	s_cbranch_vccnz .LBB50_22
.LBB50_47:                              ;   in Loop: Header=BB50_4 Depth=1
	s_waitcnt vmcnt(0)
	v_cmp_lt_i32_e32 vcc, 0, v14
	s_mov_b64 s[34:35], 0
	s_mov_b64 s[36:37], 0
	s_and_saveexec_b64 s[38:39], vcc
	s_xor_b64 s[38:39], exec, s[38:39]
	s_cbranch_execz .LBB50_51
; %bb.48:                               ;   in Loop: Header=BB50_4 Depth=1
	v_cmp_ne_u32_e32 vcc, 1, v14
	s_and_b64 s[36:37], vcc, exec
	s_andn2_saveexec_b64 s[38:39], s[38:39]
	s_cbranch_execnz .LBB50_52
.LBB50_49:                              ;   in Loop: Header=BB50_4 Depth=1
	s_or_b64 exec, exec, s[38:39]
	s_and_saveexec_b64 s[38:39], s[36:37]
	s_xor_b64 s[36:37], exec, s[38:39]
	s_cbranch_execz .LBB50_53
.LBB50_50:                              ;   in Loop: Header=BB50_4 Depth=1
	v_mov_b32_e32 v14, 0
	s_andn2_b64 s[34:35], s[34:35], exec
	s_or_b64 exec, exec, s[36:37]
	s_and_saveexec_b64 s[36:37], s[34:35]
	s_cbranch_execnz .LBB50_54
	s_branch .LBB50_55
.LBB50_51:                              ;   in Loop: Header=BB50_4 Depth=1
	s_andn2_saveexec_b64 s[38:39], s[38:39]
	s_cbranch_execz .LBB50_49
.LBB50_52:                              ;   in Loop: Header=BB50_4 Depth=1
	v_cmp_ne_u32_e32 vcc, -1, v14
	s_andn2_b64 s[36:37], s[36:37], exec
	s_and_b64 s[42:43], vcc, exec
	s_mov_b64 s[34:35], exec
	s_or_b64 s[36:37], s[36:37], s[42:43]
	s_or_b64 exec, exec, s[38:39]
	s_and_saveexec_b64 s[38:39], s[36:37]
	s_xor_b64 s[36:37], exec, s[38:39]
	s_cbranch_execnz .LBB50_50
.LBB50_53:                              ;   in Loop: Header=BB50_4 Depth=1
	s_or_b64 exec, exec, s[36:37]
	s_and_saveexec_b64 s[36:37], s[34:35]
.LBB50_54:                              ;   in Loop: Header=BB50_4 Depth=1
	v_mov_b32_e32 v14, s40
.LBB50_55:                              ;   in Loop: Header=BB50_4 Depth=1
	s_or_b64 exec, exec, s[36:37]
	v_mov_b32_e32 v13, v14
	s_and_b64 vcc, exec, s[4:5]
	s_mov_b64 s[34:35], -1
                                        ; implicit-def: $vgpr14
	s_cbranch_vccz .LBB50_23
.LBB50_56:                              ;   in Loop: Header=BB50_4 Depth=1
	s_andn2_b64 vcc, exec, s[34:35]
	s_cbranch_vccnz .LBB50_27
.LBB50_57:                              ;   in Loop: Header=BB50_4 Depth=1
	s_waitcnt vmcnt(0)
	v_cmp_lt_i32_e32 vcc, 0, v12
	s_mov_b64 s[34:35], 0
	s_mov_b64 s[36:37], 0
	s_and_saveexec_b64 s[38:39], vcc
	s_xor_b64 s[38:39], exec, s[38:39]
	s_cbranch_execz .LBB50_61
; %bb.58:                               ;   in Loop: Header=BB50_4 Depth=1
	v_cmp_ne_u32_e32 vcc, 1, v12
	s_and_b64 s[36:37], vcc, exec
	s_andn2_saveexec_b64 s[38:39], s[38:39]
	s_cbranch_execnz .LBB50_62
.LBB50_59:                              ;   in Loop: Header=BB50_4 Depth=1
	s_or_b64 exec, exec, s[38:39]
	s_and_saveexec_b64 s[38:39], s[36:37]
	s_xor_b64 s[36:37], exec, s[38:39]
	s_cbranch_execz .LBB50_63
.LBB50_60:                              ;   in Loop: Header=BB50_4 Depth=1
	v_mov_b32_e32 v12, 0
	s_andn2_b64 s[34:35], s[34:35], exec
	s_or_b64 exec, exec, s[36:37]
	s_and_saveexec_b64 s[36:37], s[34:35]
	s_cbranch_execnz .LBB50_64
	s_branch .LBB50_65
.LBB50_61:                              ;   in Loop: Header=BB50_4 Depth=1
	s_andn2_saveexec_b64 s[38:39], s[38:39]
	s_cbranch_execz .LBB50_59
.LBB50_62:                              ;   in Loop: Header=BB50_4 Depth=1
	v_cmp_ne_u32_e32 vcc, -1, v12
	s_andn2_b64 s[36:37], s[36:37], exec
	s_and_b64 s[42:43], vcc, exec
	s_mov_b64 s[34:35], exec
	s_or_b64 s[36:37], s[36:37], s[42:43]
	s_or_b64 exec, exec, s[38:39]
	s_and_saveexec_b64 s[38:39], s[36:37]
	s_xor_b64 s[36:37], exec, s[38:39]
	s_cbranch_execnz .LBB50_60
.LBB50_63:                              ;   in Loop: Header=BB50_4 Depth=1
	s_or_b64 exec, exec, s[36:37]
	s_and_saveexec_b64 s[36:37], s[34:35]
.LBB50_64:                              ;   in Loop: Header=BB50_4 Depth=1
	v_mov_b32_e32 v12, s40
.LBB50_65:                              ;   in Loop: Header=BB50_4 Depth=1
	s_or_b64 exec, exec, s[36:37]
	v_mov_b32_e32 v14, v12
	s_and_b64 vcc, exec, s[4:5]
	s_mov_b64 s[34:35], -1
                                        ; implicit-def: $vgpr12
	s_cbranch_vccz .LBB50_28
.LBB50_66:                              ;   in Loop: Header=BB50_4 Depth=1
	s_andn2_b64 vcc, exec, s[34:35]
	s_cbranch_vccnz .LBB50_32
.LBB50_67:                              ;   in Loop: Header=BB50_4 Depth=1
	s_waitcnt vmcnt(0)
	v_cmp_lt_i32_e32 vcc, 0, v10
	s_mov_b64 s[34:35], 0
	s_mov_b64 s[36:37], 0
	s_and_saveexec_b64 s[38:39], vcc
	s_xor_b64 s[38:39], exec, s[38:39]
	s_cbranch_execz .LBB50_71
; %bb.68:                               ;   in Loop: Header=BB50_4 Depth=1
	v_cmp_ne_u32_e32 vcc, 1, v10
	s_and_b64 s[36:37], vcc, exec
	s_andn2_saveexec_b64 s[38:39], s[38:39]
	s_cbranch_execnz .LBB50_72
.LBB50_69:                              ;   in Loop: Header=BB50_4 Depth=1
	s_or_b64 exec, exec, s[38:39]
	s_and_saveexec_b64 s[38:39], s[36:37]
	s_xor_b64 s[36:37], exec, s[38:39]
	s_cbranch_execz .LBB50_73
.LBB50_70:                              ;   in Loop: Header=BB50_4 Depth=1
	v_mov_b32_e32 v10, 0
	s_andn2_b64 s[34:35], s[34:35], exec
	s_or_b64 exec, exec, s[36:37]
	s_and_saveexec_b64 s[36:37], s[34:35]
	s_cbranch_execnz .LBB50_74
	s_branch .LBB50_75
.LBB50_71:                              ;   in Loop: Header=BB50_4 Depth=1
	s_andn2_saveexec_b64 s[38:39], s[38:39]
	s_cbranch_execz .LBB50_69
.LBB50_72:                              ;   in Loop: Header=BB50_4 Depth=1
	v_cmp_ne_u32_e32 vcc, -1, v10
	s_andn2_b64 s[36:37], s[36:37], exec
	s_and_b64 s[42:43], vcc, exec
	s_mov_b64 s[34:35], exec
	s_or_b64 s[36:37], s[36:37], s[42:43]
	s_or_b64 exec, exec, s[38:39]
	s_and_saveexec_b64 s[38:39], s[36:37]
	s_xor_b64 s[36:37], exec, s[38:39]
	s_cbranch_execnz .LBB50_70
.LBB50_73:                              ;   in Loop: Header=BB50_4 Depth=1
	s_or_b64 exec, exec, s[36:37]
	s_and_saveexec_b64 s[36:37], s[34:35]
.LBB50_74:                              ;   in Loop: Header=BB50_4 Depth=1
	v_mov_b32_e32 v10, s40
.LBB50_75:                              ;   in Loop: Header=BB50_4 Depth=1
	s_or_b64 exec, exec, s[36:37]
	v_mov_b32_e32 v12, v10
	s_and_saveexec_b64 s[34:35], s[6:7]
	s_xor_b64 s[6:7], exec, s[34:35]
	s_cbranch_execnz .LBB50_33
.LBB50_76:                              ;   in Loop: Header=BB50_4 Depth=1
	s_or_b64 exec, exec, s[6:7]
	s_and_saveexec_b64 s[6:7], s[8:9]
	s_cbranch_execz .LBB50_34
.LBB50_77:                              ;   in Loop: Header=BB50_4 Depth=1
	s_waitcnt vmcnt(0)
	global_store_dword v[4:5], v13, off
	s_or_b64 exec, exec, s[6:7]
	s_and_saveexec_b64 s[6:7], s[10:11]
	s_cbranch_execnz .LBB50_35
.LBB50_78:                              ;   in Loop: Header=BB50_4 Depth=1
	s_or_b64 exec, exec, s[6:7]
	s_and_saveexec_b64 s[6:7], s[12:13]
	s_cbranch_execz .LBB50_3
.LBB50_79:                              ;   in Loop: Header=BB50_4 Depth=1
	s_waitcnt vmcnt(0)
	global_store_dword v[8:9], v12, off
	s_branch .LBB50_3
.LBB50_80:
	s_cbranch_execz .LBB50_82
	s_branch .LBB50_145
.LBB50_81:
.LBB50_82:
	v_mov_b64_e32 v[4:5], 0x10000
	v_cmp_lt_i64_e32 vcc, s[16:17], v[4:5]
	s_and_b64 s[2:3], vcc, exec
	v_mov_b32_e32 v3, 0
	s_cselect_b32 s7, s17, 0
	s_cselect_b32 s6, s16, 0x10000
	v_lshlrev_b32_e32 v2, 2, v0
	s_mov_b32 s5, 0
	v_cmp_gt_i64_e32 vcc, s[6:7], v[2:3]
	s_and_saveexec_b64 s[2:3], vcc
	s_cbranch_execz .LBB50_145
; %bb.83:
	s_load_dword s2, s[0:1], 0xd3c
	s_cmp_gt_i32 s33, -1
	s_cselect_b64 s[8:9], -1, 0
	s_cmp_lg_u32 s33, 0
	s_cselect_b64 s[0:1], -1, 0
	v_mov_b32_e32 v1, v3
	s_bitcmp0_b32 s33, 0
	v_cndmask_b32_e64 v2, 0, 1, s[0:1]
	v_cndmask_b32_e64 v3, 0, 1, s[8:9]
	s_cselect_b32 s20, 1, -1
	s_waitcnt lgkmcnt(0)
	s_and_b32 s4, s2, 0xffff
	s_mov_b64 s[10:11], 0
	v_cmp_ne_u32_e64 s[0:1], 1, v3
	v_cmp_ne_u32_e64 s[2:3], 1, v2
	s_branch .LBB50_86
.LBB50_84:                              ;   in Loop: Header=BB50_86 Depth=1
	s_or_b64 exec, exec, s[16:17]
	v_mov_b32_e32 v9, v5
.LBB50_85:                              ;   in Loop: Header=BB50_86 Depth=1
	v_lshl_add_u64 v[0:1], v[0:1], 0, s[4:5]
	s_waitcnt vmcnt(0)
	v_lshlrev_b64 v[2:3], 2, v[0:1]
	v_cmp_le_i64_e32 vcc, s[6:7], v[2:3]
	s_or_b64 s[10:11], vcc, s[10:11]
	global_store_dwordx4 v[10:11], v[6:9], off
	s_andn2_b64 exec, exec, s[10:11]
	s_cbranch_execz .LBB50_145
.LBB50_86:                              ; =>This Loop Header: Depth=1
                                        ;     Child Loop BB50_89 Depth 2
                                        ;     Child Loop BB50_94 Depth 2
	;; [unrolled: 1-line block ×4, first 2 shown]
	s_waitcnt vmcnt(0)
	v_lshl_add_u64 v[10:11], v[0:1], 4, s[14:15]
	global_load_dwordx4 v[2:5], v[10:11], off
	s_mov_b64 s[12:13], -1
	s_and_b64 vcc, exec, s[8:9]
                                        ; implicit-def: $vgpr6
	s_cbranch_vccz .LBB50_106
; %bb.87:                               ;   in Loop: Header=BB50_86 Depth=1
	v_mov_b32_e32 v6, 1
	s_and_b64 vcc, exec, s[2:3]
	s_cbranch_vccnz .LBB50_90
; %bb.88:                               ;   in Loop: Header=BB50_86 Depth=1
	s_mov_b32 s12, s33
	s_waitcnt vmcnt(0)
	v_mov_b32_e32 v7, v2
.LBB50_89:                              ;   Parent Loop BB50_86 Depth=1
                                        ; =>  This Inner Loop Header: Depth=2
	s_bitcmp1_b32 s12, 0
	s_cselect_b64 vcc, -1, 0
	v_cndmask_b32_e32 v8, 1, v7, vcc
	s_lshr_b32 s13, s12, 1
	v_mul_lo_u32 v6, v8, v6
	v_mul_lo_u32 v7, v7, v7
	s_cmp_gt_u32 s12, 1
	s_mov_b32 s12, s13
	s_cbranch_scc1 .LBB50_89
.LBB50_90:                              ;   in Loop: Header=BB50_86 Depth=1
	s_cbranch_execz .LBB50_107
.LBB50_91:                              ;   in Loop: Header=BB50_86 Depth=1
	s_and_b64 vcc, exec, s[0:1]
	s_mov_b64 s[12:13], -1
	s_cbranch_vccnz .LBB50_116
.LBB50_92:                              ;   in Loop: Header=BB50_86 Depth=1
	v_mov_b32_e32 v7, 1
	s_and_b64 vcc, exec, s[2:3]
	s_cbranch_vccnz .LBB50_95
; %bb.93:                               ;   in Loop: Header=BB50_86 Depth=1
	s_mov_b32 s12, s33
	s_waitcnt vmcnt(0)
	v_mov_b32_e32 v2, v3
.LBB50_94:                              ;   Parent Loop BB50_86 Depth=1
                                        ; =>  This Inner Loop Header: Depth=2
	s_bitcmp1_b32 s12, 0
	s_cselect_b64 vcc, -1, 0
	v_cndmask_b32_e32 v8, 1, v2, vcc
	s_lshr_b32 s13, s12, 1
	v_mul_lo_u32 v7, v8, v7
	v_mul_lo_u32 v2, v2, v2
	s_cmp_lt_u32 s12, 2
	s_mov_b32 s12, s13
	s_cbranch_scc0 .LBB50_94
.LBB50_95:                              ;   in Loop: Header=BB50_86 Depth=1
	s_cbranch_execz .LBB50_117
.LBB50_96:                              ;   in Loop: Header=BB50_86 Depth=1
	s_and_b64 vcc, exec, s[0:1]
	s_mov_b64 s[12:13], -1
	s_cbranch_vccnz .LBB50_126
.LBB50_97:                              ;   in Loop: Header=BB50_86 Depth=1
	v_mov_b32_e32 v8, 1
	s_and_b64 vcc, exec, s[2:3]
	s_cbranch_vccnz .LBB50_100
; %bb.98:                               ;   in Loop: Header=BB50_86 Depth=1
	s_mov_b32 s12, s33
	s_waitcnt vmcnt(0)
	v_mov_b32_e32 v2, v4
.LBB50_99:                              ;   Parent Loop BB50_86 Depth=1
                                        ; =>  This Inner Loop Header: Depth=2
	s_bitcmp1_b32 s12, 0
	s_cselect_b64 vcc, -1, 0
	v_cndmask_b32_e32 v3, 1, v2, vcc
	s_lshr_b32 s13, s12, 1
	v_mul_lo_u32 v8, v3, v8
	v_mul_lo_u32 v2, v2, v2
	s_cmp_lt_u32 s12, 2
	s_mov_b32 s12, s13
	s_cbranch_scc0 .LBB50_99
.LBB50_100:                             ;   in Loop: Header=BB50_86 Depth=1
	s_cbranch_execz .LBB50_127
.LBB50_101:                             ;   in Loop: Header=BB50_86 Depth=1
	s_and_b64 vcc, exec, s[0:1]
	s_mov_b64 s[12:13], -1
	s_cbranch_vccnz .LBB50_136
.LBB50_102:                             ;   in Loop: Header=BB50_86 Depth=1
	v_mov_b32_e32 v9, 1
	s_and_b64 vcc, exec, s[2:3]
	s_cbranch_vccnz .LBB50_105
; %bb.103:                              ;   in Loop: Header=BB50_86 Depth=1
	s_mov_b32 s12, s33
	s_waitcnt vmcnt(0)
	v_mov_b32_e32 v2, v5
.LBB50_104:                             ;   Parent Loop BB50_86 Depth=1
                                        ; =>  This Inner Loop Header: Depth=2
	s_bitcmp1_b32 s12, 0
	s_cselect_b64 vcc, -1, 0
	v_cndmask_b32_e32 v3, 1, v2, vcc
	s_lshr_b32 s13, s12, 1
	v_mul_lo_u32 v9, v3, v9
	v_mul_lo_u32 v2, v2, v2
	s_cmp_lt_u32 s12, 2
	s_mov_b32 s12, s13
	s_cbranch_scc0 .LBB50_104
.LBB50_105:                             ;   in Loop: Header=BB50_86 Depth=1
	s_cbranch_execnz .LBB50_85
	s_branch .LBB50_137
.LBB50_106:                             ;   in Loop: Header=BB50_86 Depth=1
	s_andn2_b64 vcc, exec, s[12:13]
	s_cbranch_vccnz .LBB50_91
.LBB50_107:                             ;   in Loop: Header=BB50_86 Depth=1
	s_waitcnt vmcnt(0)
	v_cmp_lt_i32_e32 vcc, 0, v2
	s_mov_b64 s[12:13], 0
	s_mov_b64 s[16:17], 0
	s_and_saveexec_b64 s[18:19], vcc
	s_xor_b64 s[18:19], exec, s[18:19]
; %bb.108:                              ;   in Loop: Header=BB50_86 Depth=1
	v_cmp_ne_u32_e32 vcc, 1, v2
	s_and_b64 s[16:17], vcc, exec
; %bb.109:                              ;   in Loop: Header=BB50_86 Depth=1
	s_andn2_saveexec_b64 s[18:19], s[18:19]
; %bb.110:                              ;   in Loop: Header=BB50_86 Depth=1
	v_cmp_ne_u32_e32 vcc, -1, v2
	s_andn2_b64 s[16:17], s[16:17], exec
	s_and_b64 s[22:23], vcc, exec
	s_mov_b64 s[12:13], exec
	s_or_b64 s[16:17], s[16:17], s[22:23]
; %bb.111:                              ;   in Loop: Header=BB50_86 Depth=1
	s_or_b64 exec, exec, s[18:19]
	v_mov_b32_e32 v6, v2
	s_and_saveexec_b64 s[18:19], s[16:17]
	s_xor_b64 s[16:17], exec, s[18:19]
; %bb.112:                              ;   in Loop: Header=BB50_86 Depth=1
	v_mov_b32_e32 v6, 0
	s_andn2_b64 s[12:13], s[12:13], exec
; %bb.113:                              ;   in Loop: Header=BB50_86 Depth=1
	s_or_b64 exec, exec, s[16:17]
	s_and_saveexec_b64 s[16:17], s[12:13]
; %bb.114:                              ;   in Loop: Header=BB50_86 Depth=1
	v_mov_b32_e32 v6, s20
; %bb.115:                              ;   in Loop: Header=BB50_86 Depth=1
	s_or_b64 exec, exec, s[16:17]
	s_and_b64 vcc, exec, s[0:1]
	s_mov_b64 s[12:13], -1
	s_cbranch_vccz .LBB50_92
.LBB50_116:                             ;   in Loop: Header=BB50_86 Depth=1
	s_andn2_b64 vcc, exec, s[12:13]
	s_cbranch_vccnz .LBB50_96
.LBB50_117:                             ;   in Loop: Header=BB50_86 Depth=1
	s_waitcnt vmcnt(0)
	v_cmp_lt_i32_e32 vcc, 0, v3
	s_mov_b64 s[12:13], 0
	s_mov_b64 s[16:17], 0
	s_and_saveexec_b64 s[18:19], vcc
	s_xor_b64 s[18:19], exec, s[18:19]
	s_cbranch_execz .LBB50_121
; %bb.118:                              ;   in Loop: Header=BB50_86 Depth=1
	v_cmp_ne_u32_e32 vcc, 1, v3
	s_and_b64 s[16:17], vcc, exec
	s_andn2_saveexec_b64 s[18:19], s[18:19]
	s_cbranch_execnz .LBB50_122
.LBB50_119:                             ;   in Loop: Header=BB50_86 Depth=1
	s_or_b64 exec, exec, s[18:19]
	s_and_saveexec_b64 s[18:19], s[16:17]
	s_xor_b64 s[16:17], exec, s[18:19]
	s_cbranch_execz .LBB50_123
.LBB50_120:                             ;   in Loop: Header=BB50_86 Depth=1
	v_mov_b32_e32 v3, 0
	s_andn2_b64 s[12:13], s[12:13], exec
	s_or_b64 exec, exec, s[16:17]
	s_and_saveexec_b64 s[16:17], s[12:13]
	s_cbranch_execnz .LBB50_124
	s_branch .LBB50_125
.LBB50_121:                             ;   in Loop: Header=BB50_86 Depth=1
	s_andn2_saveexec_b64 s[18:19], s[18:19]
	s_cbranch_execz .LBB50_119
.LBB50_122:                             ;   in Loop: Header=BB50_86 Depth=1
	v_cmp_ne_u32_e32 vcc, -1, v3
	s_andn2_b64 s[16:17], s[16:17], exec
	s_and_b64 s[22:23], vcc, exec
	s_mov_b64 s[12:13], exec
	s_or_b64 s[16:17], s[16:17], s[22:23]
	s_or_b64 exec, exec, s[18:19]
	s_and_saveexec_b64 s[18:19], s[16:17]
	s_xor_b64 s[16:17], exec, s[18:19]
	s_cbranch_execnz .LBB50_120
.LBB50_123:                             ;   in Loop: Header=BB50_86 Depth=1
	s_or_b64 exec, exec, s[16:17]
	s_and_saveexec_b64 s[16:17], s[12:13]
.LBB50_124:                             ;   in Loop: Header=BB50_86 Depth=1
	v_mov_b32_e32 v3, s20
.LBB50_125:                             ;   in Loop: Header=BB50_86 Depth=1
	s_or_b64 exec, exec, s[16:17]
	v_mov_b32_e32 v7, v3
	s_and_b64 vcc, exec, s[0:1]
	s_mov_b64 s[12:13], -1
	s_cbranch_vccz .LBB50_97
.LBB50_126:                             ;   in Loop: Header=BB50_86 Depth=1
	s_andn2_b64 vcc, exec, s[12:13]
	s_cbranch_vccnz .LBB50_101
.LBB50_127:                             ;   in Loop: Header=BB50_86 Depth=1
	s_waitcnt vmcnt(0)
	v_cmp_lt_i32_e32 vcc, 0, v4
	s_mov_b64 s[12:13], 0
	s_mov_b64 s[16:17], 0
	s_and_saveexec_b64 s[18:19], vcc
	s_xor_b64 s[18:19], exec, s[18:19]
	s_cbranch_execz .LBB50_131
; %bb.128:                              ;   in Loop: Header=BB50_86 Depth=1
	v_cmp_ne_u32_e32 vcc, 1, v4
	s_and_b64 s[16:17], vcc, exec
	s_andn2_saveexec_b64 s[18:19], s[18:19]
	s_cbranch_execnz .LBB50_132
.LBB50_129:                             ;   in Loop: Header=BB50_86 Depth=1
	s_or_b64 exec, exec, s[18:19]
	s_and_saveexec_b64 s[18:19], s[16:17]
	s_xor_b64 s[16:17], exec, s[18:19]
	s_cbranch_execz .LBB50_133
.LBB50_130:                             ;   in Loop: Header=BB50_86 Depth=1
	v_mov_b32_e32 v4, 0
	s_andn2_b64 s[12:13], s[12:13], exec
	s_or_b64 exec, exec, s[16:17]
	s_and_saveexec_b64 s[16:17], s[12:13]
	s_cbranch_execnz .LBB50_134
	s_branch .LBB50_135
.LBB50_131:                             ;   in Loop: Header=BB50_86 Depth=1
	s_andn2_saveexec_b64 s[18:19], s[18:19]
	s_cbranch_execz .LBB50_129
.LBB50_132:                             ;   in Loop: Header=BB50_86 Depth=1
	v_cmp_ne_u32_e32 vcc, -1, v4
	s_andn2_b64 s[16:17], s[16:17], exec
	s_and_b64 s[22:23], vcc, exec
	s_mov_b64 s[12:13], exec
	s_or_b64 s[16:17], s[16:17], s[22:23]
	s_or_b64 exec, exec, s[18:19]
	s_and_saveexec_b64 s[18:19], s[16:17]
	s_xor_b64 s[16:17], exec, s[18:19]
	s_cbranch_execnz .LBB50_130
.LBB50_133:                             ;   in Loop: Header=BB50_86 Depth=1
	s_or_b64 exec, exec, s[16:17]
	s_and_saveexec_b64 s[16:17], s[12:13]
.LBB50_134:                             ;   in Loop: Header=BB50_86 Depth=1
	v_mov_b32_e32 v4, s20
.LBB50_135:                             ;   in Loop: Header=BB50_86 Depth=1
	s_or_b64 exec, exec, s[16:17]
	v_mov_b32_e32 v8, v4
	s_and_b64 vcc, exec, s[0:1]
	s_mov_b64 s[12:13], -1
	s_cbranch_vccz .LBB50_102
.LBB50_136:                             ;   in Loop: Header=BB50_86 Depth=1
	s_andn2_b64 vcc, exec, s[12:13]
	s_cbranch_vccnz .LBB50_85
.LBB50_137:                             ;   in Loop: Header=BB50_86 Depth=1
	s_waitcnt vmcnt(0)
	v_cmp_lt_i32_e32 vcc, 0, v5
	s_mov_b64 s[12:13], 0
	s_mov_b64 s[16:17], 0
	s_and_saveexec_b64 s[18:19], vcc
	s_xor_b64 s[18:19], exec, s[18:19]
	s_cbranch_execz .LBB50_141
; %bb.138:                              ;   in Loop: Header=BB50_86 Depth=1
	v_cmp_ne_u32_e32 vcc, 1, v5
	s_and_b64 s[16:17], vcc, exec
	s_andn2_saveexec_b64 s[18:19], s[18:19]
	s_cbranch_execnz .LBB50_142
.LBB50_139:                             ;   in Loop: Header=BB50_86 Depth=1
	s_or_b64 exec, exec, s[18:19]
	s_and_saveexec_b64 s[18:19], s[16:17]
	s_xor_b64 s[16:17], exec, s[18:19]
	s_cbranch_execz .LBB50_143
.LBB50_140:                             ;   in Loop: Header=BB50_86 Depth=1
	v_mov_b32_e32 v5, 0
	s_andn2_b64 s[12:13], s[12:13], exec
	s_or_b64 exec, exec, s[16:17]
	s_and_saveexec_b64 s[16:17], s[12:13]
	s_cbranch_execz .LBB50_84
	s_branch .LBB50_144
.LBB50_141:                             ;   in Loop: Header=BB50_86 Depth=1
	s_andn2_saveexec_b64 s[18:19], s[18:19]
	s_cbranch_execz .LBB50_139
.LBB50_142:                             ;   in Loop: Header=BB50_86 Depth=1
	v_cmp_ne_u32_e32 vcc, -1, v5
	s_andn2_b64 s[16:17], s[16:17], exec
	s_and_b64 s[22:23], vcc, exec
	s_mov_b64 s[12:13], exec
	s_or_b64 s[16:17], s[16:17], s[22:23]
	s_or_b64 exec, exec, s[18:19]
	s_and_saveexec_b64 s[18:19], s[16:17]
	s_xor_b64 s[16:17], exec, s[18:19]
	s_cbranch_execnz .LBB50_140
.LBB50_143:                             ;   in Loop: Header=BB50_86 Depth=1
	s_or_b64 exec, exec, s[16:17]
	s_and_saveexec_b64 s[16:17], s[12:13]
	s_cbranch_execz .LBB50_84
.LBB50_144:                             ;   in Loop: Header=BB50_86 Depth=1
	v_mov_b32_e32 v5, s20
	s_branch .LBB50_84
.LBB50_145:
	s_endpgm
	.section	.rodata,"a",@progbits
	.p2align	6, 0x0
	.amdhsa_kernel _ZN2at6native12_GLOBAL__N_125multi_tensor_apply_kernelINS1_18TensorListMetadataILi1EEENS1_21BinaryOpScalarFunctorIiLi1ELi1ELi0EEEJNS1_13power_functorIiEEiEEEvT_T0_DpT1_
		.amdhsa_group_segment_fixed_size 0
		.amdhsa_private_segment_fixed_size 0
		.amdhsa_kernarg_size 3632
		.amdhsa_user_sgpr_count 2
		.amdhsa_user_sgpr_dispatch_ptr 0
		.amdhsa_user_sgpr_queue_ptr 0
		.amdhsa_user_sgpr_kernarg_segment_ptr 1
		.amdhsa_user_sgpr_dispatch_id 0
		.amdhsa_user_sgpr_kernarg_preload_length 0
		.amdhsa_user_sgpr_kernarg_preload_offset 0
		.amdhsa_user_sgpr_private_segment_size 0
		.amdhsa_uses_dynamic_stack 0
		.amdhsa_enable_private_segment 0
		.amdhsa_system_sgpr_workgroup_id_x 1
		.amdhsa_system_sgpr_workgroup_id_y 0
		.amdhsa_system_sgpr_workgroup_id_z 0
		.amdhsa_system_sgpr_workgroup_info 0
		.amdhsa_system_vgpr_workitem_id 0
		.amdhsa_next_free_vgpr 17
		.amdhsa_next_free_sgpr 44
		.amdhsa_accum_offset 20
		.amdhsa_reserve_vcc 1
		.amdhsa_float_round_mode_32 0
		.amdhsa_float_round_mode_16_64 0
		.amdhsa_float_denorm_mode_32 3
		.amdhsa_float_denorm_mode_16_64 3
		.amdhsa_dx10_clamp 1
		.amdhsa_ieee_mode 1
		.amdhsa_fp16_overflow 0
		.amdhsa_tg_split 0
		.amdhsa_exception_fp_ieee_invalid_op 0
		.amdhsa_exception_fp_denorm_src 0
		.amdhsa_exception_fp_ieee_div_zero 0
		.amdhsa_exception_fp_ieee_overflow 0
		.amdhsa_exception_fp_ieee_underflow 0
		.amdhsa_exception_fp_ieee_inexact 0
		.amdhsa_exception_int_div_zero 0
	.end_amdhsa_kernel
	.section	.text._ZN2at6native12_GLOBAL__N_125multi_tensor_apply_kernelINS1_18TensorListMetadataILi1EEENS1_21BinaryOpScalarFunctorIiLi1ELi1ELi0EEEJNS1_13power_functorIiEEiEEEvT_T0_DpT1_,"axG",@progbits,_ZN2at6native12_GLOBAL__N_125multi_tensor_apply_kernelINS1_18TensorListMetadataILi1EEENS1_21BinaryOpScalarFunctorIiLi1ELi1ELi0EEEJNS1_13power_functorIiEEiEEEvT_T0_DpT1_,comdat
.Lfunc_end50:
	.size	_ZN2at6native12_GLOBAL__N_125multi_tensor_apply_kernelINS1_18TensorListMetadataILi1EEENS1_21BinaryOpScalarFunctorIiLi1ELi1ELi0EEEJNS1_13power_functorIiEEiEEEvT_T0_DpT1_, .Lfunc_end50-_ZN2at6native12_GLOBAL__N_125multi_tensor_apply_kernelINS1_18TensorListMetadataILi1EEENS1_21BinaryOpScalarFunctorIiLi1ELi1ELi0EEEJNS1_13power_functorIiEEiEEEvT_T0_DpT1_
                                        ; -- End function
	.set _ZN2at6native12_GLOBAL__N_125multi_tensor_apply_kernelINS1_18TensorListMetadataILi1EEENS1_21BinaryOpScalarFunctorIiLi1ELi1ELi0EEEJNS1_13power_functorIiEEiEEEvT_T0_DpT1_.num_vgpr, 17
	.set _ZN2at6native12_GLOBAL__N_125multi_tensor_apply_kernelINS1_18TensorListMetadataILi1EEENS1_21BinaryOpScalarFunctorIiLi1ELi1ELi0EEEJNS1_13power_functorIiEEiEEEvT_T0_DpT1_.num_agpr, 0
	.set _ZN2at6native12_GLOBAL__N_125multi_tensor_apply_kernelINS1_18TensorListMetadataILi1EEENS1_21BinaryOpScalarFunctorIiLi1ELi1ELi0EEEJNS1_13power_functorIiEEiEEEvT_T0_DpT1_.numbered_sgpr, 44
	.set _ZN2at6native12_GLOBAL__N_125multi_tensor_apply_kernelINS1_18TensorListMetadataILi1EEENS1_21BinaryOpScalarFunctorIiLi1ELi1ELi0EEEJNS1_13power_functorIiEEiEEEvT_T0_DpT1_.num_named_barrier, 0
	.set _ZN2at6native12_GLOBAL__N_125multi_tensor_apply_kernelINS1_18TensorListMetadataILi1EEENS1_21BinaryOpScalarFunctorIiLi1ELi1ELi0EEEJNS1_13power_functorIiEEiEEEvT_T0_DpT1_.private_seg_size, 0
	.set _ZN2at6native12_GLOBAL__N_125multi_tensor_apply_kernelINS1_18TensorListMetadataILi1EEENS1_21BinaryOpScalarFunctorIiLi1ELi1ELi0EEEJNS1_13power_functorIiEEiEEEvT_T0_DpT1_.uses_vcc, 1
	.set _ZN2at6native12_GLOBAL__N_125multi_tensor_apply_kernelINS1_18TensorListMetadataILi1EEENS1_21BinaryOpScalarFunctorIiLi1ELi1ELi0EEEJNS1_13power_functorIiEEiEEEvT_T0_DpT1_.uses_flat_scratch, 0
	.set _ZN2at6native12_GLOBAL__N_125multi_tensor_apply_kernelINS1_18TensorListMetadataILi1EEENS1_21BinaryOpScalarFunctorIiLi1ELi1ELi0EEEJNS1_13power_functorIiEEiEEEvT_T0_DpT1_.has_dyn_sized_stack, 0
	.set _ZN2at6native12_GLOBAL__N_125multi_tensor_apply_kernelINS1_18TensorListMetadataILi1EEENS1_21BinaryOpScalarFunctorIiLi1ELi1ELi0EEEJNS1_13power_functorIiEEiEEEvT_T0_DpT1_.has_recursion, 0
	.set _ZN2at6native12_GLOBAL__N_125multi_tensor_apply_kernelINS1_18TensorListMetadataILi1EEENS1_21BinaryOpScalarFunctorIiLi1ELi1ELi0EEEJNS1_13power_functorIiEEiEEEvT_T0_DpT1_.has_indirect_call, 0
	.section	.AMDGPU.csdata,"",@progbits
; Kernel info:
; codeLenInByte = 2856
; TotalNumSgprs: 50
; NumVgprs: 17
; NumAgprs: 0
; TotalNumVgprs: 17
; ScratchSize: 0
; MemoryBound: 1
; FloatMode: 240
; IeeeMode: 1
; LDSByteSize: 0 bytes/workgroup (compile time only)
; SGPRBlocks: 6
; VGPRBlocks: 2
; NumSGPRsForWavesPerEU: 50
; NumVGPRsForWavesPerEU: 17
; AccumOffset: 20
; Occupancy: 8
; WaveLimiterHint : 0
; COMPUTE_PGM_RSRC2:SCRATCH_EN: 0
; COMPUTE_PGM_RSRC2:USER_SGPR: 2
; COMPUTE_PGM_RSRC2:TRAP_HANDLER: 0
; COMPUTE_PGM_RSRC2:TGID_X_EN: 1
; COMPUTE_PGM_RSRC2:TGID_Y_EN: 0
; COMPUTE_PGM_RSRC2:TGID_Z_EN: 0
; COMPUTE_PGM_RSRC2:TIDIG_COMP_CNT: 0
; COMPUTE_PGM_RSRC3_GFX90A:ACCUM_OFFSET: 4
; COMPUTE_PGM_RSRC3_GFX90A:TG_SPLIT: 0
	.section	.text._ZN2at6native12_GLOBAL__N_125multi_tensor_apply_kernelINS1_18TensorListMetadataILi1EEENS1_21BinaryOpScalarFunctorIlLi1ELi1ELi0EEEJNS1_13power_functorIlEElEEEvT_T0_DpT1_,"axG",@progbits,_ZN2at6native12_GLOBAL__N_125multi_tensor_apply_kernelINS1_18TensorListMetadataILi1EEENS1_21BinaryOpScalarFunctorIlLi1ELi1ELi0EEEJNS1_13power_functorIlEElEEEvT_T0_DpT1_,comdat
	.globl	_ZN2at6native12_GLOBAL__N_125multi_tensor_apply_kernelINS1_18TensorListMetadataILi1EEENS1_21BinaryOpScalarFunctorIlLi1ELi1ELi0EEEJNS1_13power_functorIlEElEEEvT_T0_DpT1_ ; -- Begin function _ZN2at6native12_GLOBAL__N_125multi_tensor_apply_kernelINS1_18TensorListMetadataILi1EEENS1_21BinaryOpScalarFunctorIlLi1ELi1ELi0EEEJNS1_13power_functorIlEElEEEvT_T0_DpT1_
	.p2align	8
	.type	_ZN2at6native12_GLOBAL__N_125multi_tensor_apply_kernelINS1_18TensorListMetadataILi1EEENS1_21BinaryOpScalarFunctorIlLi1ELi1ELi0EEEJNS1_13power_functorIlEElEEEvT_T0_DpT1_,@function
_ZN2at6native12_GLOBAL__N_125multi_tensor_apply_kernelINS1_18TensorListMetadataILi1EEENS1_21BinaryOpScalarFunctorIlLi1ELi1ELi0EEEJNS1_13power_functorIlEElEEEvT_T0_DpT1_: ; @_ZN2at6native12_GLOBAL__N_125multi_tensor_apply_kernelINS1_18TensorListMetadataILi1EEENS1_21BinaryOpScalarFunctorIlLi1ELi1ELi0EEEJNS1_13power_functorIlEElEEEvT_T0_DpT1_
; %bb.0:
	v_mov_b32_e32 v1, s2
	global_load_ubyte v1, v1, s[0:1] offset:1760
	s_add_u32 s3, s0, s2
	s_mul_hi_u32 s4, s2, 3
	s_mul_i32 s2, s2, 3
	s_addc_u32 s5, s1, 0
	s_add_u32 s2, s3, s2
	s_addc_u32 s3, s5, s4
	s_load_dword s2, s[2:3], 0x820
	s_mov_b32 s9, 0
	s_waitcnt vmcnt(0)
	v_readfirstlane_b32 s3, v1
	s_lshl_b32 s3, s3, 3
	s_load_dwordx2 s[16:17], s[0:1], 0xd30
	s_load_dwordx2 s[4:5], s[0:1], s3 offset:0x0
	s_load_dwordx2 s[6:7], s[0:1], s3 offset:0x370
	s_waitcnt lgkmcnt(0)
	s_ashr_i32 s3, s2, 31
	s_lshl_b64 s[10:11], s[2:3], 19
	s_add_u32 s18, s4, s10
	s_addc_u32 s19, s5, s11
	s_and_b32 s8, s18, 31
	s_lshl_b64 s[2:3], s[2:3], 16
	s_sub_u32 s20, s6, s2
	s_subb_u32 s21, s7, s3
	s_and_b32 s2, s6, 3
	s_mov_b32 s3, s9
	s_or_b64 s[2:3], s[8:9], s[2:3]
	s_cmp_eq_u64 s[2:3], 0
	s_cbranch_scc1 .LBB51_81
; %bb.1:
	v_cmp_lt_i64_e64 s[2:3], s[20:21], 1
	s_and_b64 vcc, exec, s[2:3]
	s_cbranch_vccnz .LBB51_80
; %bb.2:
	s_load_dword s4, s[0:1], 0xd44
	v_mov_b64_e32 v[2:3], 0x10000
	v_cmp_lt_i64_e32 vcc, s[20:21], v[2:3]
	s_and_b64 s[2:3], vcc, exec
	s_cselect_b32 s25, s21, 0
	s_cselect_b32 s24, s20, 0x10000
	s_waitcnt lgkmcnt(0)
	s_and_b32 s22, s4, 0xffff
	v_cmp_lt_u64_e32 vcc, s[20:21], v[2:3]
	s_and_b64 s[2:3], vcc, exec
	s_cselect_b32 s27, s21, 0
	s_cselect_b32 s26, s20, 0x10000
	s_lshl_b32 s28, s22, 1
	s_mov_b32 s23, 0
	s_cmp_lg_u64 s[16:17], 0
	s_cselect_b64 s[2:3], -1, 0
	s_and_b32 s4, s16, 1
	s_mov_b32 s5, s23
	s_cmp_eq_u64 s[4:5], 0
	v_cndmask_b32_e64 v2, 0, 1, s[2:3]
	v_mov_b32_e32 v1, 0
	s_mov_b32 s29, s23
	s_mul_i32 s30, s22, 3
	s_mov_b32 s31, s23
	v_cmp_gt_i64_e64 s[34:35], s[16:17], -1
	s_mov_b64 s[36:37], 0
	s_cselect_b32 s39, 0, -1
	s_cselect_b32 s38, 1, -1
	s_lshl_b32 s33, s22, 2
	v_cmp_ne_u32_e64 s[2:3], 1, v2
	s_branch .LBB51_4
.LBB51_3:                               ;   in Loop: Header=BB51_4 Depth=1
	s_or_b64 exec, exec, s[4:5]
	s_add_u32 s36, s36, s33
	s_addc_u32 s37, s37, 0
	v_mov_b64_e32 v[2:3], s[24:25]
	v_cmp_ge_i64_e32 vcc, s[36:37], v[2:3]
	s_cbranch_vccnz .LBB51_80
.LBB51_4:                               ; =>This Loop Header: Depth=1
                                        ;     Child Loop BB51_15 Depth 2
                                        ;     Child Loop BB51_30 Depth 2
	;; [unrolled: 1-line block ×4, first 2 shown]
	v_lshl_add_u64 v[8:9], s[36:37], 0, v[0:1]
	v_cmp_gt_u64_e64 s[4:5], s[26:27], v[8:9]
	v_mov_b64_e32 v[18:19], 0
	v_lshl_add_u64 v[2:3], v[8:9], 3, s[18:19]
	v_mov_b64_e32 v[16:17], 0
	s_and_saveexec_b64 s[6:7], s[4:5]
	s_cbranch_execz .LBB51_6
; %bb.5:                                ;   in Loop: Header=BB51_4 Depth=1
	global_load_dwordx2 v[16:17], v[2:3], off
.LBB51_6:                               ;   in Loop: Header=BB51_4 Depth=1
	s_or_b64 exec, exec, s[6:7]
	v_lshl_add_u64 v[4:5], v[8:9], 0, s[22:23]
	v_cmp_gt_u64_e64 s[6:7], s[26:27], v[4:5]
	v_lshl_add_u64 v[4:5], v[4:5], 3, s[18:19]
	s_and_saveexec_b64 s[8:9], s[6:7]
	s_cbranch_execz .LBB51_8
; %bb.7:                                ;   in Loop: Header=BB51_4 Depth=1
	global_load_dwordx2 v[18:19], v[4:5], off
.LBB51_8:                               ;   in Loop: Header=BB51_4 Depth=1
	s_or_b64 exec, exec, s[8:9]
	v_lshl_add_u64 v[6:7], v[8:9], 0, s[28:29]
	v_cmp_gt_u64_e64 s[8:9], s[26:27], v[6:7]
	v_mov_b64_e32 v[10:11], 0
	v_lshl_add_u64 v[6:7], v[6:7], 3, s[18:19]
	v_mov_b64_e32 v[14:15], 0
	s_and_saveexec_b64 s[10:11], s[8:9]
	s_cbranch_execz .LBB51_10
; %bb.9:                                ;   in Loop: Header=BB51_4 Depth=1
	global_load_dwordx2 v[14:15], v[6:7], off
.LBB51_10:                              ;   in Loop: Header=BB51_4 Depth=1
	s_or_b64 exec, exec, s[10:11]
	v_lshl_add_u64 v[8:9], v[8:9], 0, s[30:31]
	v_cmp_gt_u64_e64 s[10:11], s[26:27], v[8:9]
	v_lshl_add_u64 v[8:9], v[8:9], 3, s[18:19]
	s_and_saveexec_b64 s[12:13], s[10:11]
	s_cbranch_execz .LBB51_12
; %bb.11:                               ;   in Loop: Header=BB51_4 Depth=1
	global_load_dwordx2 v[10:11], v[8:9], off
.LBB51_12:                              ;   in Loop: Header=BB51_4 Depth=1
	s_or_b64 exec, exec, s[12:13]
	s_mov_b64 s[12:13], -1
	s_and_b64 vcc, exec, s[34:35]
                                        ; implicit-def: $vgpr12_vgpr13
	s_cbranch_vccz .LBB51_17
; %bb.13:                               ;   in Loop: Header=BB51_4 Depth=1
	v_mov_b64_e32 v[12:13], 1
	s_and_b64 vcc, exec, s[2:3]
	s_cbranch_vccnz .LBB51_16
; %bb.14:                               ;   in Loop: Header=BB51_4 Depth=1
	s_mov_b64 s[14:15], s[16:17]
	s_waitcnt vmcnt(0)
	v_mov_b64_e32 v[20:21], v[16:17]
.LBB51_15:                              ;   Parent Loop BB51_4 Depth=1
                                        ; =>  This Inner Loop Header: Depth=2
	s_bitcmp1_b32 s14, 0
	s_cselect_b64 vcc, -1, 0
	v_cmp_gt_u64_e64 s[12:13], s[14:15], 1
	v_cndmask_b32_e32 v23, 1, v20, vcc
	v_cndmask_b32_e32 v24, 0, v21, vcc
	v_mul_lo_u32 v22, v20, v21
	s_and_b64 s[12:13], exec, s[12:13]
	v_mul_lo_u32 v25, v23, v13
	v_mad_u64_u32 v[20:21], s[40:41], v20, v20, 0
	v_mul_lo_u32 v24, v24, v12
	v_mad_u64_u32 v[12:13], s[40:41], v23, v12, 0
	s_lshr_b64 s[14:15], s[14:15], 1
	v_add3_u32 v21, v21, v22, v22
	v_add3_u32 v13, v13, v25, v24
	s_mov_b64 vcc, s[12:13]
	s_cbranch_vccnz .LBB51_15
.LBB51_16:                              ;   in Loop: Header=BB51_4 Depth=1
	s_cbranch_execnz .LBB51_27
	s_branch .LBB51_18
.LBB51_17:                              ;   in Loop: Header=BB51_4 Depth=1
	s_andn2_b64 vcc, exec, s[12:13]
	s_cbranch_vccnz .LBB51_27
.LBB51_18:                              ;   in Loop: Header=BB51_4 Depth=1
	s_waitcnt vmcnt(0)
	v_cmp_lt_i64_e32 vcc, 0, v[16:17]
	s_mov_b64 s[12:13], 0
	s_mov_b64 s[14:15], 0
	s_and_saveexec_b64 s[40:41], vcc
	s_xor_b64 s[40:41], exec, s[40:41]
	s_cbranch_execz .LBB51_22
; %bb.19:                               ;   in Loop: Header=BB51_4 Depth=1
	v_cmp_ne_u64_e32 vcc, 1, v[16:17]
	s_and_b64 s[14:15], vcc, exec
	s_andn2_saveexec_b64 s[40:41], s[40:41]
	s_cbranch_execnz .LBB51_23
.LBB51_20:                              ;   in Loop: Header=BB51_4 Depth=1
	s_or_b64 exec, exec, s[40:41]
	s_and_saveexec_b64 s[40:41], s[14:15]
	s_xor_b64 s[14:15], exec, s[40:41]
	s_cbranch_execz .LBB51_24
.LBB51_21:                              ;   in Loop: Header=BB51_4 Depth=1
	v_mov_b64_e32 v[16:17], 0
	s_andn2_b64 s[12:13], s[12:13], exec
	s_or_b64 exec, exec, s[14:15]
	s_and_saveexec_b64 s[14:15], s[12:13]
	s_cbranch_execnz .LBB51_25
	s_branch .LBB51_26
.LBB51_22:                              ;   in Loop: Header=BB51_4 Depth=1
	s_andn2_saveexec_b64 s[40:41], s[40:41]
	s_cbranch_execz .LBB51_20
.LBB51_23:                              ;   in Loop: Header=BB51_4 Depth=1
	v_cmp_ne_u64_e32 vcc, -1, v[16:17]
	s_andn2_b64 s[14:15], s[14:15], exec
	s_and_b64 s[42:43], vcc, exec
	s_mov_b64 s[12:13], exec
	s_or_b64 s[14:15], s[14:15], s[42:43]
	s_or_b64 exec, exec, s[40:41]
	s_and_saveexec_b64 s[40:41], s[14:15]
	s_xor_b64 s[14:15], exec, s[40:41]
	s_cbranch_execnz .LBB51_21
.LBB51_24:                              ;   in Loop: Header=BB51_4 Depth=1
	s_or_b64 exec, exec, s[14:15]
	s_and_saveexec_b64 s[14:15], s[12:13]
.LBB51_25:                              ;   in Loop: Header=BB51_4 Depth=1
	v_mov_b64_e32 v[16:17], s[38:39]
.LBB51_26:                              ;   in Loop: Header=BB51_4 Depth=1
	s_or_b64 exec, exec, s[14:15]
	v_mov_b64_e32 v[12:13], v[16:17]
.LBB51_27:                              ;   in Loop: Header=BB51_4 Depth=1
	s_waitcnt vmcnt(0)
	v_cndmask_b32_e64 v16, 0, 1, s[34:35]
	v_cmp_ne_u32_e64 s[12:13], 1, v16
	s_andn2_b64 vcc, exec, s[34:35]
	s_mov_b64 s[14:15], -1
                                        ; implicit-def: $vgpr16_vgpr17
	s_cbranch_vccnz .LBB51_46
; %bb.28:                               ;   in Loop: Header=BB51_4 Depth=1
	v_mov_b64_e32 v[16:17], 1
	s_and_b64 vcc, exec, s[2:3]
	s_cbranch_vccnz .LBB51_31
; %bb.29:                               ;   in Loop: Header=BB51_4 Depth=1
	s_mov_b64 s[40:41], s[16:17]
	v_mov_b64_e32 v[20:21], v[18:19]
.LBB51_30:                              ;   Parent Loop BB51_4 Depth=1
                                        ; =>  This Inner Loop Header: Depth=2
	s_bitcmp1_b32 s40, 0
	s_cselect_b64 vcc, -1, 0
	v_cmp_lt_u64_e64 s[14:15], s[40:41], 2
	v_cndmask_b32_e32 v23, 1, v20, vcc
	v_cndmask_b32_e32 v24, 0, v21, vcc
	v_mul_lo_u32 v22, v20, v21
	s_and_b64 s[14:15], exec, s[14:15]
	v_mul_lo_u32 v25, v23, v17
	v_mad_u64_u32 v[20:21], s[42:43], v20, v20, 0
	v_mul_lo_u32 v24, v24, v16
	v_mad_u64_u32 v[16:17], s[42:43], v23, v16, 0
	s_lshr_b64 s[40:41], s[40:41], 1
	v_add3_u32 v21, v21, v22, v22
	v_add3_u32 v17, v17, v25, v24
	s_mov_b64 vcc, s[14:15]
	s_cbranch_vccz .LBB51_30
.LBB51_31:                              ;   in Loop: Header=BB51_4 Depth=1
	s_cbranch_execz .LBB51_47
.LBB51_32:                              ;   in Loop: Header=BB51_4 Depth=1
	s_and_b64 vcc, exec, s[12:13]
	s_mov_b64 s[14:15], -1
                                        ; implicit-def: $vgpr18_vgpr19
	s_cbranch_vccnz .LBB51_56
.LBB51_33:                              ;   in Loop: Header=BB51_4 Depth=1
	v_mov_b64_e32 v[18:19], 1
	s_and_b64 vcc, exec, s[2:3]
	s_cbranch_vccnz .LBB51_36
; %bb.34:                               ;   in Loop: Header=BB51_4 Depth=1
	s_mov_b64 s[40:41], s[16:17]
	v_mov_b64_e32 v[20:21], v[14:15]
.LBB51_35:                              ;   Parent Loop BB51_4 Depth=1
                                        ; =>  This Inner Loop Header: Depth=2
	s_bitcmp1_b32 s40, 0
	s_cselect_b64 vcc, -1, 0
	v_cmp_lt_u64_e64 s[14:15], s[40:41], 2
	v_cndmask_b32_e32 v23, 1, v20, vcc
	v_cndmask_b32_e32 v24, 0, v21, vcc
	v_mul_lo_u32 v22, v20, v21
	s_and_b64 s[14:15], exec, s[14:15]
	v_mul_lo_u32 v25, v23, v19
	v_mad_u64_u32 v[20:21], s[42:43], v20, v20, 0
	v_mul_lo_u32 v24, v24, v18
	v_mad_u64_u32 v[18:19], s[42:43], v23, v18, 0
	s_lshr_b64 s[40:41], s[40:41], 1
	v_add3_u32 v21, v21, v22, v22
	v_add3_u32 v19, v19, v25, v24
	s_mov_b64 vcc, s[14:15]
	s_cbranch_vccz .LBB51_35
.LBB51_36:                              ;   in Loop: Header=BB51_4 Depth=1
	s_cbranch_execz .LBB51_57
.LBB51_37:                              ;   in Loop: Header=BB51_4 Depth=1
	s_and_b64 vcc, exec, s[12:13]
	s_mov_b64 s[12:13], -1
                                        ; implicit-def: $vgpr14_vgpr15
	s_cbranch_vccnz .LBB51_66
.LBB51_38:                              ;   in Loop: Header=BB51_4 Depth=1
	v_mov_b64_e32 v[14:15], 1
	s_and_b64 vcc, exec, s[2:3]
	s_cbranch_vccnz .LBB51_41
; %bb.39:                               ;   in Loop: Header=BB51_4 Depth=1
	s_mov_b64 s[14:15], s[16:17]
	v_mov_b64_e32 v[20:21], v[10:11]
.LBB51_40:                              ;   Parent Loop BB51_4 Depth=1
                                        ; =>  This Inner Loop Header: Depth=2
	s_bitcmp1_b32 s14, 0
	s_cselect_b64 vcc, -1, 0
	v_cmp_lt_u64_e64 s[12:13], s[14:15], 2
	v_cndmask_b32_e32 v23, 1, v20, vcc
	v_cndmask_b32_e32 v24, 0, v21, vcc
	v_mul_lo_u32 v22, v20, v21
	s_and_b64 s[12:13], exec, s[12:13]
	v_mul_lo_u32 v25, v23, v15
	v_mad_u64_u32 v[20:21], s[40:41], v20, v20, 0
	v_mul_lo_u32 v24, v24, v14
	v_mad_u64_u32 v[14:15], s[40:41], v23, v14, 0
	s_lshr_b64 s[14:15], s[14:15], 1
	v_add3_u32 v21, v21, v22, v22
	v_add3_u32 v15, v15, v25, v24
	s_mov_b64 vcc, s[12:13]
	s_cbranch_vccz .LBB51_40
.LBB51_41:                              ;   in Loop: Header=BB51_4 Depth=1
	s_cbranch_execz .LBB51_67
.LBB51_42:                              ;   in Loop: Header=BB51_4 Depth=1
	s_and_saveexec_b64 s[12:13], s[4:5]
	s_xor_b64 s[4:5], exec, s[12:13]
	s_cbranch_execz .LBB51_76
.LBB51_43:                              ;   in Loop: Header=BB51_4 Depth=1
	global_store_dwordx2 v[2:3], v[12:13], off
	s_or_b64 exec, exec, s[4:5]
	s_and_saveexec_b64 s[4:5], s[6:7]
	s_cbranch_execnz .LBB51_77
.LBB51_44:                              ;   in Loop: Header=BB51_4 Depth=1
	s_or_b64 exec, exec, s[4:5]
	s_and_saveexec_b64 s[4:5], s[8:9]
	s_cbranch_execz .LBB51_78
.LBB51_45:                              ;   in Loop: Header=BB51_4 Depth=1
	global_store_dwordx2 v[6:7], v[18:19], off
	s_or_b64 exec, exec, s[4:5]
	s_and_saveexec_b64 s[4:5], s[10:11]
	s_cbranch_execz .LBB51_3
	s_branch .LBB51_79
.LBB51_46:                              ;   in Loop: Header=BB51_4 Depth=1
	s_andn2_b64 vcc, exec, s[14:15]
	s_cbranch_vccnz .LBB51_32
.LBB51_47:                              ;   in Loop: Header=BB51_4 Depth=1
	v_cmp_lt_i64_e32 vcc, 0, v[18:19]
	s_mov_b64 s[14:15], 0
	s_mov_b64 s[40:41], 0
	s_and_saveexec_b64 s[42:43], vcc
	s_xor_b64 s[42:43], exec, s[42:43]
	s_cbranch_execz .LBB51_51
; %bb.48:                               ;   in Loop: Header=BB51_4 Depth=1
	v_cmp_ne_u64_e32 vcc, 1, v[18:19]
	s_and_b64 s[40:41], vcc, exec
	s_andn2_saveexec_b64 s[42:43], s[42:43]
	s_cbranch_execnz .LBB51_52
.LBB51_49:                              ;   in Loop: Header=BB51_4 Depth=1
	s_or_b64 exec, exec, s[42:43]
	s_and_saveexec_b64 s[42:43], s[40:41]
	s_xor_b64 s[40:41], exec, s[42:43]
	s_cbranch_execz .LBB51_53
.LBB51_50:                              ;   in Loop: Header=BB51_4 Depth=1
	v_mov_b64_e32 v[18:19], 0
	s_andn2_b64 s[14:15], s[14:15], exec
	s_or_b64 exec, exec, s[40:41]
	s_and_saveexec_b64 s[40:41], s[14:15]
	s_cbranch_execnz .LBB51_54
	s_branch .LBB51_55
.LBB51_51:                              ;   in Loop: Header=BB51_4 Depth=1
	s_andn2_saveexec_b64 s[42:43], s[42:43]
	s_cbranch_execz .LBB51_49
.LBB51_52:                              ;   in Loop: Header=BB51_4 Depth=1
	v_cmp_ne_u64_e32 vcc, -1, v[18:19]
	s_andn2_b64 s[40:41], s[40:41], exec
	s_and_b64 s[44:45], vcc, exec
	s_mov_b64 s[14:15], exec
	s_or_b64 s[40:41], s[40:41], s[44:45]
	s_or_b64 exec, exec, s[42:43]
	s_and_saveexec_b64 s[42:43], s[40:41]
	s_xor_b64 s[40:41], exec, s[42:43]
	s_cbranch_execnz .LBB51_50
.LBB51_53:                              ;   in Loop: Header=BB51_4 Depth=1
	s_or_b64 exec, exec, s[40:41]
	s_and_saveexec_b64 s[40:41], s[14:15]
.LBB51_54:                              ;   in Loop: Header=BB51_4 Depth=1
	v_mov_b64_e32 v[18:19], s[38:39]
.LBB51_55:                              ;   in Loop: Header=BB51_4 Depth=1
	s_or_b64 exec, exec, s[40:41]
	v_mov_b64_e32 v[16:17], v[18:19]
	s_and_b64 vcc, exec, s[12:13]
	s_mov_b64 s[14:15], -1
                                        ; implicit-def: $vgpr18_vgpr19
	s_cbranch_vccz .LBB51_33
.LBB51_56:                              ;   in Loop: Header=BB51_4 Depth=1
	s_andn2_b64 vcc, exec, s[14:15]
	s_cbranch_vccnz .LBB51_37
.LBB51_57:                              ;   in Loop: Header=BB51_4 Depth=1
	v_cmp_lt_i64_e32 vcc, 0, v[14:15]
	s_mov_b64 s[14:15], 0
	s_mov_b64 s[40:41], 0
	s_and_saveexec_b64 s[42:43], vcc
	s_xor_b64 s[42:43], exec, s[42:43]
	s_cbranch_execz .LBB51_61
; %bb.58:                               ;   in Loop: Header=BB51_4 Depth=1
	v_cmp_ne_u64_e32 vcc, 1, v[14:15]
	s_and_b64 s[40:41], vcc, exec
	s_andn2_saveexec_b64 s[42:43], s[42:43]
	s_cbranch_execnz .LBB51_62
.LBB51_59:                              ;   in Loop: Header=BB51_4 Depth=1
	s_or_b64 exec, exec, s[42:43]
	s_and_saveexec_b64 s[42:43], s[40:41]
	s_xor_b64 s[40:41], exec, s[42:43]
	s_cbranch_execz .LBB51_63
.LBB51_60:                              ;   in Loop: Header=BB51_4 Depth=1
	v_mov_b64_e32 v[14:15], 0
	s_andn2_b64 s[14:15], s[14:15], exec
	s_or_b64 exec, exec, s[40:41]
	s_and_saveexec_b64 s[40:41], s[14:15]
	s_cbranch_execnz .LBB51_64
	s_branch .LBB51_65
.LBB51_61:                              ;   in Loop: Header=BB51_4 Depth=1
	s_andn2_saveexec_b64 s[42:43], s[42:43]
	s_cbranch_execz .LBB51_59
.LBB51_62:                              ;   in Loop: Header=BB51_4 Depth=1
	v_cmp_ne_u64_e32 vcc, -1, v[14:15]
	s_andn2_b64 s[40:41], s[40:41], exec
	s_and_b64 s[44:45], vcc, exec
	s_mov_b64 s[14:15], exec
	s_or_b64 s[40:41], s[40:41], s[44:45]
	s_or_b64 exec, exec, s[42:43]
	s_and_saveexec_b64 s[42:43], s[40:41]
	s_xor_b64 s[40:41], exec, s[42:43]
	s_cbranch_execnz .LBB51_60
.LBB51_63:                              ;   in Loop: Header=BB51_4 Depth=1
	s_or_b64 exec, exec, s[40:41]
	s_and_saveexec_b64 s[40:41], s[14:15]
.LBB51_64:                              ;   in Loop: Header=BB51_4 Depth=1
	v_mov_b64_e32 v[14:15], s[38:39]
.LBB51_65:                              ;   in Loop: Header=BB51_4 Depth=1
	s_or_b64 exec, exec, s[40:41]
	v_mov_b64_e32 v[18:19], v[14:15]
	s_and_b64 vcc, exec, s[12:13]
	s_mov_b64 s[12:13], -1
                                        ; implicit-def: $vgpr14_vgpr15
	s_cbranch_vccz .LBB51_38
.LBB51_66:                              ;   in Loop: Header=BB51_4 Depth=1
	s_andn2_b64 vcc, exec, s[12:13]
	s_cbranch_vccnz .LBB51_42
.LBB51_67:                              ;   in Loop: Header=BB51_4 Depth=1
	v_cmp_lt_i64_e32 vcc, 0, v[10:11]
	s_mov_b64 s[12:13], 0
	s_mov_b64 s[14:15], 0
	s_and_saveexec_b64 s[40:41], vcc
	s_xor_b64 s[40:41], exec, s[40:41]
	s_cbranch_execz .LBB51_71
; %bb.68:                               ;   in Loop: Header=BB51_4 Depth=1
	v_cmp_ne_u64_e32 vcc, 1, v[10:11]
	s_and_b64 s[14:15], vcc, exec
	s_andn2_saveexec_b64 s[40:41], s[40:41]
	s_cbranch_execnz .LBB51_72
.LBB51_69:                              ;   in Loop: Header=BB51_4 Depth=1
	s_or_b64 exec, exec, s[40:41]
	s_and_saveexec_b64 s[40:41], s[14:15]
	s_xor_b64 s[14:15], exec, s[40:41]
	s_cbranch_execz .LBB51_73
.LBB51_70:                              ;   in Loop: Header=BB51_4 Depth=1
	v_mov_b64_e32 v[10:11], 0
	s_andn2_b64 s[12:13], s[12:13], exec
	s_or_b64 exec, exec, s[14:15]
	s_and_saveexec_b64 s[14:15], s[12:13]
	s_cbranch_execnz .LBB51_74
	s_branch .LBB51_75
.LBB51_71:                              ;   in Loop: Header=BB51_4 Depth=1
	s_andn2_saveexec_b64 s[40:41], s[40:41]
	s_cbranch_execz .LBB51_69
.LBB51_72:                              ;   in Loop: Header=BB51_4 Depth=1
	v_cmp_ne_u64_e32 vcc, -1, v[10:11]
	s_andn2_b64 s[14:15], s[14:15], exec
	s_and_b64 s[42:43], vcc, exec
	s_mov_b64 s[12:13], exec
	s_or_b64 s[14:15], s[14:15], s[42:43]
	s_or_b64 exec, exec, s[40:41]
	s_and_saveexec_b64 s[40:41], s[14:15]
	s_xor_b64 s[14:15], exec, s[40:41]
	s_cbranch_execnz .LBB51_70
.LBB51_73:                              ;   in Loop: Header=BB51_4 Depth=1
	s_or_b64 exec, exec, s[14:15]
	s_and_saveexec_b64 s[14:15], s[12:13]
.LBB51_74:                              ;   in Loop: Header=BB51_4 Depth=1
	v_mov_b64_e32 v[10:11], s[38:39]
.LBB51_75:                              ;   in Loop: Header=BB51_4 Depth=1
	s_or_b64 exec, exec, s[14:15]
	v_mov_b64_e32 v[14:15], v[10:11]
	s_and_saveexec_b64 s[12:13], s[4:5]
	s_xor_b64 s[4:5], exec, s[12:13]
	s_cbranch_execnz .LBB51_43
.LBB51_76:                              ;   in Loop: Header=BB51_4 Depth=1
	s_or_b64 exec, exec, s[4:5]
	s_and_saveexec_b64 s[4:5], s[6:7]
	s_cbranch_execz .LBB51_44
.LBB51_77:                              ;   in Loop: Header=BB51_4 Depth=1
	global_store_dwordx2 v[4:5], v[16:17], off
	s_or_b64 exec, exec, s[4:5]
	s_and_saveexec_b64 s[4:5], s[8:9]
	s_cbranch_execnz .LBB51_45
.LBB51_78:                              ;   in Loop: Header=BB51_4 Depth=1
	s_or_b64 exec, exec, s[4:5]
	s_and_saveexec_b64 s[4:5], s[10:11]
	s_cbranch_execz .LBB51_3
.LBB51_79:                              ;   in Loop: Header=BB51_4 Depth=1
	global_store_dwordx2 v[8:9], v[14:15], off
	s_branch .LBB51_3
.LBB51_80:
	s_cbranch_execz .LBB51_82
	s_branch .LBB51_145
.LBB51_81:
.LBB51_82:
	v_mov_b64_e32 v[4:5], 0x10000
	v_cmp_lt_i64_e32 vcc, s[20:21], v[4:5]
	s_and_b64 s[2:3], vcc, exec
	v_mov_b32_e32 v3, 0
	s_cselect_b32 s9, s21, 0
	s_cselect_b32 s8, s20, 0x10000
	v_lshlrev_b32_e32 v2, 2, v0
	s_mov_b32 s7, 0
	v_cmp_gt_i64_e32 vcc, s[8:9], v[2:3]
	s_and_saveexec_b64 s[2:3], vcc
	s_cbranch_execz .LBB51_145
; %bb.83:
	s_load_dword s0, s[0:1], 0xd44
	s_cmp_lg_u64 s[16:17], 0
	s_cselect_b64 s[2:3], -1, 0
	s_and_b32 s6, s16, 1
	s_cmp_eq_u64 s[6:7], 0
	v_cndmask_b32_e64 v2, 0, 1, s[2:3]
	v_cmp_gt_i64_e64 s[14:15], s[16:17], -1
	s_cselect_b32 s13, 0, -1
	s_cselect_b32 s12, 1, -1
	s_waitcnt lgkmcnt(0)
	s_and_b32 s6, s0, 0xffff
	v_cmp_ne_u32_e64 s[0:1], 1, v2
	v_cndmask_b32_e64 v2, 0, 1, s[14:15]
	v_mov_b32_e32 v1, v3
	s_mov_b64 s[10:11], 0
	v_cmp_ne_u32_e64 s[2:3], 1, v2
	s_branch .LBB51_86
.LBB51_84:                              ;   in Loop: Header=BB51_86 Depth=1
	s_or_b64 exec, exec, s[20:21]
	v_mov_b64_e32 v[12:13], v[4:5]
.LBB51_85:                              ;   in Loop: Header=BB51_86 Depth=1
	v_lshl_add_u64 v[0:1], v[0:1], 0, s[6:7]
	s_waitcnt vmcnt(1)
	v_lshlrev_b64 v[2:3], 2, v[0:1]
	v_cmp_le_i64_e32 vcc, s[8:9], v[2:3]
	s_or_b64 s[10:11], vcc, s[10:11]
	s_waitcnt vmcnt(0)
	global_store_dwordx4 v[14:15], v[6:9], off
	global_store_dwordx4 v[14:15], v[10:13], off offset:16
	s_andn2_b64 exec, exec, s[10:11]
	s_cbranch_execz .LBB51_145
.LBB51_86:                              ; =>This Loop Header: Depth=1
                                        ;     Child Loop BB51_89 Depth 2
                                        ;     Child Loop BB51_94 Depth 2
	;; [unrolled: 1-line block ×4, first 2 shown]
	v_lshlrev_b64 v[2:3], 5, v[0:1]
	v_lshl_add_u64 v[14:15], s[18:19], 0, v[2:3]
	global_load_dwordx4 v[2:5], v[14:15], off offset:16
	global_load_dwordx4 v[8:11], v[14:15], off
	s_and_b64 vcc, exec, s[14:15]
	s_mov_b64 s[4:5], -1
                                        ; implicit-def: $vgpr6_vgpr7
	s_cbranch_vccz .LBB51_106
; %bb.87:                               ;   in Loop: Header=BB51_86 Depth=1
	v_mov_b64_e32 v[6:7], 1
	s_and_b64 vcc, exec, s[0:1]
	s_cbranch_vccnz .LBB51_90
; %bb.88:                               ;   in Loop: Header=BB51_86 Depth=1
	s_mov_b64 s[20:21], s[16:17]
	s_waitcnt vmcnt(0)
	v_mov_b64_e32 v[12:13], v[8:9]
.LBB51_89:                              ;   Parent Loop BB51_86 Depth=1
                                        ; =>  This Inner Loop Header: Depth=2
	s_bitcmp1_b32 s20, 0
	s_cselect_b64 vcc, -1, 0
	v_cmp_gt_u64_e64 s[4:5], s[20:21], 1
	v_cndmask_b32_e32 v17, 1, v12, vcc
	v_cndmask_b32_e32 v18, 0, v13, vcc
	v_mul_lo_u32 v16, v12, v13
	s_and_b64 s[4:5], exec, s[4:5]
	v_mul_lo_u32 v19, v17, v7
	v_mad_u64_u32 v[12:13], s[22:23], v12, v12, 0
	v_mul_lo_u32 v18, v18, v6
	v_mad_u64_u32 v[6:7], s[22:23], v17, v6, 0
	s_lshr_b64 s[20:21], s[20:21], 1
	v_add3_u32 v13, v13, v16, v16
	v_add3_u32 v7, v7, v19, v18
	s_mov_b64 vcc, s[4:5]
	s_cbranch_vccnz .LBB51_89
.LBB51_90:                              ;   in Loop: Header=BB51_86 Depth=1
	s_cbranch_execz .LBB51_107
.LBB51_91:                              ;   in Loop: Header=BB51_86 Depth=1
	s_and_b64 vcc, exec, s[2:3]
	s_mov_b64 s[4:5], -1
	s_cbranch_vccnz .LBB51_116
.LBB51_92:                              ;   in Loop: Header=BB51_86 Depth=1
	s_waitcnt vmcnt(0)
	v_mov_b64_e32 v[8:9], 1
	s_and_b64 vcc, exec, s[0:1]
	s_cbranch_vccnz .LBB51_95
; %bb.93:                               ;   in Loop: Header=BB51_86 Depth=1
	s_mov_b64 s[20:21], s[16:17]
	v_mov_b64_e32 v[12:13], v[10:11]
.LBB51_94:                              ;   Parent Loop BB51_86 Depth=1
                                        ; =>  This Inner Loop Header: Depth=2
	s_bitcmp1_b32 s20, 0
	s_cselect_b64 vcc, -1, 0
	v_cmp_lt_u64_e64 s[4:5], s[20:21], 2
	v_cndmask_b32_e32 v17, 1, v12, vcc
	v_cndmask_b32_e32 v18, 0, v13, vcc
	v_mul_lo_u32 v16, v12, v13
	s_and_b64 s[4:5], exec, s[4:5]
	v_mul_lo_u32 v19, v17, v9
	v_mad_u64_u32 v[12:13], s[22:23], v12, v12, 0
	v_mul_lo_u32 v18, v18, v8
	v_mad_u64_u32 v[8:9], s[22:23], v17, v8, 0
	s_lshr_b64 s[20:21], s[20:21], 1
	v_add3_u32 v13, v13, v16, v16
	v_add3_u32 v9, v9, v19, v18
	s_mov_b64 vcc, s[4:5]
	s_cbranch_vccz .LBB51_94
.LBB51_95:                              ;   in Loop: Header=BB51_86 Depth=1
	s_cbranch_execz .LBB51_117
.LBB51_96:                              ;   in Loop: Header=BB51_86 Depth=1
	s_and_b64 vcc, exec, s[2:3]
	s_mov_b64 s[4:5], -1
                                        ; implicit-def: $vgpr10_vgpr11
	s_cbranch_vccnz .LBB51_126
.LBB51_97:                              ;   in Loop: Header=BB51_86 Depth=1
	s_waitcnt vmcnt(0)
	v_mov_b64_e32 v[10:11], 1
	s_and_b64 vcc, exec, s[0:1]
	s_cbranch_vccnz .LBB51_100
; %bb.98:                               ;   in Loop: Header=BB51_86 Depth=1
	s_mov_b64 s[20:21], s[16:17]
	v_mov_b64_e32 v[12:13], v[2:3]
.LBB51_99:                              ;   Parent Loop BB51_86 Depth=1
                                        ; =>  This Inner Loop Header: Depth=2
	s_bitcmp1_b32 s20, 0
	s_cselect_b64 vcc, -1, 0
	v_cmp_lt_u64_e64 s[4:5], s[20:21], 2
	v_cndmask_b32_e32 v17, 1, v12, vcc
	v_cndmask_b32_e32 v18, 0, v13, vcc
	v_mul_lo_u32 v16, v12, v13
	s_and_b64 s[4:5], exec, s[4:5]
	v_mul_lo_u32 v19, v17, v11
	v_mad_u64_u32 v[12:13], s[22:23], v12, v12, 0
	v_mul_lo_u32 v18, v18, v10
	v_mad_u64_u32 v[10:11], s[22:23], v17, v10, 0
	s_lshr_b64 s[20:21], s[20:21], 1
	v_add3_u32 v13, v13, v16, v16
	v_add3_u32 v11, v11, v19, v18
	s_mov_b64 vcc, s[4:5]
	s_cbranch_vccz .LBB51_99
.LBB51_100:                             ;   in Loop: Header=BB51_86 Depth=1
	s_cbranch_execz .LBB51_127
.LBB51_101:                             ;   in Loop: Header=BB51_86 Depth=1
	s_and_b64 vcc, exec, s[2:3]
	s_mov_b64 s[4:5], -1
	s_cbranch_vccnz .LBB51_136
.LBB51_102:                             ;   in Loop: Header=BB51_86 Depth=1
	v_mov_b64_e32 v[12:13], 1
	s_and_b64 vcc, exec, s[0:1]
	s_cbranch_vccnz .LBB51_105
; %bb.103:                              ;   in Loop: Header=BB51_86 Depth=1
	s_mov_b64 s[20:21], s[16:17]
	s_waitcnt vmcnt(1)
	v_mov_b64_e32 v[2:3], v[4:5]
.LBB51_104:                             ;   Parent Loop BB51_86 Depth=1
                                        ; =>  This Inner Loop Header: Depth=2
	s_bitcmp1_b32 s20, 0
	s_cselect_b64 vcc, -1, 0
	v_cmp_lt_u64_e64 s[4:5], s[20:21], 2
	v_cndmask_b32_e32 v17, 1, v2, vcc
	v_cndmask_b32_e32 v18, 0, v3, vcc
	v_mul_lo_u32 v16, v2, v3
	s_and_b64 s[4:5], exec, s[4:5]
	v_mul_lo_u32 v19, v17, v13
	v_mad_u64_u32 v[2:3], s[22:23], v2, v2, 0
	v_mul_lo_u32 v18, v18, v12
	v_mad_u64_u32 v[12:13], s[22:23], v17, v12, 0
	s_lshr_b64 s[20:21], s[20:21], 1
	v_add3_u32 v3, v3, v16, v16
	v_add3_u32 v13, v13, v19, v18
	s_mov_b64 vcc, s[4:5]
	s_cbranch_vccz .LBB51_104
.LBB51_105:                             ;   in Loop: Header=BB51_86 Depth=1
	s_cbranch_execnz .LBB51_85
	s_branch .LBB51_137
.LBB51_106:                             ;   in Loop: Header=BB51_86 Depth=1
	s_andn2_b64 vcc, exec, s[4:5]
	s_cbranch_vccnz .LBB51_91
.LBB51_107:                             ;   in Loop: Header=BB51_86 Depth=1
	s_waitcnt vmcnt(0)
	v_cmp_lt_i64_e32 vcc, 0, v[8:9]
	s_mov_b64 s[4:5], 0
	s_mov_b64 s[20:21], 0
	s_and_saveexec_b64 s[22:23], vcc
	s_xor_b64 s[22:23], exec, s[22:23]
	s_cbranch_execz .LBB51_111
; %bb.108:                              ;   in Loop: Header=BB51_86 Depth=1
	v_cmp_ne_u64_e32 vcc, 1, v[8:9]
	s_and_b64 s[20:21], vcc, exec
	s_andn2_saveexec_b64 s[22:23], s[22:23]
	s_cbranch_execnz .LBB51_112
.LBB51_109:                             ;   in Loop: Header=BB51_86 Depth=1
	s_or_b64 exec, exec, s[22:23]
	s_and_saveexec_b64 s[22:23], s[20:21]
	s_xor_b64 s[20:21], exec, s[22:23]
	s_cbranch_execz .LBB51_113
.LBB51_110:                             ;   in Loop: Header=BB51_86 Depth=1
	v_mov_b64_e32 v[8:9], 0
	s_andn2_b64 s[4:5], s[4:5], exec
	s_or_b64 exec, exec, s[20:21]
	s_and_saveexec_b64 s[20:21], s[4:5]
	s_cbranch_execnz .LBB51_114
	s_branch .LBB51_115
.LBB51_111:                             ;   in Loop: Header=BB51_86 Depth=1
	s_andn2_saveexec_b64 s[22:23], s[22:23]
	s_cbranch_execz .LBB51_109
.LBB51_112:                             ;   in Loop: Header=BB51_86 Depth=1
	v_cmp_ne_u64_e32 vcc, -1, v[8:9]
	s_andn2_b64 s[20:21], s[20:21], exec
	s_and_b64 s[24:25], vcc, exec
	s_mov_b64 s[4:5], exec
	s_or_b64 s[20:21], s[20:21], s[24:25]
	s_or_b64 exec, exec, s[22:23]
	s_and_saveexec_b64 s[22:23], s[20:21]
	s_xor_b64 s[20:21], exec, s[22:23]
	s_cbranch_execnz .LBB51_110
.LBB51_113:                             ;   in Loop: Header=BB51_86 Depth=1
	s_or_b64 exec, exec, s[20:21]
	s_and_saveexec_b64 s[20:21], s[4:5]
.LBB51_114:                             ;   in Loop: Header=BB51_86 Depth=1
	v_mov_b64_e32 v[8:9], s[12:13]
.LBB51_115:                             ;   in Loop: Header=BB51_86 Depth=1
	s_or_b64 exec, exec, s[20:21]
	v_mov_b64_e32 v[6:7], v[8:9]
	s_and_b64 vcc, exec, s[2:3]
	s_mov_b64 s[4:5], -1
	s_cbranch_vccz .LBB51_92
.LBB51_116:                             ;   in Loop: Header=BB51_86 Depth=1
	s_andn2_b64 vcc, exec, s[4:5]
	s_cbranch_vccnz .LBB51_96
.LBB51_117:                             ;   in Loop: Header=BB51_86 Depth=1
	s_waitcnt vmcnt(0)
	v_cmp_lt_i64_e32 vcc, 0, v[10:11]
	s_mov_b64 s[4:5], 0
	s_mov_b64 s[20:21], 0
	s_and_saveexec_b64 s[22:23], vcc
	s_xor_b64 s[22:23], exec, s[22:23]
	s_cbranch_execz .LBB51_121
; %bb.118:                              ;   in Loop: Header=BB51_86 Depth=1
	v_cmp_ne_u64_e32 vcc, 1, v[10:11]
	s_and_b64 s[20:21], vcc, exec
	s_andn2_saveexec_b64 s[22:23], s[22:23]
	s_cbranch_execnz .LBB51_122
.LBB51_119:                             ;   in Loop: Header=BB51_86 Depth=1
	s_or_b64 exec, exec, s[22:23]
	s_and_saveexec_b64 s[22:23], s[20:21]
	s_xor_b64 s[20:21], exec, s[22:23]
	s_cbranch_execz .LBB51_123
.LBB51_120:                             ;   in Loop: Header=BB51_86 Depth=1
	v_mov_b64_e32 v[10:11], 0
	s_andn2_b64 s[4:5], s[4:5], exec
	s_or_b64 exec, exec, s[20:21]
	s_and_saveexec_b64 s[20:21], s[4:5]
	s_cbranch_execnz .LBB51_124
	s_branch .LBB51_125
.LBB51_121:                             ;   in Loop: Header=BB51_86 Depth=1
	s_andn2_saveexec_b64 s[22:23], s[22:23]
	s_cbranch_execz .LBB51_119
.LBB51_122:                             ;   in Loop: Header=BB51_86 Depth=1
	v_cmp_ne_u64_e32 vcc, -1, v[10:11]
	s_andn2_b64 s[20:21], s[20:21], exec
	s_and_b64 s[24:25], vcc, exec
	s_mov_b64 s[4:5], exec
	s_or_b64 s[20:21], s[20:21], s[24:25]
	s_or_b64 exec, exec, s[22:23]
	s_and_saveexec_b64 s[22:23], s[20:21]
	s_xor_b64 s[20:21], exec, s[22:23]
	s_cbranch_execnz .LBB51_120
.LBB51_123:                             ;   in Loop: Header=BB51_86 Depth=1
	s_or_b64 exec, exec, s[20:21]
	s_and_saveexec_b64 s[20:21], s[4:5]
.LBB51_124:                             ;   in Loop: Header=BB51_86 Depth=1
	v_mov_b64_e32 v[10:11], s[12:13]
.LBB51_125:                             ;   in Loop: Header=BB51_86 Depth=1
	s_or_b64 exec, exec, s[20:21]
	v_mov_b64_e32 v[8:9], v[10:11]
	s_and_b64 vcc, exec, s[2:3]
	s_mov_b64 s[4:5], -1
                                        ; implicit-def: $vgpr10_vgpr11
	s_cbranch_vccz .LBB51_97
.LBB51_126:                             ;   in Loop: Header=BB51_86 Depth=1
	s_andn2_b64 vcc, exec, s[4:5]
	s_cbranch_vccnz .LBB51_101
.LBB51_127:                             ;   in Loop: Header=BB51_86 Depth=1
	s_waitcnt vmcnt(1)
	v_cmp_lt_i64_e32 vcc, 0, v[2:3]
	s_mov_b64 s[4:5], 0
	s_mov_b64 s[20:21], 0
	s_and_saveexec_b64 s[22:23], vcc
	s_xor_b64 s[22:23], exec, s[22:23]
	s_cbranch_execz .LBB51_131
; %bb.128:                              ;   in Loop: Header=BB51_86 Depth=1
	v_cmp_ne_u64_e32 vcc, 1, v[2:3]
	s_and_b64 s[20:21], vcc, exec
	s_andn2_saveexec_b64 s[22:23], s[22:23]
	s_cbranch_execnz .LBB51_132
.LBB51_129:                             ;   in Loop: Header=BB51_86 Depth=1
	s_or_b64 exec, exec, s[22:23]
	s_and_saveexec_b64 s[22:23], s[20:21]
	s_xor_b64 s[20:21], exec, s[22:23]
	s_cbranch_execz .LBB51_133
.LBB51_130:                             ;   in Loop: Header=BB51_86 Depth=1
	v_mov_b64_e32 v[2:3], 0
	s_andn2_b64 s[4:5], s[4:5], exec
	s_or_b64 exec, exec, s[20:21]
	s_and_saveexec_b64 s[20:21], s[4:5]
	s_cbranch_execnz .LBB51_134
	s_branch .LBB51_135
.LBB51_131:                             ;   in Loop: Header=BB51_86 Depth=1
	s_andn2_saveexec_b64 s[22:23], s[22:23]
	s_cbranch_execz .LBB51_129
.LBB51_132:                             ;   in Loop: Header=BB51_86 Depth=1
	v_cmp_ne_u64_e32 vcc, -1, v[2:3]
	s_andn2_b64 s[20:21], s[20:21], exec
	s_and_b64 s[24:25], vcc, exec
	s_mov_b64 s[4:5], exec
	s_or_b64 s[20:21], s[20:21], s[24:25]
	s_or_b64 exec, exec, s[22:23]
	s_and_saveexec_b64 s[22:23], s[20:21]
	s_xor_b64 s[20:21], exec, s[22:23]
	s_cbranch_execnz .LBB51_130
.LBB51_133:                             ;   in Loop: Header=BB51_86 Depth=1
	s_or_b64 exec, exec, s[20:21]
	s_and_saveexec_b64 s[20:21], s[4:5]
.LBB51_134:                             ;   in Loop: Header=BB51_86 Depth=1
	v_mov_b64_e32 v[2:3], s[12:13]
.LBB51_135:                             ;   in Loop: Header=BB51_86 Depth=1
	s_or_b64 exec, exec, s[20:21]
	s_waitcnt vmcnt(0)
	v_mov_b64_e32 v[10:11], v[2:3]
	s_and_b64 vcc, exec, s[2:3]
	s_mov_b64 s[4:5], -1
	s_cbranch_vccz .LBB51_102
.LBB51_136:                             ;   in Loop: Header=BB51_86 Depth=1
	s_andn2_b64 vcc, exec, s[4:5]
	s_cbranch_vccnz .LBB51_85
.LBB51_137:                             ;   in Loop: Header=BB51_86 Depth=1
	s_waitcnt vmcnt(1)
	v_cmp_lt_i64_e32 vcc, 0, v[4:5]
	s_mov_b64 s[4:5], 0
	s_mov_b64 s[20:21], 0
	s_and_saveexec_b64 s[22:23], vcc
	s_xor_b64 s[22:23], exec, s[22:23]
	s_cbranch_execz .LBB51_141
; %bb.138:                              ;   in Loop: Header=BB51_86 Depth=1
	v_cmp_ne_u64_e32 vcc, 1, v[4:5]
	s_and_b64 s[20:21], vcc, exec
	s_andn2_saveexec_b64 s[22:23], s[22:23]
	s_cbranch_execnz .LBB51_142
.LBB51_139:                             ;   in Loop: Header=BB51_86 Depth=1
	s_or_b64 exec, exec, s[22:23]
	s_and_saveexec_b64 s[22:23], s[20:21]
	s_xor_b64 s[20:21], exec, s[22:23]
	s_cbranch_execz .LBB51_143
.LBB51_140:                             ;   in Loop: Header=BB51_86 Depth=1
	v_mov_b64_e32 v[4:5], 0
	s_andn2_b64 s[4:5], s[4:5], exec
	s_or_b64 exec, exec, s[20:21]
	s_and_saveexec_b64 s[20:21], s[4:5]
	s_cbranch_execz .LBB51_84
	s_branch .LBB51_144
.LBB51_141:                             ;   in Loop: Header=BB51_86 Depth=1
	s_andn2_saveexec_b64 s[22:23], s[22:23]
	s_cbranch_execz .LBB51_139
.LBB51_142:                             ;   in Loop: Header=BB51_86 Depth=1
	v_cmp_ne_u64_e32 vcc, -1, v[4:5]
	s_andn2_b64 s[20:21], s[20:21], exec
	s_and_b64 s[24:25], vcc, exec
	s_mov_b64 s[4:5], exec
	s_or_b64 s[20:21], s[20:21], s[24:25]
	s_or_b64 exec, exec, s[22:23]
	s_and_saveexec_b64 s[22:23], s[20:21]
	s_xor_b64 s[20:21], exec, s[22:23]
	s_cbranch_execnz .LBB51_140
.LBB51_143:                             ;   in Loop: Header=BB51_86 Depth=1
	s_or_b64 exec, exec, s[20:21]
	s_and_saveexec_b64 s[20:21], s[4:5]
	s_cbranch_execz .LBB51_84
.LBB51_144:                             ;   in Loop: Header=BB51_86 Depth=1
	v_mov_b64_e32 v[4:5], s[12:13]
	s_branch .LBB51_84
.LBB51_145:
	s_endpgm
	.section	.rodata,"a",@progbits
	.p2align	6, 0x0
	.amdhsa_kernel _ZN2at6native12_GLOBAL__N_125multi_tensor_apply_kernelINS1_18TensorListMetadataILi1EEENS1_21BinaryOpScalarFunctorIlLi1ELi1ELi0EEEJNS1_13power_functorIlEElEEEvT_T0_DpT1_
		.amdhsa_group_segment_fixed_size 0
		.amdhsa_private_segment_fixed_size 0
		.amdhsa_kernarg_size 3640
		.amdhsa_user_sgpr_count 2
		.amdhsa_user_sgpr_dispatch_ptr 0
		.amdhsa_user_sgpr_queue_ptr 0
		.amdhsa_user_sgpr_kernarg_segment_ptr 1
		.amdhsa_user_sgpr_dispatch_id 0
		.amdhsa_user_sgpr_kernarg_preload_length 0
		.amdhsa_user_sgpr_kernarg_preload_offset 0
		.amdhsa_user_sgpr_private_segment_size 0
		.amdhsa_uses_dynamic_stack 0
		.amdhsa_enable_private_segment 0
		.amdhsa_system_sgpr_workgroup_id_x 1
		.amdhsa_system_sgpr_workgroup_id_y 0
		.amdhsa_system_sgpr_workgroup_id_z 0
		.amdhsa_system_sgpr_workgroup_info 0
		.amdhsa_system_vgpr_workitem_id 0
		.amdhsa_next_free_vgpr 26
		.amdhsa_next_free_sgpr 46
		.amdhsa_accum_offset 28
		.amdhsa_reserve_vcc 1
		.amdhsa_float_round_mode_32 0
		.amdhsa_float_round_mode_16_64 0
		.amdhsa_float_denorm_mode_32 3
		.amdhsa_float_denorm_mode_16_64 3
		.amdhsa_dx10_clamp 1
		.amdhsa_ieee_mode 1
		.amdhsa_fp16_overflow 0
		.amdhsa_tg_split 0
		.amdhsa_exception_fp_ieee_invalid_op 0
		.amdhsa_exception_fp_denorm_src 0
		.amdhsa_exception_fp_ieee_div_zero 0
		.amdhsa_exception_fp_ieee_overflow 0
		.amdhsa_exception_fp_ieee_underflow 0
		.amdhsa_exception_fp_ieee_inexact 0
		.amdhsa_exception_int_div_zero 0
	.end_amdhsa_kernel
	.section	.text._ZN2at6native12_GLOBAL__N_125multi_tensor_apply_kernelINS1_18TensorListMetadataILi1EEENS1_21BinaryOpScalarFunctorIlLi1ELi1ELi0EEEJNS1_13power_functorIlEElEEEvT_T0_DpT1_,"axG",@progbits,_ZN2at6native12_GLOBAL__N_125multi_tensor_apply_kernelINS1_18TensorListMetadataILi1EEENS1_21BinaryOpScalarFunctorIlLi1ELi1ELi0EEEJNS1_13power_functorIlEElEEEvT_T0_DpT1_,comdat
.Lfunc_end51:
	.size	_ZN2at6native12_GLOBAL__N_125multi_tensor_apply_kernelINS1_18TensorListMetadataILi1EEENS1_21BinaryOpScalarFunctorIlLi1ELi1ELi0EEEJNS1_13power_functorIlEElEEEvT_T0_DpT1_, .Lfunc_end51-_ZN2at6native12_GLOBAL__N_125multi_tensor_apply_kernelINS1_18TensorListMetadataILi1EEENS1_21BinaryOpScalarFunctorIlLi1ELi1ELi0EEEJNS1_13power_functorIlEElEEEvT_T0_DpT1_
                                        ; -- End function
	.set _ZN2at6native12_GLOBAL__N_125multi_tensor_apply_kernelINS1_18TensorListMetadataILi1EEENS1_21BinaryOpScalarFunctorIlLi1ELi1ELi0EEEJNS1_13power_functorIlEElEEEvT_T0_DpT1_.num_vgpr, 26
	.set _ZN2at6native12_GLOBAL__N_125multi_tensor_apply_kernelINS1_18TensorListMetadataILi1EEENS1_21BinaryOpScalarFunctorIlLi1ELi1ELi0EEEJNS1_13power_functorIlEElEEEvT_T0_DpT1_.num_agpr, 0
	.set _ZN2at6native12_GLOBAL__N_125multi_tensor_apply_kernelINS1_18TensorListMetadataILi1EEENS1_21BinaryOpScalarFunctorIlLi1ELi1ELi0EEEJNS1_13power_functorIlEElEEEvT_T0_DpT1_.numbered_sgpr, 46
	.set _ZN2at6native12_GLOBAL__N_125multi_tensor_apply_kernelINS1_18TensorListMetadataILi1EEENS1_21BinaryOpScalarFunctorIlLi1ELi1ELi0EEEJNS1_13power_functorIlEElEEEvT_T0_DpT1_.num_named_barrier, 0
	.set _ZN2at6native12_GLOBAL__N_125multi_tensor_apply_kernelINS1_18TensorListMetadataILi1EEENS1_21BinaryOpScalarFunctorIlLi1ELi1ELi0EEEJNS1_13power_functorIlEElEEEvT_T0_DpT1_.private_seg_size, 0
	.set _ZN2at6native12_GLOBAL__N_125multi_tensor_apply_kernelINS1_18TensorListMetadataILi1EEENS1_21BinaryOpScalarFunctorIlLi1ELi1ELi0EEEJNS1_13power_functorIlEElEEEvT_T0_DpT1_.uses_vcc, 1
	.set _ZN2at6native12_GLOBAL__N_125multi_tensor_apply_kernelINS1_18TensorListMetadataILi1EEENS1_21BinaryOpScalarFunctorIlLi1ELi1ELi0EEEJNS1_13power_functorIlEElEEEvT_T0_DpT1_.uses_flat_scratch, 0
	.set _ZN2at6native12_GLOBAL__N_125multi_tensor_apply_kernelINS1_18TensorListMetadataILi1EEENS1_21BinaryOpScalarFunctorIlLi1ELi1ELi0EEEJNS1_13power_functorIlEElEEEvT_T0_DpT1_.has_dyn_sized_stack, 0
	.set _ZN2at6native12_GLOBAL__N_125multi_tensor_apply_kernelINS1_18TensorListMetadataILi1EEENS1_21BinaryOpScalarFunctorIlLi1ELi1ELi0EEEJNS1_13power_functorIlEElEEEvT_T0_DpT1_.has_recursion, 0
	.set _ZN2at6native12_GLOBAL__N_125multi_tensor_apply_kernelINS1_18TensorListMetadataILi1EEENS1_21BinaryOpScalarFunctorIlLi1ELi1ELi0EEEJNS1_13power_functorIlEElEEEvT_T0_DpT1_.has_indirect_call, 0
	.section	.AMDGPU.csdata,"",@progbits
; Kernel info:
; codeLenInByte = 3324
; TotalNumSgprs: 52
; NumVgprs: 26
; NumAgprs: 0
; TotalNumVgprs: 26
; ScratchSize: 0
; MemoryBound: 1
; FloatMode: 240
; IeeeMode: 1
; LDSByteSize: 0 bytes/workgroup (compile time only)
; SGPRBlocks: 6
; VGPRBlocks: 3
; NumSGPRsForWavesPerEU: 52
; NumVGPRsForWavesPerEU: 26
; AccumOffset: 28
; Occupancy: 8
; WaveLimiterHint : 0
; COMPUTE_PGM_RSRC2:SCRATCH_EN: 0
; COMPUTE_PGM_RSRC2:USER_SGPR: 2
; COMPUTE_PGM_RSRC2:TRAP_HANDLER: 0
; COMPUTE_PGM_RSRC2:TGID_X_EN: 1
; COMPUTE_PGM_RSRC2:TGID_Y_EN: 0
; COMPUTE_PGM_RSRC2:TGID_Z_EN: 0
; COMPUTE_PGM_RSRC2:TIDIG_COMP_CNT: 0
; COMPUTE_PGM_RSRC3_GFX90A:ACCUM_OFFSET: 6
; COMPUTE_PGM_RSRC3_GFX90A:TG_SPLIT: 0
	.section	.text._ZN2at6native12_GLOBAL__N_125multi_tensor_apply_kernelINS1_18TensorListMetadataILi1EEENS1_21BinaryOpScalarFunctorIsLi1ELi1ELi0EEEJNS1_13power_functorIsEEsEEEvT_T0_DpT1_,"axG",@progbits,_ZN2at6native12_GLOBAL__N_125multi_tensor_apply_kernelINS1_18TensorListMetadataILi1EEENS1_21BinaryOpScalarFunctorIsLi1ELi1ELi0EEEJNS1_13power_functorIsEEsEEEvT_T0_DpT1_,comdat
	.globl	_ZN2at6native12_GLOBAL__N_125multi_tensor_apply_kernelINS1_18TensorListMetadataILi1EEENS1_21BinaryOpScalarFunctorIsLi1ELi1ELi0EEEJNS1_13power_functorIsEEsEEEvT_T0_DpT1_ ; -- Begin function _ZN2at6native12_GLOBAL__N_125multi_tensor_apply_kernelINS1_18TensorListMetadataILi1EEENS1_21BinaryOpScalarFunctorIsLi1ELi1ELi0EEEJNS1_13power_functorIsEEsEEEvT_T0_DpT1_
	.p2align	8
	.type	_ZN2at6native12_GLOBAL__N_125multi_tensor_apply_kernelINS1_18TensorListMetadataILi1EEENS1_21BinaryOpScalarFunctorIsLi1ELi1ELi0EEEJNS1_13power_functorIsEEsEEEvT_T0_DpT1_,@function
_ZN2at6native12_GLOBAL__N_125multi_tensor_apply_kernelINS1_18TensorListMetadataILi1EEENS1_21BinaryOpScalarFunctorIsLi1ELi1ELi0EEEJNS1_13power_functorIsEEsEEEvT_T0_DpT1_: ; @_ZN2at6native12_GLOBAL__N_125multi_tensor_apply_kernelINS1_18TensorListMetadataILi1EEENS1_21BinaryOpScalarFunctorIsLi1ELi1ELi0EEEJNS1_13power_functorIsEEsEEEvT_T0_DpT1_
; %bb.0:
	v_mov_b32_e32 v1, s2
	global_load_ubyte v1, v1, s[0:1] offset:1760
	s_load_dword s3, s[0:1], 0xd28
	s_mul_hi_u32 s6, s2, 3
	s_mul_i32 s7, s2, 3
	s_waitcnt lgkmcnt(0)
	s_lshr_b32 s33, s3, 16
	s_add_u32 s2, s0, s2
	s_addc_u32 s3, s1, 0
	s_add_u32 s2, s2, s7
	s_addc_u32 s3, s3, s6
	s_waitcnt vmcnt(0)
	v_lshlrev_b32_e32 v1, 3, v1
	s_nop 0
	v_readfirstlane_b32 s10, v1
	s_load_dwordx2 s[4:5], s[0:1], s10 offset:0x370
	s_load_dword s6, s[2:3], 0x820
	s_load_dwordx2 s[8:9], s[0:1], s10 offset:0x0
	s_mov_b32 s3, 0
	s_waitcnt lgkmcnt(0)
	s_ashr_i32 s7, s6, 31
	s_lshl_b64 s[10:11], s[6:7], 17
	s_add_u32 s14, s8, s10
	s_addc_u32 s15, s9, s11
	s_and_b32 s2, s14, 7
	s_lshl_b64 s[6:7], s[6:7], 16
	s_sub_u32 s16, s4, s6
	s_subb_u32 s17, s5, s7
	s_and_b32 s4, s4, 3
	s_mov_b32 s5, s3
	s_or_b64 s[2:3], s[2:3], s[4:5]
	s_cmp_eq_u64 s[2:3], 0
	s_cbranch_scc1 .LBB52_81
; %bb.1:
	v_cmp_lt_i64_e64 s[2:3], s[16:17], 1
	s_and_b64 vcc, exec, s[2:3]
	s_cbranch_vccnz .LBB52_80
; %bb.2:
	s_load_dword s4, s[0:1], 0xd3c
	v_mov_b64_e32 v[2:3], 0x10000
	v_cmp_lt_i64_e32 vcc, s[16:17], v[2:3]
	s_and_b64 s[2:3], vcc, exec
	s_cselect_b32 s21, s17, 0
	s_cselect_b32 s20, s16, 0x10000
	s_waitcnt lgkmcnt(0)
	s_and_b32 s18, s4, 0xffff
	v_cmp_lt_u64_e32 vcc, s[16:17], v[2:3]
	s_and_b64 s[2:3], vcc, exec
	s_cselect_b32 s23, s17, 0
	s_cselect_b32 s22, s16, 0x10000
	s_lshl_b32 s24, s18, 1
	s_sext_i32_i16 s2, s33
	s_cmp_gt_i32 s2, -1
	s_cselect_b64 s[28:29], -1, 0
	s_and_b32 s2, 0xffff, s33
	s_cmp_lg_u32 s2, 0
	s_cselect_b64 s[2:3], -1, 0
	v_cndmask_b32_e64 v2, 0, 1, s[2:3]
	s_mov_b32 s19, 0
	s_bitcmp0_b32 s33, 0
	v_cmp_ne_u32_e64 s[2:3], 1, v2
	v_cndmask_b32_e64 v2, 0, 1, s[28:29]
	v_mov_b32_e32 v1, 0
	s_mov_b32 s25, s19
	s_mul_i32 s26, s18, 3
	s_mov_b32 s27, s19
	s_cselect_b32 s40, 1, 0xffff
	s_lshl_b32 s41, s18, 2
	s_mov_b64 s[30:31], 0
	v_cmp_ne_u32_e64 s[4:5], 1, v2
	s_branch .LBB52_4
.LBB52_3:                               ;   in Loop: Header=BB52_4 Depth=1
	s_or_b64 exec, exec, s[6:7]
	s_add_u32 s30, s30, s41
	s_addc_u32 s31, s31, 0
	v_mov_b64_e32 v[2:3], s[20:21]
	v_cmp_ge_i64_e32 vcc, s[30:31], v[2:3]
	s_cbranch_vccnz .LBB52_80
.LBB52_4:                               ; =>This Loop Header: Depth=1
                                        ;     Child Loop BB52_15 Depth 2
                                        ;     Child Loop BB52_20 Depth 2
	;; [unrolled: 1-line block ×4, first 2 shown]
	v_lshl_add_u64 v[8:9], s[30:31], 0, v[0:1]
	v_cmp_gt_u64_e64 s[6:7], s[22:23], v[8:9]
	v_lshl_add_u64 v[2:3], v[8:9], 1, s[14:15]
	s_waitcnt vmcnt(0)
	v_mov_b32_e32 v13, 0
	s_and_saveexec_b64 s[8:9], s[6:7]
	s_cbranch_execz .LBB52_6
; %bb.5:                                ;   in Loop: Header=BB52_4 Depth=1
	global_load_ushort v13, v[2:3], off
.LBB52_6:                               ;   in Loop: Header=BB52_4 Depth=1
	s_or_b64 exec, exec, s[8:9]
	v_lshl_add_u64 v[4:5], v[8:9], 0, s[18:19]
	v_cmp_gt_u64_e64 s[8:9], s[22:23], v[4:5]
	v_mov_b32_e32 v12, 0
	v_lshl_add_u64 v[4:5], v[4:5], 1, s[14:15]
	v_mov_b32_e32 v14, 0
	s_and_saveexec_b64 s[10:11], s[8:9]
	s_cbranch_execz .LBB52_8
; %bb.7:                                ;   in Loop: Header=BB52_4 Depth=1
	global_load_ushort v14, v[4:5], off
.LBB52_8:                               ;   in Loop: Header=BB52_4 Depth=1
	s_or_b64 exec, exec, s[10:11]
	v_lshl_add_u64 v[6:7], v[8:9], 0, s[24:25]
	v_cmp_gt_u64_e64 s[10:11], s[22:23], v[6:7]
	v_lshl_add_u64 v[6:7], v[6:7], 1, s[14:15]
	s_and_saveexec_b64 s[12:13], s[10:11]
	s_cbranch_execz .LBB52_10
; %bb.9:                                ;   in Loop: Header=BB52_4 Depth=1
	global_load_ushort v12, v[6:7], off
.LBB52_10:                              ;   in Loop: Header=BB52_4 Depth=1
	s_or_b64 exec, exec, s[12:13]
	v_lshl_add_u64 v[8:9], v[8:9], 0, s[26:27]
	v_cmp_gt_u64_e64 s[12:13], s[22:23], v[8:9]
	v_mov_b32_e32 v10, 0
	v_lshl_add_u64 v[8:9], v[8:9], 1, s[14:15]
	s_and_saveexec_b64 s[34:35], s[12:13]
	s_cbranch_execz .LBB52_12
; %bb.11:                               ;   in Loop: Header=BB52_4 Depth=1
	global_load_ushort v10, v[8:9], off
.LBB52_12:                              ;   in Loop: Header=BB52_4 Depth=1
	s_or_b64 exec, exec, s[34:35]
	s_mov_b64 s[34:35], -1
	s_and_b64 vcc, exec, s[28:29]
                                        ; implicit-def: $vgpr11
	s_cbranch_vccz .LBB52_36
; %bb.13:                               ;   in Loop: Header=BB52_4 Depth=1
	v_mov_b32_e32 v11, 1
	s_and_b64 vcc, exec, s[2:3]
	s_cbranch_vccnz .LBB52_16
; %bb.14:                               ;   in Loop: Header=BB52_4 Depth=1
	s_mov_b32 s34, s33
	s_waitcnt vmcnt(0)
	v_mov_b32_e32 v15, v13
.LBB52_15:                              ;   Parent Loop BB52_4 Depth=1
                                        ; =>  This Inner Loop Header: Depth=2
	s_bitcmp1_b32 s34, 0
	s_cselect_b64 vcc, -1, 0
	s_and_b32 s35, 0xffff, s34
	v_cndmask_b32_e32 v16, 1, v15, vcc
	s_lshr_b32 s35, s35, 1
	s_sext_i32_i16 s34, s34
	v_mul_lo_u16_e32 v11, v16, v11
	v_mul_lo_u16_e32 v15, v15, v15
	s_cmp_gt_i32 s34, 1
	s_mov_b32 s34, s35
	s_cbranch_scc1 .LBB52_15
.LBB52_16:                              ;   in Loop: Header=BB52_4 Depth=1
	s_cbranch_execz .LBB52_37
.LBB52_17:                              ;   in Loop: Header=BB52_4 Depth=1
	s_and_b64 vcc, exec, s[4:5]
	s_mov_b64 s[34:35], -1
                                        ; implicit-def: $vgpr13
	s_cbranch_vccnz .LBB52_46
.LBB52_18:                              ;   in Loop: Header=BB52_4 Depth=1
	s_waitcnt vmcnt(0)
	v_mov_b32_e32 v13, 1
	s_and_b64 vcc, exec, s[2:3]
	s_cbranch_vccnz .LBB52_21
; %bb.19:                               ;   in Loop: Header=BB52_4 Depth=1
	s_mov_b32 s34, s33
	v_mov_b32_e32 v15, v14
.LBB52_20:                              ;   Parent Loop BB52_4 Depth=1
                                        ; =>  This Inner Loop Header: Depth=2
	s_bitcmp1_b32 s34, 0
	s_cselect_b64 vcc, -1, 0
	s_and_b32 s35, 0xffff, s34
	v_cndmask_b32_e32 v16, 1, v15, vcc
	s_lshr_b32 s35, s35, 1
	s_sext_i32_i16 s34, s34
	v_mul_lo_u16_e32 v13, v16, v13
	v_mul_lo_u16_e32 v15, v15, v15
	s_cmp_lt_i32 s34, 2
	s_mov_b32 s34, s35
	s_cbranch_scc0 .LBB52_20
.LBB52_21:                              ;   in Loop: Header=BB52_4 Depth=1
	s_cbranch_execz .LBB52_47
.LBB52_22:                              ;   in Loop: Header=BB52_4 Depth=1
	s_and_b64 vcc, exec, s[4:5]
	s_mov_b64 s[34:35], -1
                                        ; implicit-def: $vgpr14
	s_cbranch_vccnz .LBB52_56
.LBB52_23:                              ;   in Loop: Header=BB52_4 Depth=1
	s_waitcnt vmcnt(0)
	v_mov_b32_e32 v14, 1
	s_and_b64 vcc, exec, s[2:3]
	s_cbranch_vccnz .LBB52_26
; %bb.24:                               ;   in Loop: Header=BB52_4 Depth=1
	s_mov_b32 s34, s33
	v_mov_b32_e32 v15, v12
.LBB52_25:                              ;   Parent Loop BB52_4 Depth=1
                                        ; =>  This Inner Loop Header: Depth=2
	s_bitcmp1_b32 s34, 0
	s_cselect_b64 vcc, -1, 0
	s_and_b32 s35, 0xffff, s34
	v_cndmask_b32_e32 v16, 1, v15, vcc
	s_lshr_b32 s35, s35, 1
	s_sext_i32_i16 s34, s34
	v_mul_lo_u16_e32 v14, v16, v14
	v_mul_lo_u16_e32 v15, v15, v15
	s_cmp_lt_i32 s34, 2
	s_mov_b32 s34, s35
	s_cbranch_scc0 .LBB52_25
.LBB52_26:                              ;   in Loop: Header=BB52_4 Depth=1
	s_cbranch_execz .LBB52_57
.LBB52_27:                              ;   in Loop: Header=BB52_4 Depth=1
	s_and_b64 vcc, exec, s[4:5]
	s_mov_b64 s[34:35], -1
                                        ; implicit-def: $vgpr12
	s_cbranch_vccnz .LBB52_66
.LBB52_28:                              ;   in Loop: Header=BB52_4 Depth=1
	s_waitcnt vmcnt(0)
	v_mov_b32_e32 v12, 1
	s_and_b64 vcc, exec, s[2:3]
	s_cbranch_vccnz .LBB52_31
; %bb.29:                               ;   in Loop: Header=BB52_4 Depth=1
	s_mov_b32 s34, s33
	v_mov_b32_e32 v15, v10
.LBB52_30:                              ;   Parent Loop BB52_4 Depth=1
                                        ; =>  This Inner Loop Header: Depth=2
	s_bitcmp1_b32 s34, 0
	s_cselect_b64 vcc, -1, 0
	s_and_b32 s35, 0xffff, s34
	v_cndmask_b32_e32 v16, 1, v15, vcc
	s_lshr_b32 s35, s35, 1
	s_sext_i32_i16 s34, s34
	v_mul_lo_u16_e32 v12, v16, v12
	v_mul_lo_u16_e32 v15, v15, v15
	s_cmp_lt_i32 s34, 2
	s_mov_b32 s34, s35
	s_cbranch_scc0 .LBB52_30
.LBB52_31:                              ;   in Loop: Header=BB52_4 Depth=1
	s_cbranch_execz .LBB52_67
.LBB52_32:                              ;   in Loop: Header=BB52_4 Depth=1
	s_and_saveexec_b64 s[34:35], s[6:7]
	s_xor_b64 s[6:7], exec, s[34:35]
	s_cbranch_execz .LBB52_76
.LBB52_33:                              ;   in Loop: Header=BB52_4 Depth=1
	global_store_short v[2:3], v11, off
	s_or_b64 exec, exec, s[6:7]
	s_and_saveexec_b64 s[6:7], s[8:9]
	s_cbranch_execnz .LBB52_77
.LBB52_34:                              ;   in Loop: Header=BB52_4 Depth=1
	s_or_b64 exec, exec, s[6:7]
	s_and_saveexec_b64 s[6:7], s[10:11]
	s_cbranch_execz .LBB52_78
.LBB52_35:                              ;   in Loop: Header=BB52_4 Depth=1
	s_waitcnt vmcnt(0)
	global_store_short v[6:7], v14, off
	s_or_b64 exec, exec, s[6:7]
	s_and_saveexec_b64 s[6:7], s[12:13]
	s_cbranch_execz .LBB52_3
	s_branch .LBB52_79
.LBB52_36:                              ;   in Loop: Header=BB52_4 Depth=1
	s_andn2_b64 vcc, exec, s[34:35]
	s_cbranch_vccnz .LBB52_17
.LBB52_37:                              ;   in Loop: Header=BB52_4 Depth=1
	s_waitcnt vmcnt(0)
	v_cmp_lt_i16_e32 vcc, 0, v13
	s_mov_b64 s[34:35], 0
	s_mov_b64 s[36:37], 0
	s_and_saveexec_b64 s[38:39], vcc
	s_xor_b64 s[38:39], exec, s[38:39]
	s_cbranch_execz .LBB52_41
; %bb.38:                               ;   in Loop: Header=BB52_4 Depth=1
	v_cmp_ne_u16_e32 vcc, 1, v13
	s_and_b64 s[36:37], vcc, exec
	s_andn2_saveexec_b64 s[38:39], s[38:39]
	s_cbranch_execnz .LBB52_42
.LBB52_39:                              ;   in Loop: Header=BB52_4 Depth=1
	s_or_b64 exec, exec, s[38:39]
	s_and_saveexec_b64 s[38:39], s[36:37]
	s_xor_b64 s[36:37], exec, s[38:39]
	s_cbranch_execz .LBB52_43
.LBB52_40:                              ;   in Loop: Header=BB52_4 Depth=1
	v_mov_b32_e32 v13, 0
	s_andn2_b64 s[34:35], s[34:35], exec
	s_or_b64 exec, exec, s[36:37]
	s_and_saveexec_b64 s[36:37], s[34:35]
	s_cbranch_execnz .LBB52_44
	s_branch .LBB52_45
.LBB52_41:                              ;   in Loop: Header=BB52_4 Depth=1
	s_andn2_saveexec_b64 s[38:39], s[38:39]
	s_cbranch_execz .LBB52_39
.LBB52_42:                              ;   in Loop: Header=BB52_4 Depth=1
	v_cmp_ne_u16_e32 vcc, -1, v13
	s_andn2_b64 s[36:37], s[36:37], exec
	s_and_b64 s[42:43], vcc, exec
	s_mov_b64 s[34:35], exec
	s_or_b64 s[36:37], s[36:37], s[42:43]
	s_or_b64 exec, exec, s[38:39]
	s_and_saveexec_b64 s[38:39], s[36:37]
	s_xor_b64 s[36:37], exec, s[38:39]
	s_cbranch_execnz .LBB52_40
.LBB52_43:                              ;   in Loop: Header=BB52_4 Depth=1
	s_or_b64 exec, exec, s[36:37]
	s_and_saveexec_b64 s[36:37], s[34:35]
.LBB52_44:                              ;   in Loop: Header=BB52_4 Depth=1
	v_mov_b32_e32 v13, s40
.LBB52_45:                              ;   in Loop: Header=BB52_4 Depth=1
	s_or_b64 exec, exec, s[36:37]
	v_mov_b32_e32 v11, v13
	s_and_b64 vcc, exec, s[4:5]
	s_mov_b64 s[34:35], -1
                                        ; implicit-def: $vgpr13
	s_cbranch_vccz .LBB52_18
.LBB52_46:                              ;   in Loop: Header=BB52_4 Depth=1
	s_andn2_b64 vcc, exec, s[34:35]
	s_cbranch_vccnz .LBB52_22
.LBB52_47:                              ;   in Loop: Header=BB52_4 Depth=1
	s_waitcnt vmcnt(0)
	v_cmp_lt_i16_e32 vcc, 0, v14
	s_mov_b64 s[34:35], 0
	s_mov_b64 s[36:37], 0
	s_and_saveexec_b64 s[38:39], vcc
	s_xor_b64 s[38:39], exec, s[38:39]
	s_cbranch_execz .LBB52_51
; %bb.48:                               ;   in Loop: Header=BB52_4 Depth=1
	v_cmp_ne_u16_e32 vcc, 1, v14
	s_and_b64 s[36:37], vcc, exec
	s_andn2_saveexec_b64 s[38:39], s[38:39]
	s_cbranch_execnz .LBB52_52
.LBB52_49:                              ;   in Loop: Header=BB52_4 Depth=1
	s_or_b64 exec, exec, s[38:39]
	s_and_saveexec_b64 s[38:39], s[36:37]
	s_xor_b64 s[36:37], exec, s[38:39]
	s_cbranch_execz .LBB52_53
.LBB52_50:                              ;   in Loop: Header=BB52_4 Depth=1
	v_mov_b32_e32 v14, 0
	s_andn2_b64 s[34:35], s[34:35], exec
	s_or_b64 exec, exec, s[36:37]
	s_and_saveexec_b64 s[36:37], s[34:35]
	s_cbranch_execnz .LBB52_54
	s_branch .LBB52_55
.LBB52_51:                              ;   in Loop: Header=BB52_4 Depth=1
	s_andn2_saveexec_b64 s[38:39], s[38:39]
	s_cbranch_execz .LBB52_49
.LBB52_52:                              ;   in Loop: Header=BB52_4 Depth=1
	v_cmp_ne_u16_e32 vcc, -1, v14
	s_andn2_b64 s[36:37], s[36:37], exec
	s_and_b64 s[42:43], vcc, exec
	s_mov_b64 s[34:35], exec
	s_or_b64 s[36:37], s[36:37], s[42:43]
	s_or_b64 exec, exec, s[38:39]
	s_and_saveexec_b64 s[38:39], s[36:37]
	s_xor_b64 s[36:37], exec, s[38:39]
	s_cbranch_execnz .LBB52_50
.LBB52_53:                              ;   in Loop: Header=BB52_4 Depth=1
	s_or_b64 exec, exec, s[36:37]
	s_and_saveexec_b64 s[36:37], s[34:35]
.LBB52_54:                              ;   in Loop: Header=BB52_4 Depth=1
	v_mov_b32_e32 v14, s40
.LBB52_55:                              ;   in Loop: Header=BB52_4 Depth=1
	s_or_b64 exec, exec, s[36:37]
	v_mov_b32_e32 v13, v14
	s_and_b64 vcc, exec, s[4:5]
	s_mov_b64 s[34:35], -1
                                        ; implicit-def: $vgpr14
	s_cbranch_vccz .LBB52_23
.LBB52_56:                              ;   in Loop: Header=BB52_4 Depth=1
	s_andn2_b64 vcc, exec, s[34:35]
	s_cbranch_vccnz .LBB52_27
.LBB52_57:                              ;   in Loop: Header=BB52_4 Depth=1
	s_waitcnt vmcnt(0)
	v_cmp_lt_i16_e32 vcc, 0, v12
	s_mov_b64 s[34:35], 0
	s_mov_b64 s[36:37], 0
	s_and_saveexec_b64 s[38:39], vcc
	s_xor_b64 s[38:39], exec, s[38:39]
	s_cbranch_execz .LBB52_61
; %bb.58:                               ;   in Loop: Header=BB52_4 Depth=1
	v_cmp_ne_u16_e32 vcc, 1, v12
	s_and_b64 s[36:37], vcc, exec
	s_andn2_saveexec_b64 s[38:39], s[38:39]
	s_cbranch_execnz .LBB52_62
.LBB52_59:                              ;   in Loop: Header=BB52_4 Depth=1
	s_or_b64 exec, exec, s[38:39]
	s_and_saveexec_b64 s[38:39], s[36:37]
	s_xor_b64 s[36:37], exec, s[38:39]
	s_cbranch_execz .LBB52_63
.LBB52_60:                              ;   in Loop: Header=BB52_4 Depth=1
	v_mov_b32_e32 v12, 0
	s_andn2_b64 s[34:35], s[34:35], exec
	s_or_b64 exec, exec, s[36:37]
	s_and_saveexec_b64 s[36:37], s[34:35]
	s_cbranch_execnz .LBB52_64
	s_branch .LBB52_65
.LBB52_61:                              ;   in Loop: Header=BB52_4 Depth=1
	s_andn2_saveexec_b64 s[38:39], s[38:39]
	s_cbranch_execz .LBB52_59
.LBB52_62:                              ;   in Loop: Header=BB52_4 Depth=1
	v_cmp_ne_u16_e32 vcc, -1, v12
	s_andn2_b64 s[36:37], s[36:37], exec
	s_and_b64 s[42:43], vcc, exec
	s_mov_b64 s[34:35], exec
	s_or_b64 s[36:37], s[36:37], s[42:43]
	s_or_b64 exec, exec, s[38:39]
	s_and_saveexec_b64 s[38:39], s[36:37]
	s_xor_b64 s[36:37], exec, s[38:39]
	s_cbranch_execnz .LBB52_60
.LBB52_63:                              ;   in Loop: Header=BB52_4 Depth=1
	s_or_b64 exec, exec, s[36:37]
	s_and_saveexec_b64 s[36:37], s[34:35]
.LBB52_64:                              ;   in Loop: Header=BB52_4 Depth=1
	v_mov_b32_e32 v12, s40
.LBB52_65:                              ;   in Loop: Header=BB52_4 Depth=1
	s_or_b64 exec, exec, s[36:37]
	v_mov_b32_e32 v14, v12
	s_and_b64 vcc, exec, s[4:5]
	s_mov_b64 s[34:35], -1
                                        ; implicit-def: $vgpr12
	s_cbranch_vccz .LBB52_28
.LBB52_66:                              ;   in Loop: Header=BB52_4 Depth=1
	s_andn2_b64 vcc, exec, s[34:35]
	s_cbranch_vccnz .LBB52_32
.LBB52_67:                              ;   in Loop: Header=BB52_4 Depth=1
	s_waitcnt vmcnt(0)
	v_cmp_lt_i16_e32 vcc, 0, v10
	s_mov_b64 s[34:35], 0
	s_mov_b64 s[36:37], 0
	s_and_saveexec_b64 s[38:39], vcc
	s_xor_b64 s[38:39], exec, s[38:39]
	s_cbranch_execz .LBB52_71
; %bb.68:                               ;   in Loop: Header=BB52_4 Depth=1
	v_cmp_ne_u16_e32 vcc, 1, v10
	s_and_b64 s[36:37], vcc, exec
	s_andn2_saveexec_b64 s[38:39], s[38:39]
	s_cbranch_execnz .LBB52_72
.LBB52_69:                              ;   in Loop: Header=BB52_4 Depth=1
	s_or_b64 exec, exec, s[38:39]
	s_and_saveexec_b64 s[38:39], s[36:37]
	s_xor_b64 s[36:37], exec, s[38:39]
	s_cbranch_execz .LBB52_73
.LBB52_70:                              ;   in Loop: Header=BB52_4 Depth=1
	v_mov_b32_e32 v10, 0
	s_andn2_b64 s[34:35], s[34:35], exec
	s_or_b64 exec, exec, s[36:37]
	s_and_saveexec_b64 s[36:37], s[34:35]
	s_cbranch_execnz .LBB52_74
	s_branch .LBB52_75
.LBB52_71:                              ;   in Loop: Header=BB52_4 Depth=1
	s_andn2_saveexec_b64 s[38:39], s[38:39]
	s_cbranch_execz .LBB52_69
.LBB52_72:                              ;   in Loop: Header=BB52_4 Depth=1
	v_cmp_ne_u16_e32 vcc, -1, v10
	s_andn2_b64 s[36:37], s[36:37], exec
	s_and_b64 s[42:43], vcc, exec
	s_mov_b64 s[34:35], exec
	s_or_b64 s[36:37], s[36:37], s[42:43]
	s_or_b64 exec, exec, s[38:39]
	s_and_saveexec_b64 s[38:39], s[36:37]
	s_xor_b64 s[36:37], exec, s[38:39]
	s_cbranch_execnz .LBB52_70
.LBB52_73:                              ;   in Loop: Header=BB52_4 Depth=1
	s_or_b64 exec, exec, s[36:37]
	s_and_saveexec_b64 s[36:37], s[34:35]
.LBB52_74:                              ;   in Loop: Header=BB52_4 Depth=1
	v_mov_b32_e32 v10, s40
.LBB52_75:                              ;   in Loop: Header=BB52_4 Depth=1
	s_or_b64 exec, exec, s[36:37]
	v_mov_b32_e32 v12, v10
	s_and_saveexec_b64 s[34:35], s[6:7]
	s_xor_b64 s[6:7], exec, s[34:35]
	s_cbranch_execnz .LBB52_33
.LBB52_76:                              ;   in Loop: Header=BB52_4 Depth=1
	s_or_b64 exec, exec, s[6:7]
	s_and_saveexec_b64 s[6:7], s[8:9]
	s_cbranch_execz .LBB52_34
.LBB52_77:                              ;   in Loop: Header=BB52_4 Depth=1
	s_waitcnt vmcnt(0)
	global_store_short v[4:5], v13, off
	s_or_b64 exec, exec, s[6:7]
	s_and_saveexec_b64 s[6:7], s[10:11]
	s_cbranch_execnz .LBB52_35
.LBB52_78:                              ;   in Loop: Header=BB52_4 Depth=1
	s_or_b64 exec, exec, s[6:7]
	s_and_saveexec_b64 s[6:7], s[12:13]
	s_cbranch_execz .LBB52_3
.LBB52_79:                              ;   in Loop: Header=BB52_4 Depth=1
	s_waitcnt vmcnt(0)
	global_store_short v[8:9], v12, off
	s_branch .LBB52_3
.LBB52_80:
	s_cbranch_execz .LBB52_82
	s_branch .LBB52_145
.LBB52_81:
.LBB52_82:
	v_mov_b64_e32 v[4:5], 0x10000
	v_cmp_lt_i64_e32 vcc, s[16:17], v[4:5]
	s_and_b64 s[2:3], vcc, exec
	v_mov_b32_e32 v3, 0
	s_cselect_b32 s7, s17, 0
	s_cselect_b32 s6, s16, 0x10000
	v_lshlrev_b32_e32 v2, 2, v0
	s_mov_b32 s5, 0
	v_cmp_gt_i64_e32 vcc, s[6:7], v[2:3]
	s_and_saveexec_b64 s[2:3], vcc
	s_cbranch_execz .LBB52_145
; %bb.83:
	s_sext_i32_i16 s2, s33
	s_cmp_gt_i32 s2, -1
	s_cselect_b64 s[8:9], -1, 0
	s_and_b32 s2, 0xffff, s33
	s_load_dword s3, s[0:1], 0xd3c
	s_cmp_lg_u32 s2, 0
	s_cselect_b64 s[0:1], -1, 0
	v_cndmask_b32_e64 v2, 0, 1, s[0:1]
	s_bitcmp0_b32 s33, 0
	v_cmp_ne_u32_e64 s[0:1], 1, v2
	v_cndmask_b32_e64 v2, 0, 1, s[8:9]
	v_mov_b32_e32 v1, v3
	s_cselect_b32 s20, 1, 0xffff
	s_waitcnt lgkmcnt(0)
	s_and_b32 s4, s3, 0xffff
	s_mov_b64 s[10:11], 0
	v_cmp_ne_u32_e64 s[2:3], 1, v2
	s_mov_b32 s21, 0x5040100
	s_branch .LBB52_86
.LBB52_84:                              ;   in Loop: Header=BB52_86 Depth=1
	s_or_b64 exec, exec, s[16:17]
	v_mov_b32_e32 v8, v5
.LBB52_85:                              ;   in Loop: Header=BB52_86 Depth=1
	v_lshl_add_u64 v[0:1], v[0:1], 0, s[4:5]
	v_perm_b32 v5, v8, v7, s21
	v_perm_b32 v4, v4, v6, s21
	v_lshlrev_b64 v[6:7], 2, v[0:1]
	v_cmp_le_i64_e32 vcc, s[6:7], v[6:7]
	s_or_b64 s[10:11], vcc, s[10:11]
	global_store_dwordx2 v[2:3], v[4:5], off
	s_andn2_b64 exec, exec, s[10:11]
	s_cbranch_execz .LBB52_145
.LBB52_86:                              ; =>This Loop Header: Depth=1
                                        ;     Child Loop BB52_89 Depth 2
                                        ;     Child Loop BB52_94 Depth 2
	;; [unrolled: 1-line block ×4, first 2 shown]
	v_lshl_add_u64 v[2:3], v[0:1], 3, s[14:15]
	global_load_dwordx2 v[4:5], v[2:3], off
	s_mov_b64 s[12:13], -1
	s_and_b64 vcc, exec, s[8:9]
                                        ; implicit-def: $vgpr6
	s_cbranch_vccz .LBB52_106
; %bb.87:                               ;   in Loop: Header=BB52_86 Depth=1
	v_mov_b32_e32 v6, 1
	s_and_b64 vcc, exec, s[0:1]
	s_cbranch_vccnz .LBB52_90
; %bb.88:                               ;   in Loop: Header=BB52_86 Depth=1
	s_mov_b32 s12, s33
	s_waitcnt vmcnt(0)
	v_mov_b32_e32 v7, v4
.LBB52_89:                              ;   Parent Loop BB52_86 Depth=1
                                        ; =>  This Inner Loop Header: Depth=2
	s_bitcmp1_b32 s12, 0
	s_cselect_b64 vcc, -1, 0
	s_and_b32 s13, 0xffff, s12
	v_cndmask_b32_e32 v8, 1, v7, vcc
	s_lshr_b32 s13, s13, 1
	s_sext_i32_i16 s12, s12
	v_mul_lo_u16_e32 v6, v8, v6
	v_mul_lo_u16_e32 v7, v7, v7
	s_cmp_gt_i32 s12, 1
	s_mov_b32 s12, s13
	s_cbranch_scc1 .LBB52_89
.LBB52_90:                              ;   in Loop: Header=BB52_86 Depth=1
	s_cbranch_execz .LBB52_107
.LBB52_91:                              ;   in Loop: Header=BB52_86 Depth=1
	s_waitcnt vmcnt(0)
	v_lshrrev_b32_e32 v7, 16, v4
	s_and_b64 vcc, exec, s[2:3]
	s_mov_b64 s[12:13], -1
                                        ; implicit-def: $vgpr4
	s_cbranch_vccnz .LBB52_116
.LBB52_92:                              ;   in Loop: Header=BB52_86 Depth=1
	v_mov_b32_e32 v4, 1
	s_and_b64 vcc, exec, s[0:1]
	s_cbranch_vccnz .LBB52_95
; %bb.93:                               ;   in Loop: Header=BB52_86 Depth=1
	s_mov_b32 s12, s33
	v_mov_b32_e32 v8, v7
.LBB52_94:                              ;   Parent Loop BB52_86 Depth=1
                                        ; =>  This Inner Loop Header: Depth=2
	s_bitcmp1_b32 s12, 0
	s_cselect_b64 vcc, -1, 0
	s_and_b32 s13, 0xffff, s12
	v_cndmask_b32_e32 v9, 1, v8, vcc
	s_lshr_b32 s13, s13, 1
	s_sext_i32_i16 s12, s12
	v_mul_lo_u16_e32 v4, v9, v4
	v_mul_lo_u16_e32 v8, v8, v8
	s_cmp_lt_i32 s12, 2
	s_mov_b32 s12, s13
	s_cbranch_scc0 .LBB52_94
.LBB52_95:                              ;   in Loop: Header=BB52_86 Depth=1
	s_cbranch_execz .LBB52_117
.LBB52_96:                              ;   in Loop: Header=BB52_86 Depth=1
	v_mov_b32_e32 v8, v5
	s_and_b64 vcc, exec, s[2:3]
	s_mov_b64 s[12:13], -1
                                        ; implicit-def: $vgpr7
	s_cbranch_vccnz .LBB52_126
.LBB52_97:                              ;   in Loop: Header=BB52_86 Depth=1
	v_mov_b32_e32 v7, 1
	s_and_b64 vcc, exec, s[0:1]
	s_cbranch_vccnz .LBB52_100
; %bb.98:                               ;   in Loop: Header=BB52_86 Depth=1
	s_mov_b32 s12, s33
	v_mov_b32_e32 v9, v8
.LBB52_99:                              ;   Parent Loop BB52_86 Depth=1
                                        ; =>  This Inner Loop Header: Depth=2
	s_bitcmp1_b32 s12, 0
	s_cselect_b64 vcc, -1, 0
	s_and_b32 s13, 0xffff, s12
	v_cndmask_b32_e32 v10, 1, v9, vcc
	s_lshr_b32 s13, s13, 1
	s_sext_i32_i16 s12, s12
	v_mul_lo_u16_e32 v7, v10, v7
	v_mul_lo_u16_e32 v9, v9, v9
	s_cmp_lt_i32 s12, 2
	s_mov_b32 s12, s13
	s_cbranch_scc0 .LBB52_99
.LBB52_100:                             ;   in Loop: Header=BB52_86 Depth=1
	s_cbranch_execz .LBB52_127
.LBB52_101:                             ;   in Loop: Header=BB52_86 Depth=1
	v_lshrrev_b32_e32 v5, 16, v5
	s_and_b64 vcc, exec, s[2:3]
	s_mov_b64 s[12:13], -1
                                        ; implicit-def: $vgpr8
	s_cbranch_vccnz .LBB52_136
.LBB52_102:                             ;   in Loop: Header=BB52_86 Depth=1
	v_mov_b32_e32 v8, 1
	s_and_b64 vcc, exec, s[0:1]
	s_cbranch_vccnz .LBB52_105
; %bb.103:                              ;   in Loop: Header=BB52_86 Depth=1
	s_mov_b32 s12, s33
	v_mov_b32_e32 v9, v5
.LBB52_104:                             ;   Parent Loop BB52_86 Depth=1
                                        ; =>  This Inner Loop Header: Depth=2
	s_bitcmp1_b32 s12, 0
	s_cselect_b64 vcc, -1, 0
	s_and_b32 s13, 0xffff, s12
	v_cndmask_b32_e32 v10, 1, v9, vcc
	s_lshr_b32 s13, s13, 1
	s_sext_i32_i16 s12, s12
	v_mul_lo_u16_e32 v8, v10, v8
	v_mul_lo_u16_e32 v9, v9, v9
	s_cmp_lt_i32 s12, 2
	s_mov_b32 s12, s13
	s_cbranch_scc0 .LBB52_104
.LBB52_105:                             ;   in Loop: Header=BB52_86 Depth=1
	s_cbranch_execnz .LBB52_85
	s_branch .LBB52_137
.LBB52_106:                             ;   in Loop: Header=BB52_86 Depth=1
	s_andn2_b64 vcc, exec, s[12:13]
	s_cbranch_vccnz .LBB52_91
.LBB52_107:                             ;   in Loop: Header=BB52_86 Depth=1
	s_waitcnt vmcnt(0)
	v_cmp_lt_i16_e32 vcc, 0, v4
	s_mov_b64 s[12:13], 0
	s_mov_b64 s[16:17], 0
	s_and_saveexec_b64 s[18:19], vcc
	s_xor_b64 s[18:19], exec, s[18:19]
; %bb.108:                              ;   in Loop: Header=BB52_86 Depth=1
	v_cmp_ne_u16_e32 vcc, 1, v4
	s_and_b64 s[16:17], vcc, exec
; %bb.109:                              ;   in Loop: Header=BB52_86 Depth=1
	s_andn2_saveexec_b64 s[18:19], s[18:19]
; %bb.110:                              ;   in Loop: Header=BB52_86 Depth=1
	v_cmp_ne_u16_e32 vcc, -1, v4
	s_andn2_b64 s[16:17], s[16:17], exec
	s_and_b64 s[22:23], vcc, exec
	s_mov_b64 s[12:13], exec
	s_or_b64 s[16:17], s[16:17], s[22:23]
; %bb.111:                              ;   in Loop: Header=BB52_86 Depth=1
	s_or_b64 exec, exec, s[18:19]
	v_mov_b32_e32 v6, v4
	s_and_saveexec_b64 s[18:19], s[16:17]
	s_xor_b64 s[16:17], exec, s[18:19]
; %bb.112:                              ;   in Loop: Header=BB52_86 Depth=1
	v_mov_b32_e32 v6, 0
	s_andn2_b64 s[12:13], s[12:13], exec
; %bb.113:                              ;   in Loop: Header=BB52_86 Depth=1
	s_or_b64 exec, exec, s[16:17]
	s_and_saveexec_b64 s[16:17], s[12:13]
; %bb.114:                              ;   in Loop: Header=BB52_86 Depth=1
	v_mov_b32_e32 v6, s20
; %bb.115:                              ;   in Loop: Header=BB52_86 Depth=1
	s_or_b64 exec, exec, s[16:17]
	v_lshrrev_b32_e32 v7, 16, v4
	s_and_b64 vcc, exec, s[2:3]
	s_mov_b64 s[12:13], -1
                                        ; implicit-def: $vgpr4
	s_cbranch_vccz .LBB52_92
.LBB52_116:                             ;   in Loop: Header=BB52_86 Depth=1
	s_andn2_b64 vcc, exec, s[12:13]
	s_cbranch_vccnz .LBB52_96
.LBB52_117:                             ;   in Loop: Header=BB52_86 Depth=1
	v_cmp_lt_i16_e32 vcc, 0, v7
	s_mov_b64 s[12:13], 0
	s_mov_b64 s[16:17], 0
	s_and_saveexec_b64 s[18:19], vcc
	s_xor_b64 s[18:19], exec, s[18:19]
	s_cbranch_execz .LBB52_121
; %bb.118:                              ;   in Loop: Header=BB52_86 Depth=1
	v_cmp_ne_u16_e32 vcc, 1, v7
	s_and_b64 s[16:17], vcc, exec
	s_andn2_saveexec_b64 s[18:19], s[18:19]
	s_cbranch_execnz .LBB52_122
.LBB52_119:                             ;   in Loop: Header=BB52_86 Depth=1
	s_or_b64 exec, exec, s[18:19]
	s_and_saveexec_b64 s[18:19], s[16:17]
	s_xor_b64 s[16:17], exec, s[18:19]
	s_cbranch_execz .LBB52_123
.LBB52_120:                             ;   in Loop: Header=BB52_86 Depth=1
	v_mov_b32_e32 v7, 0
	s_andn2_b64 s[12:13], s[12:13], exec
	s_or_b64 exec, exec, s[16:17]
	s_and_saveexec_b64 s[16:17], s[12:13]
	s_cbranch_execnz .LBB52_124
	s_branch .LBB52_125
.LBB52_121:                             ;   in Loop: Header=BB52_86 Depth=1
	s_andn2_saveexec_b64 s[18:19], s[18:19]
	s_cbranch_execz .LBB52_119
.LBB52_122:                             ;   in Loop: Header=BB52_86 Depth=1
	v_cmp_ne_u16_e32 vcc, -1, v7
	s_andn2_b64 s[16:17], s[16:17], exec
	s_and_b64 s[22:23], vcc, exec
	s_mov_b64 s[12:13], exec
	s_or_b64 s[16:17], s[16:17], s[22:23]
	s_or_b64 exec, exec, s[18:19]
	s_and_saveexec_b64 s[18:19], s[16:17]
	s_xor_b64 s[16:17], exec, s[18:19]
	s_cbranch_execnz .LBB52_120
.LBB52_123:                             ;   in Loop: Header=BB52_86 Depth=1
	s_or_b64 exec, exec, s[16:17]
	s_and_saveexec_b64 s[16:17], s[12:13]
.LBB52_124:                             ;   in Loop: Header=BB52_86 Depth=1
	v_mov_b32_e32 v7, s20
.LBB52_125:                             ;   in Loop: Header=BB52_86 Depth=1
	s_or_b64 exec, exec, s[16:17]
	v_mov_b32_e32 v4, v7
	v_mov_b32_e32 v8, v5
	s_and_b64 vcc, exec, s[2:3]
	s_mov_b64 s[12:13], -1
                                        ; implicit-def: $vgpr7
	s_cbranch_vccz .LBB52_97
.LBB52_126:                             ;   in Loop: Header=BB52_86 Depth=1
	s_andn2_b64 vcc, exec, s[12:13]
	s_cbranch_vccnz .LBB52_101
.LBB52_127:                             ;   in Loop: Header=BB52_86 Depth=1
	v_cmp_lt_i16_e32 vcc, 0, v5
	s_mov_b64 s[12:13], 0
	s_mov_b64 s[16:17], 0
	s_and_saveexec_b64 s[18:19], vcc
	s_xor_b64 s[18:19], exec, s[18:19]
	s_cbranch_execz .LBB52_131
; %bb.128:                              ;   in Loop: Header=BB52_86 Depth=1
	v_cmp_ne_u16_e32 vcc, 1, v5
	s_and_b64 s[16:17], vcc, exec
	s_andn2_saveexec_b64 s[18:19], s[18:19]
	s_cbranch_execnz .LBB52_132
.LBB52_129:                             ;   in Loop: Header=BB52_86 Depth=1
	s_or_b64 exec, exec, s[18:19]
	s_and_saveexec_b64 s[18:19], s[16:17]
	s_xor_b64 s[16:17], exec, s[18:19]
	s_cbranch_execz .LBB52_133
.LBB52_130:                             ;   in Loop: Header=BB52_86 Depth=1
	v_mov_b32_e32 v8, 0
	s_andn2_b64 s[12:13], s[12:13], exec
	s_or_b64 exec, exec, s[16:17]
	s_and_saveexec_b64 s[16:17], s[12:13]
	s_cbranch_execnz .LBB52_134
	s_branch .LBB52_135
.LBB52_131:                             ;   in Loop: Header=BB52_86 Depth=1
	s_andn2_saveexec_b64 s[18:19], s[18:19]
	s_cbranch_execz .LBB52_129
.LBB52_132:                             ;   in Loop: Header=BB52_86 Depth=1
	v_cmp_ne_u16_e32 vcc, -1, v5
	s_andn2_b64 s[16:17], s[16:17], exec
	s_and_b64 s[22:23], vcc, exec
	s_mov_b64 s[12:13], exec
	s_or_b64 s[16:17], s[16:17], s[22:23]
	s_or_b64 exec, exec, s[18:19]
	s_and_saveexec_b64 s[18:19], s[16:17]
	s_xor_b64 s[16:17], exec, s[18:19]
	s_cbranch_execnz .LBB52_130
.LBB52_133:                             ;   in Loop: Header=BB52_86 Depth=1
	s_or_b64 exec, exec, s[16:17]
	s_and_saveexec_b64 s[16:17], s[12:13]
.LBB52_134:                             ;   in Loop: Header=BB52_86 Depth=1
	v_mov_b32_e32 v8, s20
.LBB52_135:                             ;   in Loop: Header=BB52_86 Depth=1
	s_or_b64 exec, exec, s[16:17]
	v_mov_b32_e32 v7, v8
	v_lshrrev_b32_e32 v5, 16, v5
	s_and_b64 vcc, exec, s[2:3]
	s_mov_b64 s[12:13], -1
                                        ; implicit-def: $vgpr8
	s_cbranch_vccz .LBB52_102
.LBB52_136:                             ;   in Loop: Header=BB52_86 Depth=1
	s_andn2_b64 vcc, exec, s[12:13]
	s_cbranch_vccnz .LBB52_85
.LBB52_137:                             ;   in Loop: Header=BB52_86 Depth=1
	v_cmp_lt_i16_e32 vcc, 0, v5
	s_mov_b64 s[12:13], 0
	s_mov_b64 s[16:17], 0
	s_and_saveexec_b64 s[18:19], vcc
	s_xor_b64 s[18:19], exec, s[18:19]
	s_cbranch_execz .LBB52_141
; %bb.138:                              ;   in Loop: Header=BB52_86 Depth=1
	v_cmp_ne_u16_e32 vcc, 1, v5
	s_and_b64 s[16:17], vcc, exec
	s_andn2_saveexec_b64 s[18:19], s[18:19]
	s_cbranch_execnz .LBB52_142
.LBB52_139:                             ;   in Loop: Header=BB52_86 Depth=1
	s_or_b64 exec, exec, s[18:19]
	s_and_saveexec_b64 s[18:19], s[16:17]
	s_xor_b64 s[16:17], exec, s[18:19]
	s_cbranch_execz .LBB52_143
.LBB52_140:                             ;   in Loop: Header=BB52_86 Depth=1
	v_mov_b32_e32 v5, 0
	s_andn2_b64 s[12:13], s[12:13], exec
	s_or_b64 exec, exec, s[16:17]
	s_and_saveexec_b64 s[16:17], s[12:13]
	s_cbranch_execz .LBB52_84
	s_branch .LBB52_144
.LBB52_141:                             ;   in Loop: Header=BB52_86 Depth=1
	s_andn2_saveexec_b64 s[18:19], s[18:19]
	s_cbranch_execz .LBB52_139
.LBB52_142:                             ;   in Loop: Header=BB52_86 Depth=1
	v_cmp_ne_u16_e32 vcc, -1, v5
	s_andn2_b64 s[16:17], s[16:17], exec
	s_and_b64 s[22:23], vcc, exec
	s_mov_b64 s[12:13], exec
	s_or_b64 s[16:17], s[16:17], s[22:23]
	s_or_b64 exec, exec, s[18:19]
	s_and_saveexec_b64 s[18:19], s[16:17]
	s_xor_b64 s[16:17], exec, s[18:19]
	s_cbranch_execnz .LBB52_140
.LBB52_143:                             ;   in Loop: Header=BB52_86 Depth=1
	s_or_b64 exec, exec, s[16:17]
	s_and_saveexec_b64 s[16:17], s[12:13]
	s_cbranch_execz .LBB52_84
.LBB52_144:                             ;   in Loop: Header=BB52_86 Depth=1
	v_mov_b32_e32 v5, s20
	s_branch .LBB52_84
.LBB52_145:
	s_endpgm
	.section	.rodata,"a",@progbits
	.p2align	6, 0x0
	.amdhsa_kernel _ZN2at6native12_GLOBAL__N_125multi_tensor_apply_kernelINS1_18TensorListMetadataILi1EEENS1_21BinaryOpScalarFunctorIsLi1ELi1ELi0EEEJNS1_13power_functorIsEEsEEEvT_T0_DpT1_
		.amdhsa_group_segment_fixed_size 0
		.amdhsa_private_segment_fixed_size 0
		.amdhsa_kernarg_size 3632
		.amdhsa_user_sgpr_count 2
		.amdhsa_user_sgpr_dispatch_ptr 0
		.amdhsa_user_sgpr_queue_ptr 0
		.amdhsa_user_sgpr_kernarg_segment_ptr 1
		.amdhsa_user_sgpr_dispatch_id 0
		.amdhsa_user_sgpr_kernarg_preload_length 0
		.amdhsa_user_sgpr_kernarg_preload_offset 0
		.amdhsa_user_sgpr_private_segment_size 0
		.amdhsa_uses_dynamic_stack 0
		.amdhsa_enable_private_segment 0
		.amdhsa_system_sgpr_workgroup_id_x 1
		.amdhsa_system_sgpr_workgroup_id_y 0
		.amdhsa_system_sgpr_workgroup_id_z 0
		.amdhsa_system_sgpr_workgroup_info 0
		.amdhsa_system_vgpr_workitem_id 0
		.amdhsa_next_free_vgpr 17
		.amdhsa_next_free_sgpr 44
		.amdhsa_accum_offset 20
		.amdhsa_reserve_vcc 1
		.amdhsa_float_round_mode_32 0
		.amdhsa_float_round_mode_16_64 0
		.amdhsa_float_denorm_mode_32 3
		.amdhsa_float_denorm_mode_16_64 3
		.amdhsa_dx10_clamp 1
		.amdhsa_ieee_mode 1
		.amdhsa_fp16_overflow 0
		.amdhsa_tg_split 0
		.amdhsa_exception_fp_ieee_invalid_op 0
		.amdhsa_exception_fp_denorm_src 0
		.amdhsa_exception_fp_ieee_div_zero 0
		.amdhsa_exception_fp_ieee_overflow 0
		.amdhsa_exception_fp_ieee_underflow 0
		.amdhsa_exception_fp_ieee_inexact 0
		.amdhsa_exception_int_div_zero 0
	.end_amdhsa_kernel
	.section	.text._ZN2at6native12_GLOBAL__N_125multi_tensor_apply_kernelINS1_18TensorListMetadataILi1EEENS1_21BinaryOpScalarFunctorIsLi1ELi1ELi0EEEJNS1_13power_functorIsEEsEEEvT_T0_DpT1_,"axG",@progbits,_ZN2at6native12_GLOBAL__N_125multi_tensor_apply_kernelINS1_18TensorListMetadataILi1EEENS1_21BinaryOpScalarFunctorIsLi1ELi1ELi0EEEJNS1_13power_functorIsEEsEEEvT_T0_DpT1_,comdat
.Lfunc_end52:
	.size	_ZN2at6native12_GLOBAL__N_125multi_tensor_apply_kernelINS1_18TensorListMetadataILi1EEENS1_21BinaryOpScalarFunctorIsLi1ELi1ELi0EEEJNS1_13power_functorIsEEsEEEvT_T0_DpT1_, .Lfunc_end52-_ZN2at6native12_GLOBAL__N_125multi_tensor_apply_kernelINS1_18TensorListMetadataILi1EEENS1_21BinaryOpScalarFunctorIsLi1ELi1ELi0EEEJNS1_13power_functorIsEEsEEEvT_T0_DpT1_
                                        ; -- End function
	.set _ZN2at6native12_GLOBAL__N_125multi_tensor_apply_kernelINS1_18TensorListMetadataILi1EEENS1_21BinaryOpScalarFunctorIsLi1ELi1ELi0EEEJNS1_13power_functorIsEEsEEEvT_T0_DpT1_.num_vgpr, 17
	.set _ZN2at6native12_GLOBAL__N_125multi_tensor_apply_kernelINS1_18TensorListMetadataILi1EEENS1_21BinaryOpScalarFunctorIsLi1ELi1ELi0EEEJNS1_13power_functorIsEEsEEEvT_T0_DpT1_.num_agpr, 0
	.set _ZN2at6native12_GLOBAL__N_125multi_tensor_apply_kernelINS1_18TensorListMetadataILi1EEENS1_21BinaryOpScalarFunctorIsLi1ELi1ELi0EEEJNS1_13power_functorIsEEsEEEvT_T0_DpT1_.numbered_sgpr, 44
	.set _ZN2at6native12_GLOBAL__N_125multi_tensor_apply_kernelINS1_18TensorListMetadataILi1EEENS1_21BinaryOpScalarFunctorIsLi1ELi1ELi0EEEJNS1_13power_functorIsEEsEEEvT_T0_DpT1_.num_named_barrier, 0
	.set _ZN2at6native12_GLOBAL__N_125multi_tensor_apply_kernelINS1_18TensorListMetadataILi1EEENS1_21BinaryOpScalarFunctorIsLi1ELi1ELi0EEEJNS1_13power_functorIsEEsEEEvT_T0_DpT1_.private_seg_size, 0
	.set _ZN2at6native12_GLOBAL__N_125multi_tensor_apply_kernelINS1_18TensorListMetadataILi1EEENS1_21BinaryOpScalarFunctorIsLi1ELi1ELi0EEEJNS1_13power_functorIsEEsEEEvT_T0_DpT1_.uses_vcc, 1
	.set _ZN2at6native12_GLOBAL__N_125multi_tensor_apply_kernelINS1_18TensorListMetadataILi1EEENS1_21BinaryOpScalarFunctorIsLi1ELi1ELi0EEEJNS1_13power_functorIsEEsEEEvT_T0_DpT1_.uses_flat_scratch, 0
	.set _ZN2at6native12_GLOBAL__N_125multi_tensor_apply_kernelINS1_18TensorListMetadataILi1EEENS1_21BinaryOpScalarFunctorIsLi1ELi1ELi0EEEJNS1_13power_functorIsEEsEEEvT_T0_DpT1_.has_dyn_sized_stack, 0
	.set _ZN2at6native12_GLOBAL__N_125multi_tensor_apply_kernelINS1_18TensorListMetadataILi1EEENS1_21BinaryOpScalarFunctorIsLi1ELi1ELi0EEEJNS1_13power_functorIsEEsEEEvT_T0_DpT1_.has_recursion, 0
	.set _ZN2at6native12_GLOBAL__N_125multi_tensor_apply_kernelINS1_18TensorListMetadataILi1EEENS1_21BinaryOpScalarFunctorIsLi1ELi1ELi0EEEJNS1_13power_functorIsEEsEEEvT_T0_DpT1_.has_indirect_call, 0
	.section	.AMDGPU.csdata,"",@progbits
; Kernel info:
; codeLenInByte = 2948
; TotalNumSgprs: 50
; NumVgprs: 17
; NumAgprs: 0
; TotalNumVgprs: 17
; ScratchSize: 0
; MemoryBound: 0
; FloatMode: 240
; IeeeMode: 1
; LDSByteSize: 0 bytes/workgroup (compile time only)
; SGPRBlocks: 6
; VGPRBlocks: 2
; NumSGPRsForWavesPerEU: 50
; NumVGPRsForWavesPerEU: 17
; AccumOffset: 20
; Occupancy: 8
; WaveLimiterHint : 0
; COMPUTE_PGM_RSRC2:SCRATCH_EN: 0
; COMPUTE_PGM_RSRC2:USER_SGPR: 2
; COMPUTE_PGM_RSRC2:TRAP_HANDLER: 0
; COMPUTE_PGM_RSRC2:TGID_X_EN: 1
; COMPUTE_PGM_RSRC2:TGID_Y_EN: 0
; COMPUTE_PGM_RSRC2:TGID_Z_EN: 0
; COMPUTE_PGM_RSRC2:TIDIG_COMP_CNT: 0
; COMPUTE_PGM_RSRC3_GFX90A:ACCUM_OFFSET: 4
; COMPUTE_PGM_RSRC3_GFX90A:TG_SPLIT: 0
	.section	.text._ZN2at6native12_GLOBAL__N_125multi_tensor_apply_kernelINS1_18TensorListMetadataILi1EEENS1_21BinaryOpScalarFunctorIdLi1ELi1ELi0EEEJNS1_13power_functorIdEEdEEEvT_T0_DpT1_,"axG",@progbits,_ZN2at6native12_GLOBAL__N_125multi_tensor_apply_kernelINS1_18TensorListMetadataILi1EEENS1_21BinaryOpScalarFunctorIdLi1ELi1ELi0EEEJNS1_13power_functorIdEEdEEEvT_T0_DpT1_,comdat
	.globl	_ZN2at6native12_GLOBAL__N_125multi_tensor_apply_kernelINS1_18TensorListMetadataILi1EEENS1_21BinaryOpScalarFunctorIdLi1ELi1ELi0EEEJNS1_13power_functorIdEEdEEEvT_T0_DpT1_ ; -- Begin function _ZN2at6native12_GLOBAL__N_125multi_tensor_apply_kernelINS1_18TensorListMetadataILi1EEENS1_21BinaryOpScalarFunctorIdLi1ELi1ELi0EEEJNS1_13power_functorIdEEdEEEvT_T0_DpT1_
	.p2align	8
	.type	_ZN2at6native12_GLOBAL__N_125multi_tensor_apply_kernelINS1_18TensorListMetadataILi1EEENS1_21BinaryOpScalarFunctorIdLi1ELi1ELi0EEEJNS1_13power_functorIdEEdEEEvT_T0_DpT1_,@function
_ZN2at6native12_GLOBAL__N_125multi_tensor_apply_kernelINS1_18TensorListMetadataILi1EEENS1_21BinaryOpScalarFunctorIdLi1ELi1ELi0EEEJNS1_13power_functorIdEEdEEEvT_T0_DpT1_: ; @_ZN2at6native12_GLOBAL__N_125multi_tensor_apply_kernelINS1_18TensorListMetadataILi1EEENS1_21BinaryOpScalarFunctorIdLi1ELi1ELi0EEEJNS1_13power_functorIdEEdEEEvT_T0_DpT1_
; %bb.0:
	v_mov_b32_e32 v1, s2
	global_load_ubyte v1, v1, s[0:1] offset:1760
	s_add_u32 s3, s0, s2
	s_mul_hi_u32 s4, s2, 3
	s_mul_i32 s2, s2, 3
	s_addc_u32 s5, s1, 0
	s_add_u32 s2, s3, s2
	s_addc_u32 s3, s5, s4
	s_load_dword s2, s[2:3], 0x820
	s_mov_b32 s7, 0
	s_waitcnt vmcnt(0)
	v_readfirstlane_b32 s3, v1
	s_lshl_b32 s3, s3, 3
	s_load_dwordx2 s[16:17], s[0:1], 0xd30
	s_load_dwordx2 s[4:5], s[0:1], s3 offset:0x370
	s_load_dwordx2 s[18:19], s[0:1], s3 offset:0x0
	s_waitcnt lgkmcnt(0)
	s_ashr_i32 s3, s2, 31
	s_lshl_b64 s[20:21], s[2:3], 19
	s_lshl_b64 s[2:3], s[2:3], 16
	s_and_b32 s6, s18, 31
	s_sub_u32 s22, s4, s2
	s_subb_u32 s23, s5, s3
	s_and_b32 s2, s4, 3
	s_mov_b32 s3, s7
	s_or_b64 s[2:3], s[6:7], s[2:3]
	s_cmp_eq_u64 s[2:3], 0
	s_cbranch_scc1 .LBB53_21
; %bb.1:
	v_cmp_lt_i64_e64 s[2:3], s[22:23], 1
	s_and_b64 vcc, exec, s[2:3]
	s_cbranch_vccnz .LBB53_20
; %bb.2:
	s_load_dword s2, s[0:1], 0xd44
	v_mov_b64_e32 v[2:3], 0x10000
	v_cmp_lt_i64_e32 vcc, s[22:23], v[2:3]
	s_and_b64 s[4:5], vcc, exec
	s_cselect_b32 s25, s23, 0
	s_cselect_b32 s24, s22, 0x10000
	s_waitcnt lgkmcnt(0)
	s_and_b32 s2, s2, 0xffff
	v_cmp_lt_u64_e32 vcc, s[22:23], v[2:3]
	s_and_b64 s[4:5], vcc, exec
	s_mov_b32 s3, 0
	v_mov_b32_e32 v1, 0
	s_cselect_b32 s27, s23, 0
	s_cselect_b32 s26, s22, 0x10000
	s_lshl_b32 s4, s2, 1
	s_lshl_b32 s33, s2, 2
	s_add_u32 s8, s18, s20
	v_lshl_add_u64 v[8:9], v[0:1], 0, s[2:3]
	s_mov_b32 s5, s3
	s_mul_i32 s6, s2, 3
	s_mov_b32 s7, s3
	v_lshlrev_b32_e32 v2, 3, v0
	v_mov_b32_e32 v3, v1
	s_addc_u32 s9, s19, s21
	v_lshlrev_b32_e32 v10, 3, v8
	v_mov_b32_e32 v11, v1
	s_mov_b32 s38, 0x55555555
	s_mov_b32 s40, 0xfefa39ef
	s_mov_b32 s42, 0x3b39803f
	s_mov_b32 s44, 0x4222de17
	s_mov_b32 s46, 0xd5df274d
	s_mov_b32 s50, 0x652b82fe
	s_mov_b32 s56, 0x6a5dcb37
	s_mov_b32 s58, 0
	s_mov_b32 s60, 0
	s_mov_b32 s62, 0
	v_lshl_add_u64 v[2:3], s[8:9], 0, v[2:3]
	s_lshl_b32 s28, s2, 5
	s_mov_b32 s29, s3
	s_mul_i32 s30, s2, 24
	s_mov_b32 s31, s3
	v_lshl_add_u64 v[4:5], s[6:7], 0, v[0:1]
	s_lshl_b32 s34, s2, 4
	s_mov_b32 s35, s3
	v_lshl_add_u64 v[6:7], s[4:5], 0, v[0:1]
	v_lshl_add_u64 v[10:11], s[8:9], 0, v[10:11]
	s_mov_b64 s[36:37], 0
	s_movk_i32 s70, 0x204
	s_brev_b32 s71, -2
	s_mov_b32 s39, 0x3fe55555
	s_mov_b32 s41, 0x3fe62e42
	s_mov_b32 s43, 0x3c7abc9e
	s_mov_b32 s45, 0x3fbdee67
	s_mov_b32 s47, 0x3c8543b0
	s_mov_b32 s49, 0xbfe55555
	s_mov_b32 s51, 0x3ff71547
	s_mov_b32 s53, 0xbfe62e42
	s_mov_b32 s55, 0xbc7abc9e
	s_mov_b32 s57, 0x3e5ade15
	s_mov_b32 s59, 0x40900000
	s_mov_b32 s61, 0xc090cc00
	s_mov_b32 s63, 0x7ff00000
	v_mov_b32_e32 v60, 0x3ff00000
	v_mov_b32_e32 v61, 0x7ff00000
	;; [unrolled: 1-line block ×37, first 2 shown]
	s_branch .LBB53_4
.LBB53_3:                               ;   in Loop: Header=BB53_4 Depth=1
	s_or_b64 exec, exec, s[8:9]
	s_add_u32 s36, s36, s33
	s_addc_u32 s37, s37, 0
	v_mov_b64_e32 v[46:47], s[24:25]
	v_cmp_lt_i64_e32 vcc, s[36:37], v[46:47]
	v_lshl_add_u64 v[2:3], v[2:3], 0, s[28:29]
	v_lshl_add_u64 v[10:11], v[10:11], 0, s[28:29]
	s_cbranch_vccz .LBB53_20
.LBB53_4:                               ; =>This Inner Loop Header: Depth=1
	v_lshl_add_u64 v[46:47], v[0:1], 0, s[36:37]
	v_cmp_gt_u64_e64 s[6:7], s[26:27], v[46:47]
	s_waitcnt vmcnt(0)
	v_mov_b64_e32 v[54:55], 0
	v_mov_b64_e32 v[58:59], 0
	s_and_saveexec_b64 s[2:3], s[6:7]
	s_cbranch_execz .LBB53_6
; %bb.5:                                ;   in Loop: Header=BB53_4 Depth=1
	global_load_dwordx2 v[58:59], v[2:3], off
.LBB53_6:                               ;   in Loop: Header=BB53_4 Depth=1
	s_or_b64 exec, exec, s[2:3]
	v_lshl_add_u64 v[46:47], v[8:9], 0, s[36:37]
	v_cmp_gt_u64_e64 s[4:5], s[26:27], v[46:47]
	s_and_saveexec_b64 s[2:3], s[4:5]
	s_cbranch_execz .LBB53_8
; %bb.7:                                ;   in Loop: Header=BB53_4 Depth=1
	global_load_dwordx2 v[54:55], v[10:11], off
.LBB53_8:                               ;   in Loop: Header=BB53_4 Depth=1
	s_or_b64 exec, exec, s[2:3]
	v_lshl_add_u64 v[46:47], v[6:7], 0, s[36:37]
	v_cmp_gt_u64_e64 s[2:3], s[26:27], v[46:47]
	v_mov_b64_e32 v[48:49], 0
	v_lshl_add_u64 v[50:51], v[2:3], 0, s[34:35]
	v_mov_b64_e32 v[52:53], 0
	s_and_saveexec_b64 s[8:9], s[2:3]
	s_cbranch_execz .LBB53_10
; %bb.9:                                ;   in Loop: Header=BB53_4 Depth=1
	global_load_dwordx2 v[52:53], v[50:51], off
.LBB53_10:                              ;   in Loop: Header=BB53_4 Depth=1
	s_or_b64 exec, exec, s[8:9]
	v_lshl_add_u64 v[46:47], v[4:5], 0, s[36:37]
	v_cmp_gt_u64_e32 vcc, s[26:27], v[46:47]
	v_lshl_add_u64 v[46:47], v[2:3], 0, s[30:31]
	s_and_saveexec_b64 s[8:9], vcc
	s_cbranch_execnz .LBB53_15
; %bb.11:                               ;   in Loop: Header=BB53_4 Depth=1
	s_or_b64 exec, exec, s[8:9]
	s_and_saveexec_b64 s[64:65], s[6:7]
	s_cbranch_execnz .LBB53_16
.LBB53_12:                              ;   in Loop: Header=BB53_4 Depth=1
	s_or_b64 exec, exec, s[64:65]
	s_and_saveexec_b64 s[12:13], s[4:5]
	s_cbranch_execnz .LBB53_17
.LBB53_13:                              ;   in Loop: Header=BB53_4 Depth=1
	s_or_b64 exec, exec, s[12:13]
	s_and_saveexec_b64 s[10:11], s[2:3]
	s_cbranch_execnz .LBB53_18
.LBB53_14:                              ;   in Loop: Header=BB53_4 Depth=1
	s_or_b64 exec, exec, s[10:11]
	s_and_saveexec_b64 s[8:9], vcc
	s_cbranch_execz .LBB53_3
	s_branch .LBB53_19
.LBB53_15:                              ;   in Loop: Header=BB53_4 Depth=1
	global_load_dwordx2 v[48:49], v[46:47], off
	s_or_b64 exec, exec, s[8:9]
	s_and_saveexec_b64 s[64:65], s[6:7]
	s_cbranch_execz .LBB53_12
.LBB53_16:                              ;   in Loop: Header=BB53_4 Depth=1
	v_mov_b32_e32 v56, s17
	s_waitcnt vmcnt(0)
	v_cmp_neq_f64_e64 s[6:7], 1.0, v[58:59]
	s_mov_b32 s48, s38
	s_mov_b32 s52, s40
	v_cndmask_b32_e64 v57, v60, v56, s[6:7]
	v_mov_b32_e32 v56, s16
	v_cndmask_b32_e64 v56, 0, v56, s[6:7]
	v_cmp_neq_f64_e64 s[6:7], 0, v[56:57]
	v_trunc_f64_e32 v[64:65], v[56:57]
	s_mov_b32 s54, s42
	v_cndmask_b32_e64 v59, v60, v59, s[6:7]
	v_cndmask_b32_e64 v58, 0, v58, s[6:7]
	v_cmp_eq_f64_e64 s[6:7], v[64:65], v[56:57]
	v_mul_f64 v[64:65], v[56:57], 0.5
	v_trunc_f64_e32 v[66:67], v[64:65]
	v_cmp_neq_f64_e64 s[8:9], v[66:67], v[64:65]
	v_frexp_mant_f64_e64 v[64:65], |v[58:59]|
	v_frexp_exp_i32_f64_e32 v63, v[58:59]
	v_cmp_gt_f64_e64 s[10:11], s[38:39], v[64:65]
	s_and_b64 s[8:9], s[6:7], s[8:9]
	v_cmp_neq_f64_e64 s[14:15], v[56:57], |v[56:57]|
	v_subbrev_co_u32_e64 v63, s[12:13], 0, v63, s[10:11]
	v_cvt_f64_i32_e32 v[66:67], v63
	v_cndmask_b32_e64 v63, 0, 1, s[10:11]
	v_ldexp_f64 v[64:65], v[64:65], v63
	v_add_f64 v[70:71], v[64:65], 1.0
	v_rcp_f64_e32 v[72:73], v[70:71]
	v_mul_f64 v[68:69], v[66:67], s[40:41]
	v_fma_f64 v[74:75], v[66:67], s[40:41], -v[68:69]
	v_fmac_f64_e32 v[74:75], s[42:43], v[66:67]
	v_fma_f64 v[76:77], -v[70:71], v[72:73], 1.0
	v_fmac_f64_e32 v[72:73], v[76:77], v[72:73]
	v_fma_f64 v[76:77], -v[70:71], v[72:73], 1.0
	v_add_f64 v[66:67], v[64:65], -1.0
	v_fmac_f64_e32 v[72:73], v[76:77], v[72:73]
	v_mul_f64 v[76:77], v[66:67], v[72:73]
	v_add_f64 v[78:79], v[70:71], -1.0
	v_add_f64 v[64:65], v[64:65], -v[78:79]
	v_mul_f64 v[78:79], v[70:71], v[76:77]
	v_fma_f64 v[70:71], v[76:77], v[70:71], -v[78:79]
	v_fmac_f64_e32 v[70:71], v[76:77], v[64:65]
	v_add_f64 v[64:65], v[78:79], v[70:71]
	v_add_f64 v[78:79], v[64:65], -v[78:79]
	v_add_f64 v[70:71], v[78:79], -v[70:71]
	;; [unrolled: 1-line block ×5, first 2 shown]
	v_add_f64 v[64:65], v[70:71], v[64:65]
	v_add_f64 v[64:65], v[78:79], v[64:65]
	v_mul_f64 v[64:65], v[72:73], v[64:65]
	v_add_f64 v[66:67], v[76:77], v[64:65]
	v_add_f64 v[72:73], v[66:67], -v[76:77]
	v_mul_f64 v[70:71], v[66:67], v[66:67]
	v_add_f64 v[64:65], v[64:65], -v[72:73]
	v_add_f64 v[72:73], v[64:65], v[64:65]
	v_fma_f64 v[76:77], v[66:67], v[66:67], -v[70:71]
	v_fmac_f64_e32 v[76:77], v[66:67], v[72:73]
	v_add_f64 v[72:73], v[70:71], v[76:77]
	v_add_f64 v[70:71], v[72:73], -v[70:71]
	v_add_f64 v[70:71], v[76:77], -v[70:71]
	v_mov_b64_e32 v[76:77], v[12:13]
	v_fmac_f64_e32 v[76:77], s[44:45], v[72:73]
	v_mov_b64_e32 v[78:79], v[14:15]
	v_fmac_f64_e32 v[78:79], v[72:73], v[76:77]
	;; [unrolled: 2-line block ×8, first 2 shown]
	v_mul_f64 v[76:77], v[66:67], v[72:73]
	v_fma_f64 v[80:81], v[72:73], v[66:67], -v[76:77]
	v_mul_f64 v[82:83], v[72:73], v[78:79]
	v_fmac_f64_e32 v[80:81], v[72:73], v[64:65]
	v_fma_f64 v[72:73], v[72:73], v[78:79], -v[82:83]
	v_fmac_f64_e32 v[72:73], v[70:71], v[78:79]
	v_fmac_f64_e32 v[80:81], v[70:71], v[66:67]
	v_add_f64 v[70:71], v[82:83], v[72:73]
	v_add_f64 v[78:79], v[70:71], -v[82:83]
	v_add_f64 v[72:73], v[72:73], -v[78:79]
	v_add_f64 v[78:79], v[70:71], s[38:39]
	v_add_f64 v[82:83], v[78:79], s[48:49]
	v_add_f64 v[70:71], v[70:71], -v[82:83]
	v_add_f64 v[72:73], v[72:73], s[46:47]
	v_add_f64 v[70:71], v[72:73], v[70:71]
	;; [unrolled: 1-line block ×3, first 2 shown]
	v_add_f64 v[78:79], v[78:79], -v[72:73]
	v_add_f64 v[70:71], v[70:71], v[78:79]
	v_add_f64 v[78:79], v[76:77], v[80:81]
	v_mul_f64 v[82:83], v[78:79], v[72:73]
	v_fma_f64 v[84:85], v[78:79], v[72:73], -v[82:83]
	v_fmac_f64_e32 v[84:85], v[78:79], v[70:71]
	v_add_f64 v[70:71], v[78:79], -v[76:77]
	v_add_f64 v[70:71], v[80:81], -v[70:71]
	v_cmp_eq_f64_e64 s[10:11], 0, v[58:59]
	v_cmp_gt_f64_e64 s[12:13], 0, v[56:57]
	s_xor_b64 s[12:13], s[12:13], s[10:11]
	v_fmac_f64_e32 v[84:85], v[70:71], v[72:73]
	v_cndmask_b32_e64 v63, v61, 0, s[12:13]
	v_cndmask_b32_e64 v76, 0, v59, s[8:9]
	v_ldexp_f64 v[66:67], v[66:67], 1
	v_add_f64 v[72:73], v[82:83], v[84:85]
	v_bfi_b32 v63, s71, v63, v76
	v_add_f64 v[76:77], v[72:73], -v[82:83]
	v_add_f64 v[78:79], v[66:67], v[72:73]
	v_add_f64 v[76:77], v[84:85], -v[76:77]
	v_ldexp_f64 v[64:65], v[64:65], 1
	v_add_f64 v[66:67], v[78:79], -v[66:67]
	v_add_f64 v[64:65], v[64:65], v[76:77]
	v_add_f64 v[66:67], v[72:73], -v[66:67]
	v_add_f64 v[64:65], v[64:65], v[66:67]
	v_add_f64 v[70:71], v[68:69], v[74:75]
	;; [unrolled: 1-line block ×4, first 2 shown]
	v_add_f64 v[68:69], v[70:71], -v[68:69]
	v_add_f64 v[68:69], v[74:75], -v[68:69]
	;; [unrolled: 1-line block ×7, first 2 shown]
	v_add_f64 v[74:75], v[68:69], v[64:65]
	v_add_f64 v[70:71], v[70:71], -v[76:77]
	v_add_f64 v[66:67], v[66:67], v[70:71]
	v_add_f64 v[76:77], v[74:75], -v[68:69]
	;; [unrolled: 2-line block ×4, first 2 shown]
	v_add_f64 v[68:69], v[68:69], -v[74:75]
	v_add_f64 v[64:65], v[64:65], v[68:69]
	v_add_f64 v[68:69], v[70:71], -v[72:73]
	v_add_f64 v[66:67], v[66:67], -v[68:69]
	v_add_f64 v[64:65], v[64:65], v[66:67]
	v_add_f64 v[66:67], v[70:71], v[64:65]
	v_mul_f64 v[68:69], v[56:57], v[66:67]
	v_add_f64 v[70:71], v[66:67], -v[70:71]
	v_add_f64 v[64:65], v[64:65], -v[70:71]
	v_fma_f64 v[66:67], v[56:57], v[66:67], -v[68:69]
	v_fmac_f64_e32 v[66:67], v[56:57], v[64:65]
	v_add_f64 v[64:65], v[68:69], v[66:67]
	v_cmp_class_f64_e64 s[12:13], v[68:69], s70
	v_mov_b64_e32 v[76:77], v[28:29]
	v_mov_b64_e32 v[78:79], v[30:31]
	v_cndmask_b32_e64 v71, v65, v69, s[12:13]
	v_cndmask_b32_e64 v70, v64, v68, s[12:13]
	v_mul_f64 v[72:73], v[70:71], s[50:51]
	v_rndne_f64_e32 v[72:73], v[72:73]
	v_fma_f64 v[74:75], s[52:53], v[72:73], v[70:71]
	v_fmac_f64_e32 v[74:75], s[54:55], v[72:73]
	v_fmac_f64_e32 v[76:77], s[56:57], v[74:75]
	;; [unrolled: 1-line block ×3, first 2 shown]
	v_mov_b64_e32 v[76:77], v[32:33]
	v_fmac_f64_e32 v[76:77], v[74:75], v[78:79]
	v_mov_b64_e32 v[78:79], v[34:35]
	v_fmac_f64_e32 v[78:79], v[74:75], v[76:77]
	;; [unrolled: 2-line block ×6, first 2 shown]
	v_mov_b64_e32 v[76:77], v[44:45]
	v_cmp_lt_f64_e64 s[68:69], |v[58:59]|, 1.0
	v_fmac_f64_e32 v[76:77], v[74:75], v[78:79]
	s_xor_b64 s[12:13], s[14:15], s[68:69]
	v_fma_f64 v[76:77], v[74:75], v[76:77], 1.0
	v_cndmask_b32_e64 v78, v61, 0, s[12:13]
	v_cmp_neq_f64_e64 s[12:13], |v[58:59]|, 1.0
	v_fma_f64 v[74:75], v[74:75], v[76:77], 1.0
	v_cvt_i32_f64_e32 v72, v[72:73]
	v_cndmask_b32_e64 v78, v60, v78, s[12:13]
	v_ldexp_f64 v[72:73], v[74:75], v72
	v_cmp_nlt_f64_e64 s[12:13], s[58:59], v[70:71]
	v_cmp_ngt_f64_e64 s[14:15], s[60:61], v[70:71]
	v_add_f64 v[64:65], v[64:65], -v[68:69]
	v_cndmask_b32_e64 v73, v61, v73, s[12:13]
	s_and_b64 s[12:13], s[14:15], s[12:13]
	v_cndmask_b32_e64 v73, 0, v73, s[14:15]
	v_cndmask_b32_e64 v72, 0, v72, s[12:13]
	v_add_f64 v[64:65], v[66:67], -v[64:65]
	v_cmp_neq_f64_e64 s[12:13], |v[70:71]|, s[62:63]
	v_mov_b64_e32 v[66:67], v[72:73]
	v_cmp_class_f64_e64 s[66:67], v[58:59], s70
	v_cndmask_b32_e64 v65, 0, v65, s[12:13]
	v_cndmask_b32_e64 v64, 0, v64, s[12:13]
	v_fmac_f64_e32 v[66:67], v[66:67], v[64:65]
	v_cmp_class_f64_e64 s[12:13], v[72:73], s70
	s_nop 1
	v_cndmask_b32_e64 v64, v66, v72, s[12:13]
	v_cndmask_b32_e64 v65, v67, v73, s[12:13]
	;; [unrolled: 1-line block ×3, first 2 shown]
	v_bfi_b32 v65, s71, v65, v66
	v_cndmask_b32_e64 v66, v62, v65, s[6:7]
	v_cndmask_b32_e64 v67, 0, v64, s[6:7]
	v_cmp_gt_f64_e64 s[6:7], 0, v[58:59]
	s_or_b64 s[8:9], s[10:11], s[66:67]
	s_nop 0
	v_cndmask_b32_e64 v64, v64, v67, s[6:7]
	v_cndmask_b32_e64 v65, v65, v66, s[6:7]
	v_cmp_class_f64_e64 s[6:7], v[56:57], s70
	s_nop 1
	v_cndmask_b32_e64 v65, v65, v78, s[6:7]
	s_or_b64 s[6:7], s[8:9], s[6:7]
	v_cndmask_b32_e64 v63, v65, v63, s[8:9]
	v_cndmask_b32_e64 v64, v64, 0, s[6:7]
	v_cmp_o_f64_e64 s[6:7], v[58:59], v[56:57]
	s_nop 1
	v_cndmask_b32_e64 v56, 0, v64, s[6:7]
	v_cndmask_b32_e64 v57, v62, v63, s[6:7]
	global_store_dwordx2 v[2:3], v[56:57], off
	s_or_b64 exec, exec, s[64:65]
	s_and_saveexec_b64 s[12:13], s[4:5]
	s_cbranch_execz .LBB53_13
.LBB53_17:                              ;   in Loop: Header=BB53_4 Depth=1
	v_mov_b32_e32 v56, s17
	s_waitcnt vmcnt(0)
	v_cmp_neq_f64_e64 s[4:5], 1.0, v[54:55]
	s_mov_b32 s48, s38
	s_mov_b32 s52, s40
	v_cndmask_b32_e64 v57, v60, v56, s[4:5]
	v_mov_b32_e32 v56, s16
	v_cndmask_b32_e64 v56, 0, v56, s[4:5]
	v_cmp_neq_f64_e64 s[4:5], 0, v[56:57]
	s_mov_b32 s54, s42
	v_cmp_gt_f64_e64 s[10:11], 0, v[56:57]
	v_cndmask_b32_e64 v55, v60, v55, s[4:5]
	v_cndmask_b32_e64 v54, 0, v54, s[4:5]
	v_frexp_mant_f64_e64 v[58:59], |v[54:55]|
	v_cmp_gt_f64_e64 s[4:5], s[38:39], v[58:59]
	v_frexp_exp_i32_f64_e32 v63, v[54:55]
	v_cmp_lt_f64_e64 s[8:9], |v[54:55]|, 1.0
	v_cndmask_b32_e64 v64, 0, 1, s[4:5]
	v_ldexp_f64 v[58:59], v[58:59], v64
	v_add_f64 v[64:65], v[58:59], 1.0
	v_rcp_f64_e32 v[66:67], v[64:65]
	v_add_f64 v[70:71], v[64:65], -1.0
	v_add_f64 v[68:69], v[58:59], -1.0
	v_add_f64 v[58:59], v[58:59], -v[70:71]
	v_fma_f64 v[70:71], -v[64:65], v[66:67], 1.0
	v_fmac_f64_e32 v[66:67], v[70:71], v[66:67]
	v_fma_f64 v[70:71], -v[64:65], v[66:67], 1.0
	v_fmac_f64_e32 v[66:67], v[70:71], v[66:67]
	v_mul_f64 v[70:71], v[68:69], v[66:67]
	v_mul_f64 v[72:73], v[64:65], v[70:71]
	v_fma_f64 v[64:65], v[70:71], v[64:65], -v[72:73]
	v_fmac_f64_e32 v[64:65], v[70:71], v[58:59]
	v_add_f64 v[58:59], v[72:73], v[64:65]
	v_add_f64 v[74:75], v[68:69], -v[58:59]
	v_add_f64 v[72:73], v[58:59], -v[72:73]
	;; [unrolled: 1-line block ×5, first 2 shown]
	v_add_f64 v[58:59], v[64:65], v[58:59]
	v_add_f64 v[58:59], v[74:75], v[58:59]
	v_mul_f64 v[58:59], v[66:67], v[58:59]
	v_add_f64 v[64:65], v[70:71], v[58:59]
	v_add_f64 v[66:67], v[64:65], -v[70:71]
	v_add_f64 v[58:59], v[58:59], -v[66:67]
	v_mul_f64 v[66:67], v[64:65], v[64:65]
	v_fma_f64 v[68:69], v[64:65], v[64:65], -v[66:67]
	v_add_f64 v[70:71], v[58:59], v[58:59]
	v_fmac_f64_e32 v[68:69], v[64:65], v[70:71]
	v_add_f64 v[70:71], v[66:67], v[68:69]
	v_add_f64 v[66:67], v[70:71], -v[66:67]
	v_add_f64 v[66:67], v[68:69], -v[66:67]
	v_mov_b64_e32 v[68:69], v[12:13]
	v_fmac_f64_e32 v[68:69], s[44:45], v[70:71]
	v_mov_b64_e32 v[72:73], v[14:15]
	v_fmac_f64_e32 v[72:73], v[70:71], v[68:69]
	;; [unrolled: 2-line block ×6, first 2 shown]
	v_mov_b64_e32 v[68:69], v[24:25]
	v_subbrev_co_u32_e64 v63, s[4:5], 0, v63, s[4:5]
	v_fmac_f64_e32 v[68:69], v[70:71], v[72:73]
	v_mov_b64_e32 v[72:73], v[26:27]
	v_fmac_f64_e32 v[72:73], v[70:71], v[68:69]
	v_cvt_f64_i32_e32 v[68:69], v63
	v_mul_f64 v[74:75], v[68:69], s[40:41]
	v_mul_f64 v[80:81], v[64:65], v[70:71]
	v_fma_f64 v[76:77], v[68:69], s[40:41], -v[74:75]
	v_fma_f64 v[82:83], v[70:71], v[64:65], -v[80:81]
	v_fmac_f64_e32 v[76:77], s[42:43], v[68:69]
	v_fmac_f64_e32 v[82:83], v[70:71], v[58:59]
	v_add_f64 v[68:69], v[74:75], v[76:77]
	v_fmac_f64_e32 v[82:83], v[66:67], v[64:65]
	v_add_f64 v[74:75], v[68:69], -v[74:75]
	v_ldexp_f64 v[78:79], v[58:59], 1
	v_add_f64 v[58:59], v[80:81], v[82:83]
	v_add_f64 v[74:75], v[76:77], -v[74:75]
	v_ldexp_f64 v[76:77], v[64:65], 1
	v_add_f64 v[64:65], v[58:59], -v[80:81]
	v_mul_f64 v[80:81], v[70:71], v[72:73]
	v_fma_f64 v[70:71], v[70:71], v[72:73], -v[80:81]
	v_fmac_f64_e32 v[70:71], v[66:67], v[72:73]
	v_add_f64 v[66:67], v[80:81], v[70:71]
	v_add_f64 v[72:73], v[66:67], -v[80:81]
	v_add_f64 v[70:71], v[70:71], -v[72:73]
	v_add_f64 v[72:73], v[66:67], s[38:39]
	v_add_f64 v[80:81], v[72:73], s[48:49]
	v_add_f64 v[66:67], v[66:67], -v[80:81]
	v_add_f64 v[70:71], v[70:71], s[46:47]
	v_add_f64 v[66:67], v[70:71], v[66:67]
	v_add_f64 v[70:71], v[72:73], v[66:67]
	v_add_f64 v[72:73], v[72:73], -v[70:71]
	v_add_f64 v[66:67], v[66:67], v[72:73]
	v_mul_f64 v[72:73], v[58:59], v[70:71]
	v_fma_f64 v[80:81], v[58:59], v[70:71], -v[72:73]
	v_add_f64 v[64:65], v[82:83], -v[64:65]
	v_fmac_f64_e32 v[80:81], v[58:59], v[66:67]
	v_fmac_f64_e32 v[80:81], v[64:65], v[70:71]
	v_add_f64 v[58:59], v[72:73], v[80:81]
	v_add_f64 v[64:65], v[58:59], -v[72:73]
	v_add_f64 v[66:67], v[76:77], v[58:59]
	v_add_f64 v[64:65], v[80:81], -v[64:65]
	v_add_f64 v[70:71], v[66:67], -v[76:77]
	;; [unrolled: 1-line block ×3, first 2 shown]
	v_add_f64 v[64:65], v[78:79], v[64:65]
	v_add_f64 v[58:59], v[64:65], v[58:59]
	;; [unrolled: 1-line block ×3, first 2 shown]
	v_add_f64 v[66:67], v[64:65], -v[66:67]
	v_add_f64 v[58:59], v[58:59], -v[66:67]
	v_add_f64 v[66:67], v[68:69], v[64:65]
	v_add_f64 v[70:71], v[66:67], -v[68:69]
	v_add_f64 v[72:73], v[66:67], -v[70:71]
	;; [unrolled: 1-line block ×4, first 2 shown]
	v_add_f64 v[64:65], v[64:65], v[68:69]
	v_add_f64 v[68:69], v[74:75], v[58:59]
	v_add_f64 v[70:71], v[68:69], -v[74:75]
	v_add_f64 v[64:65], v[68:69], v[64:65]
	v_add_f64 v[72:73], v[68:69], -v[70:71]
	;; [unrolled: 2-line block ×3, first 2 shown]
	v_add_f64 v[58:59], v[58:59], -v[70:71]
	v_add_f64 v[66:67], v[68:69], -v[66:67]
	v_add_f64 v[58:59], v[58:59], v[72:73]
	v_add_f64 v[64:65], v[64:65], -v[66:67]
	v_add_f64 v[58:59], v[58:59], v[64:65]
	v_add_f64 v[64:65], v[68:69], v[58:59]
	v_add_f64 v[66:67], v[64:65], -v[68:69]
	v_add_f64 v[58:59], v[58:59], -v[66:67]
	v_mul_f64 v[66:67], v[56:57], v[64:65]
	v_fma_f64 v[64:65], v[56:57], v[64:65], -v[66:67]
	v_fmac_f64_e32 v[64:65], v[56:57], v[58:59]
	v_add_f64 v[58:59], v[66:67], v[64:65]
	v_cmp_class_f64_e64 s[4:5], v[66:67], s70
	v_add_f64 v[68:69], v[58:59], -v[66:67]
	v_add_f64 v[64:65], v[64:65], -v[68:69]
	v_cndmask_b32_e64 v59, v59, v67, s[4:5]
	v_cndmask_b32_e64 v58, v58, v66, s[4:5]
	v_mul_f64 v[66:67], v[58:59], s[50:51]
	v_rndne_f64_e32 v[66:67], v[66:67]
	v_fma_f64 v[68:69], s[52:53], v[66:67], v[58:59]
	v_fmac_f64_e32 v[68:69], s[54:55], v[66:67]
	v_mov_b64_e32 v[70:71], v[28:29]
	v_fmac_f64_e32 v[70:71], s[56:57], v[68:69]
	v_mov_b64_e32 v[72:73], v[30:31]
	;; [unrolled: 2-line block ×9, first 2 shown]
	v_fmac_f64_e32 v[70:71], v[68:69], v[72:73]
	v_fma_f64 v[70:71], v[68:69], v[70:71], 1.0
	v_cmp_neq_f64_e64 s[4:5], |v[58:59]|, s[62:63]
	v_fma_f64 v[68:69], v[68:69], v[70:71], 1.0
	v_cvt_i32_f64_e32 v63, v[66:67]
	v_cndmask_b32_e64 v65, 0, v65, s[4:5]
	v_cndmask_b32_e64 v64, 0, v64, s[4:5]
	v_ldexp_f64 v[66:67], v[68:69], v63
	v_cmp_nlt_f64_e64 s[4:5], s[58:59], v[58:59]
	v_cmp_ngt_f64_e64 s[6:7], s[60:61], v[58:59]
	v_cmp_class_f64_e64 s[14:15], v[54:55], s70
	v_cndmask_b32_e64 v63, v61, v67, s[4:5]
	s_and_b64 s[4:5], s[6:7], s[4:5]
	v_cndmask_b32_e64 v59, 0, v63, s[6:7]
	v_cndmask_b32_e64 v58, 0, v66, s[4:5]
	v_mov_b64_e32 v[66:67], v[58:59]
	v_fmac_f64_e32 v[66:67], v[66:67], v[64:65]
	v_cmp_class_f64_e64 s[4:5], v[58:59], s70
	s_nop 1
	v_cndmask_b32_e64 v63, v66, v58, s[4:5]
	v_cndmask_b32_e64 v66, v67, v59, s[4:5]
	v_trunc_f64_e32 v[58:59], v[56:57]
	v_cmp_eq_f64_e64 s[4:5], v[58:59], v[56:57]
	v_mul_f64 v[58:59], v[56:57], 0.5
	v_trunc_f64_e32 v[64:65], v[58:59]
	v_cmp_neq_f64_e64 s[6:7], v[64:65], v[58:59]
	s_and_b64 s[6:7], s[4:5], s[6:7]
	v_cndmask_b32_e64 v64, 0, v63, s[4:5]
	v_cndmask_b32_e64 v58, v60, v55, s[6:7]
	v_bfi_b32 v58, s71, v66, v58
	v_cndmask_b32_e64 v59, v62, v58, s[4:5]
	v_cmp_gt_f64_e64 s[4:5], 0, v[54:55]
	s_nop 1
	v_cndmask_b32_e64 v63, v63, v64, s[4:5]
	v_cndmask_b32_e64 v58, v58, v59, s[4:5]
	v_cmp_neq_f64_e64 s[4:5], v[56:57], |v[56:57]|
	s_xor_b64 s[4:5], s[4:5], s[8:9]
	v_cmp_eq_f64_e64 s[8:9], 0, v[54:55]
	v_cndmask_b32_e64 v59, v61, 0, s[4:5]
	v_cmp_neq_f64_e64 s[4:5], |v[54:55]|, 1.0
	s_xor_b64 s[10:11], s[10:11], s[8:9]
	v_cndmask_b32_e64 v64, 0, v55, s[6:7]
	v_cndmask_b32_e64 v59, v60, v59, s[4:5]
	v_cmp_class_f64_e64 s[4:5], v[56:57], s70
	s_or_b64 s[6:7], s[8:9], s[14:15]
	s_nop 0
	v_cndmask_b32_e64 v58, v58, v59, s[4:5]
	v_cndmask_b32_e64 v59, v61, 0, s[10:11]
	v_bfi_b32 v59, s71, v59, v64
	s_or_b64 s[4:5], s[6:7], s[4:5]
	v_cndmask_b32_e64 v58, v58, v59, s[6:7]
	v_cndmask_b32_e64 v59, v63, 0, s[4:5]
	v_cmp_o_f64_e64 s[4:5], v[54:55], v[56:57]
	s_nop 1
	v_cndmask_b32_e64 v54, 0, v59, s[4:5]
	v_cndmask_b32_e64 v55, v62, v58, s[4:5]
	global_store_dwordx2 v[10:11], v[54:55], off
	s_or_b64 exec, exec, s[12:13]
	s_and_saveexec_b64 s[10:11], s[2:3]
	s_cbranch_execz .LBB53_14
.LBB53_18:                              ;   in Loop: Header=BB53_4 Depth=1
	s_waitcnt vmcnt(0)
	v_mov_b32_e32 v54, s17
	v_cmp_neq_f64_e64 s[2:3], 1.0, v[52:53]
	s_mov_b32 s48, s38
	s_mov_b32 s52, s40
	v_cndmask_b32_e64 v55, v60, v54, s[2:3]
	v_mov_b32_e32 v54, s16
	v_cndmask_b32_e64 v54, 0, v54, s[2:3]
	v_cmp_neq_f64_e64 s[2:3], 0, v[54:55]
	s_mov_b32 s54, s42
	v_cmp_gt_f64_e64 s[8:9], 0, v[54:55]
	v_cndmask_b32_e64 v53, v60, v53, s[2:3]
	v_cndmask_b32_e64 v52, 0, v52, s[2:3]
	v_frexp_mant_f64_e64 v[56:57], |v[52:53]|
	v_cmp_gt_f64_e64 s[2:3], s[38:39], v[56:57]
	v_frexp_exp_i32_f64_e32 v58, v[52:53]
	v_cmp_lt_f64_e64 s[6:7], |v[52:53]|, 1.0
	v_cndmask_b32_e64 v59, 0, 1, s[2:3]
	v_ldexp_f64 v[56:57], v[56:57], v59
	v_subbrev_co_u32_e64 v63, s[2:3], 0, v58, s[2:3]
	v_add_f64 v[58:59], v[56:57], 1.0
	v_rcp_f64_e32 v[64:65], v[58:59]
	v_add_f64 v[68:69], v[58:59], -1.0
	v_add_f64 v[66:67], v[56:57], -1.0
	v_add_f64 v[56:57], v[56:57], -v[68:69]
	v_fma_f64 v[68:69], -v[58:59], v[64:65], 1.0
	v_fmac_f64_e32 v[64:65], v[68:69], v[64:65]
	v_fma_f64 v[68:69], -v[58:59], v[64:65], 1.0
	v_fmac_f64_e32 v[64:65], v[68:69], v[64:65]
	v_mul_f64 v[68:69], v[66:67], v[64:65]
	v_mul_f64 v[70:71], v[58:59], v[68:69]
	v_fma_f64 v[58:59], v[68:69], v[58:59], -v[70:71]
	v_fmac_f64_e32 v[58:59], v[68:69], v[56:57]
	v_add_f64 v[56:57], v[70:71], v[58:59]
	v_add_f64 v[72:73], v[66:67], -v[56:57]
	v_add_f64 v[70:71], v[56:57], -v[70:71]
	;; [unrolled: 1-line block ×5, first 2 shown]
	v_add_f64 v[56:57], v[58:59], v[56:57]
	v_add_f64 v[56:57], v[72:73], v[56:57]
	v_mul_f64 v[56:57], v[64:65], v[56:57]
	v_add_f64 v[58:59], v[68:69], v[56:57]
	v_add_f64 v[64:65], v[58:59], -v[68:69]
	v_add_f64 v[56:57], v[56:57], -v[64:65]
	v_mul_f64 v[64:65], v[58:59], v[58:59]
	v_fma_f64 v[66:67], v[58:59], v[58:59], -v[64:65]
	v_add_f64 v[68:69], v[56:57], v[56:57]
	v_fmac_f64_e32 v[66:67], v[58:59], v[68:69]
	v_add_f64 v[68:69], v[64:65], v[66:67]
	v_add_f64 v[64:65], v[68:69], -v[64:65]
	v_add_f64 v[64:65], v[66:67], -v[64:65]
	v_mov_b64_e32 v[66:67], v[12:13]
	v_fmac_f64_e32 v[66:67], s[44:45], v[68:69]
	v_mov_b64_e32 v[70:71], v[14:15]
	v_fmac_f64_e32 v[70:71], v[68:69], v[66:67]
	v_mov_b64_e32 v[66:67], v[16:17]
	v_fmac_f64_e32 v[66:67], v[68:69], v[70:71]
	v_mov_b64_e32 v[70:71], v[18:19]
	v_fmac_f64_e32 v[70:71], v[68:69], v[66:67]
	v_mov_b64_e32 v[66:67], v[20:21]
	v_fmac_f64_e32 v[66:67], v[68:69], v[70:71]
	v_mov_b64_e32 v[70:71], v[22:23]
	v_fmac_f64_e32 v[70:71], v[68:69], v[66:67]
	v_mov_b64_e32 v[66:67], v[24:25]
	v_fmac_f64_e32 v[66:67], v[68:69], v[70:71]
	v_mov_b64_e32 v[70:71], v[26:27]
	v_fmac_f64_e32 v[70:71], v[68:69], v[66:67]
	v_cvt_f64_i32_e32 v[66:67], v63
	v_mul_f64 v[72:73], v[66:67], s[40:41]
	v_mul_f64 v[78:79], v[58:59], v[68:69]
	v_fma_f64 v[74:75], v[66:67], s[40:41], -v[72:73]
	v_fma_f64 v[80:81], v[68:69], v[58:59], -v[78:79]
	v_fmac_f64_e32 v[74:75], s[42:43], v[66:67]
	v_fmac_f64_e32 v[80:81], v[68:69], v[56:57]
	v_add_f64 v[66:67], v[72:73], v[74:75]
	v_fmac_f64_e32 v[80:81], v[64:65], v[58:59]
	v_add_f64 v[72:73], v[66:67], -v[72:73]
	v_ldexp_f64 v[76:77], v[56:57], 1
	v_add_f64 v[56:57], v[78:79], v[80:81]
	v_add_f64 v[72:73], v[74:75], -v[72:73]
	v_ldexp_f64 v[74:75], v[58:59], 1
	v_add_f64 v[58:59], v[56:57], -v[78:79]
	v_mul_f64 v[78:79], v[68:69], v[70:71]
	v_fma_f64 v[68:69], v[68:69], v[70:71], -v[78:79]
	v_fmac_f64_e32 v[68:69], v[64:65], v[70:71]
	v_add_f64 v[64:65], v[78:79], v[68:69]
	v_add_f64 v[70:71], v[64:65], -v[78:79]
	v_add_f64 v[68:69], v[68:69], -v[70:71]
	v_add_f64 v[70:71], v[64:65], s[38:39]
	v_add_f64 v[78:79], v[70:71], s[48:49]
	v_add_f64 v[64:65], v[64:65], -v[78:79]
	v_add_f64 v[68:69], v[68:69], s[46:47]
	v_add_f64 v[64:65], v[68:69], v[64:65]
	;; [unrolled: 1-line block ×3, first 2 shown]
	v_add_f64 v[70:71], v[70:71], -v[68:69]
	v_add_f64 v[64:65], v[64:65], v[70:71]
	v_mul_f64 v[70:71], v[56:57], v[68:69]
	v_fma_f64 v[78:79], v[56:57], v[68:69], -v[70:71]
	v_add_f64 v[58:59], v[80:81], -v[58:59]
	v_fmac_f64_e32 v[78:79], v[56:57], v[64:65]
	v_fmac_f64_e32 v[78:79], v[58:59], v[68:69]
	v_add_f64 v[56:57], v[70:71], v[78:79]
	v_add_f64 v[58:59], v[56:57], -v[70:71]
	v_add_f64 v[64:65], v[74:75], v[56:57]
	v_add_f64 v[58:59], v[78:79], -v[58:59]
	v_add_f64 v[68:69], v[64:65], -v[74:75]
	;; [unrolled: 1-line block ×3, first 2 shown]
	v_add_f64 v[58:59], v[76:77], v[58:59]
	v_add_f64 v[56:57], v[58:59], v[56:57]
	;; [unrolled: 1-line block ×3, first 2 shown]
	v_add_f64 v[64:65], v[58:59], -v[64:65]
	v_add_f64 v[56:57], v[56:57], -v[64:65]
	v_add_f64 v[64:65], v[66:67], v[58:59]
	v_add_f64 v[68:69], v[64:65], -v[66:67]
	v_add_f64 v[70:71], v[64:65], -v[68:69]
	;; [unrolled: 1-line block ×4, first 2 shown]
	v_add_f64 v[58:59], v[58:59], v[66:67]
	v_add_f64 v[66:67], v[72:73], v[56:57]
	v_add_f64 v[68:69], v[66:67], -v[72:73]
	v_add_f64 v[58:59], v[66:67], v[58:59]
	v_add_f64 v[70:71], v[66:67], -v[68:69]
	v_add_f64 v[66:67], v[64:65], v[58:59]
	v_add_f64 v[70:71], v[72:73], -v[70:71]
	v_add_f64 v[56:57], v[56:57], -v[68:69]
	v_add_f64 v[64:65], v[66:67], -v[64:65]
	v_add_f64 v[56:57], v[56:57], v[70:71]
	v_add_f64 v[58:59], v[58:59], -v[64:65]
	v_add_f64 v[56:57], v[56:57], v[58:59]
	v_add_f64 v[58:59], v[66:67], v[56:57]
	v_add_f64 v[64:65], v[58:59], -v[66:67]
	v_add_f64 v[56:57], v[56:57], -v[64:65]
	v_mul_f64 v[64:65], v[54:55], v[58:59]
	v_fma_f64 v[58:59], v[54:55], v[58:59], -v[64:65]
	v_fmac_f64_e32 v[58:59], v[54:55], v[56:57]
	v_add_f64 v[56:57], v[64:65], v[58:59]
	v_cmp_class_f64_e64 s[2:3], v[64:65], s70
	v_add_f64 v[66:67], v[56:57], -v[64:65]
	v_add_f64 v[58:59], v[58:59], -v[66:67]
	v_cndmask_b32_e64 v57, v57, v65, s[2:3]
	v_cndmask_b32_e64 v56, v56, v64, s[2:3]
	v_mul_f64 v[64:65], v[56:57], s[50:51]
	v_rndne_f64_e32 v[64:65], v[64:65]
	v_fma_f64 v[66:67], s[52:53], v[64:65], v[56:57]
	v_fmac_f64_e32 v[66:67], s[54:55], v[64:65]
	v_mov_b64_e32 v[68:69], v[28:29]
	v_fmac_f64_e32 v[68:69], s[56:57], v[66:67]
	v_mov_b64_e32 v[70:71], v[30:31]
	;; [unrolled: 2-line block ×9, first 2 shown]
	v_fmac_f64_e32 v[68:69], v[66:67], v[70:71]
	v_fma_f64 v[68:69], v[66:67], v[68:69], 1.0
	v_cmp_neq_f64_e64 s[2:3], |v[56:57]|, s[62:63]
	v_fma_f64 v[66:67], v[66:67], v[68:69], 1.0
	v_cvt_i32_f64_e32 v63, v[64:65]
	v_cndmask_b32_e64 v59, 0, v59, s[2:3]
	v_cndmask_b32_e64 v58, 0, v58, s[2:3]
	v_ldexp_f64 v[64:65], v[66:67], v63
	v_cmp_nlt_f64_e64 s[2:3], s[58:59], v[56:57]
	v_cmp_ngt_f64_e64 s[4:5], s[60:61], v[56:57]
	v_cmp_class_f64_e64 s[12:13], v[52:53], s70
	v_cndmask_b32_e64 v63, v61, v65, s[2:3]
	s_and_b64 s[2:3], s[4:5], s[2:3]
	v_cndmask_b32_e64 v57, 0, v63, s[4:5]
	v_cndmask_b32_e64 v56, 0, v64, s[2:3]
	v_mov_b64_e32 v[64:65], v[56:57]
	v_fmac_f64_e32 v[64:65], v[64:65], v[58:59]
	v_cmp_class_f64_e64 s[2:3], v[56:57], s70
	s_nop 1
	v_cndmask_b32_e64 v63, v64, v56, s[2:3]
	v_cndmask_b32_e64 v64, v65, v57, s[2:3]
	v_trunc_f64_e32 v[56:57], v[54:55]
	v_cmp_eq_f64_e64 s[2:3], v[56:57], v[54:55]
	v_mul_f64 v[56:57], v[54:55], 0.5
	v_trunc_f64_e32 v[58:59], v[56:57]
	v_cmp_neq_f64_e64 s[4:5], v[58:59], v[56:57]
	s_and_b64 s[4:5], s[2:3], s[4:5]
	v_cndmask_b32_e64 v58, 0, v63, s[2:3]
	v_cndmask_b32_e64 v56, v60, v53, s[4:5]
	v_bfi_b32 v56, s71, v64, v56
	v_cndmask_b32_e64 v57, v62, v56, s[2:3]
	v_cmp_gt_f64_e64 s[2:3], 0, v[52:53]
	v_cndmask_b32_e64 v59, 0, v53, s[4:5]
	s_nop 0
	v_cndmask_b32_e64 v58, v63, v58, s[2:3]
	v_cndmask_b32_e64 v56, v56, v57, s[2:3]
	v_cmp_neq_f64_e64 s[2:3], v[54:55], |v[54:55]|
	s_xor_b64 s[2:3], s[2:3], s[6:7]
	v_cmp_eq_f64_e64 s[6:7], 0, v[52:53]
	v_cndmask_b32_e64 v57, v61, 0, s[2:3]
	v_cmp_neq_f64_e64 s[2:3], |v[52:53]|, 1.0
	s_xor_b64 s[8:9], s[8:9], s[6:7]
	s_or_b64 s[4:5], s[6:7], s[12:13]
	v_cndmask_b32_e64 v57, v60, v57, s[2:3]
	v_cmp_class_f64_e64 s[2:3], v[54:55], s70
	s_nop 1
	v_cndmask_b32_e64 v56, v56, v57, s[2:3]
	v_cndmask_b32_e64 v57, v61, 0, s[8:9]
	v_bfi_b32 v57, s71, v57, v59
	s_or_b64 s[2:3], s[4:5], s[2:3]
	v_cndmask_b32_e64 v56, v56, v57, s[4:5]
	v_cndmask_b32_e64 v57, v58, 0, s[2:3]
	v_cmp_o_f64_e64 s[2:3], v[52:53], v[54:55]
	s_nop 1
	v_cndmask_b32_e64 v52, 0, v57, s[2:3]
	v_cndmask_b32_e64 v53, v62, v56, s[2:3]
	global_store_dwordx2 v[50:51], v[52:53], off
	s_or_b64 exec, exec, s[10:11]
	s_and_saveexec_b64 s[8:9], vcc
	s_cbranch_execz .LBB53_3
.LBB53_19:                              ;   in Loop: Header=BB53_4 Depth=1
	v_mov_b32_e32 v50, s17
	s_waitcnt vmcnt(0)
	v_cmp_neq_f64_e32 vcc, 1.0, v[48:49]
	s_mov_b32 s48, s38
	s_mov_b32 s52, s40
	v_cndmask_b32_e32 v51, v60, v50, vcc
	v_mov_b32_e32 v50, s16
	v_cndmask_b32_e32 v50, 0, v50, vcc
	v_cmp_neq_f64_e32 vcc, 0, v[50:51]
	s_mov_b32 s54, s42
	v_cmp_neq_f64_e64 s[4:5], v[50:51], |v[50:51]|
	v_cndmask_b32_e32 v49, v60, v49, vcc
	v_cndmask_b32_e32 v48, 0, v48, vcc
	v_frexp_mant_f64_e64 v[52:53], |v[48:49]|
	v_cmp_gt_f64_e32 vcc, s[38:39], v[52:53]
	v_frexp_exp_i32_f64_e32 v54, v[48:49]
	v_cmp_lt_f64_e64 s[6:7], |v[48:49]|, 1.0
	v_cndmask_b32_e64 v55, 0, 1, vcc
	v_ldexp_f64 v[52:53], v[52:53], v55
	v_subbrev_co_u32_e32 v63, vcc, 0, v54, vcc
	v_add_f64 v[54:55], v[52:53], 1.0
	v_rcp_f64_e32 v[56:57], v[54:55]
	v_add_f64 v[64:65], v[54:55], -1.0
	v_add_f64 v[58:59], v[52:53], -1.0
	v_add_f64 v[52:53], v[52:53], -v[64:65]
	v_fma_f64 v[64:65], -v[54:55], v[56:57], 1.0
	v_fmac_f64_e32 v[56:57], v[64:65], v[56:57]
	v_fma_f64 v[64:65], -v[54:55], v[56:57], 1.0
	v_fmac_f64_e32 v[56:57], v[64:65], v[56:57]
	v_mul_f64 v[64:65], v[58:59], v[56:57]
	v_mul_f64 v[66:67], v[54:55], v[64:65]
	v_fma_f64 v[54:55], v[64:65], v[54:55], -v[66:67]
	v_fmac_f64_e32 v[54:55], v[64:65], v[52:53]
	v_add_f64 v[52:53], v[66:67], v[54:55]
	v_add_f64 v[68:69], v[58:59], -v[52:53]
	v_add_f64 v[66:67], v[52:53], -v[66:67]
	;; [unrolled: 1-line block ×5, first 2 shown]
	v_add_f64 v[52:53], v[54:55], v[52:53]
	v_add_f64 v[52:53], v[68:69], v[52:53]
	v_mul_f64 v[52:53], v[56:57], v[52:53]
	v_add_f64 v[54:55], v[64:65], v[52:53]
	v_add_f64 v[56:57], v[54:55], -v[64:65]
	v_add_f64 v[52:53], v[52:53], -v[56:57]
	v_mul_f64 v[56:57], v[54:55], v[54:55]
	v_fma_f64 v[58:59], v[54:55], v[54:55], -v[56:57]
	v_add_f64 v[64:65], v[52:53], v[52:53]
	v_fmac_f64_e32 v[58:59], v[54:55], v[64:65]
	v_add_f64 v[64:65], v[56:57], v[58:59]
	v_add_f64 v[56:57], v[64:65], -v[56:57]
	v_add_f64 v[56:57], v[58:59], -v[56:57]
	v_mov_b64_e32 v[58:59], v[12:13]
	v_fmac_f64_e32 v[58:59], s[44:45], v[64:65]
	v_mov_b64_e32 v[66:67], v[14:15]
	v_fmac_f64_e32 v[66:67], v[64:65], v[58:59]
	;; [unrolled: 2-line block ×8, first 2 shown]
	v_cvt_f64_i32_e32 v[58:59], v63
	v_mul_f64 v[68:69], v[58:59], s[40:41]
	v_mul_f64 v[74:75], v[54:55], v[64:65]
	v_fma_f64 v[70:71], v[58:59], s[40:41], -v[68:69]
	v_fma_f64 v[76:77], v[64:65], v[54:55], -v[74:75]
	v_fmac_f64_e32 v[70:71], s[42:43], v[58:59]
	v_fmac_f64_e32 v[76:77], v[64:65], v[52:53]
	v_add_f64 v[58:59], v[68:69], v[70:71]
	v_fmac_f64_e32 v[76:77], v[56:57], v[54:55]
	v_add_f64 v[68:69], v[58:59], -v[68:69]
	v_ldexp_f64 v[72:73], v[52:53], 1
	v_add_f64 v[52:53], v[74:75], v[76:77]
	v_add_f64 v[68:69], v[70:71], -v[68:69]
	v_ldexp_f64 v[70:71], v[54:55], 1
	v_add_f64 v[54:55], v[52:53], -v[74:75]
	v_mul_f64 v[74:75], v[64:65], v[66:67]
	v_fma_f64 v[64:65], v[64:65], v[66:67], -v[74:75]
	v_fmac_f64_e32 v[64:65], v[56:57], v[66:67]
	v_add_f64 v[56:57], v[74:75], v[64:65]
	v_add_f64 v[66:67], v[56:57], -v[74:75]
	v_add_f64 v[64:65], v[64:65], -v[66:67]
	v_add_f64 v[66:67], v[56:57], s[38:39]
	v_add_f64 v[74:75], v[66:67], s[48:49]
	v_add_f64 v[56:57], v[56:57], -v[74:75]
	v_add_f64 v[64:65], v[64:65], s[46:47]
	v_add_f64 v[56:57], v[64:65], v[56:57]
	;; [unrolled: 1-line block ×3, first 2 shown]
	v_add_f64 v[66:67], v[66:67], -v[64:65]
	v_add_f64 v[56:57], v[56:57], v[66:67]
	v_mul_f64 v[66:67], v[52:53], v[64:65]
	v_fma_f64 v[74:75], v[52:53], v[64:65], -v[66:67]
	v_add_f64 v[54:55], v[76:77], -v[54:55]
	v_fmac_f64_e32 v[74:75], v[52:53], v[56:57]
	v_fmac_f64_e32 v[74:75], v[54:55], v[64:65]
	v_add_f64 v[52:53], v[66:67], v[74:75]
	v_add_f64 v[54:55], v[52:53], -v[66:67]
	v_add_f64 v[56:57], v[70:71], v[52:53]
	v_add_f64 v[54:55], v[74:75], -v[54:55]
	v_add_f64 v[64:65], v[56:57], -v[70:71]
	;; [unrolled: 1-line block ×3, first 2 shown]
	v_add_f64 v[54:55], v[72:73], v[54:55]
	v_add_f64 v[52:53], v[54:55], v[52:53]
	;; [unrolled: 1-line block ×3, first 2 shown]
	v_add_f64 v[56:57], v[54:55], -v[56:57]
	v_add_f64 v[52:53], v[52:53], -v[56:57]
	v_add_f64 v[56:57], v[58:59], v[54:55]
	v_add_f64 v[64:65], v[56:57], -v[58:59]
	v_add_f64 v[66:67], v[56:57], -v[64:65]
	;; [unrolled: 1-line block ×4, first 2 shown]
	v_add_f64 v[54:55], v[54:55], v[58:59]
	v_add_f64 v[58:59], v[68:69], v[52:53]
	v_add_f64 v[64:65], v[58:59], -v[68:69]
	v_add_f64 v[54:55], v[58:59], v[54:55]
	v_add_f64 v[66:67], v[58:59], -v[64:65]
	;; [unrolled: 2-line block ×3, first 2 shown]
	v_add_f64 v[52:53], v[52:53], -v[64:65]
	v_add_f64 v[56:57], v[58:59], -v[56:57]
	v_add_f64 v[52:53], v[52:53], v[66:67]
	v_add_f64 v[54:55], v[54:55], -v[56:57]
	v_add_f64 v[52:53], v[52:53], v[54:55]
	v_add_f64 v[54:55], v[58:59], v[52:53]
	v_add_f64 v[56:57], v[54:55], -v[58:59]
	v_add_f64 v[52:53], v[52:53], -v[56:57]
	v_mul_f64 v[56:57], v[50:51], v[54:55]
	v_fma_f64 v[54:55], v[50:51], v[54:55], -v[56:57]
	v_fmac_f64_e32 v[54:55], v[50:51], v[52:53]
	v_add_f64 v[52:53], v[56:57], v[54:55]
	v_cmp_class_f64_e64 vcc, v[56:57], s70
	v_add_f64 v[58:59], v[52:53], -v[56:57]
	v_add_f64 v[54:55], v[54:55], -v[58:59]
	v_cndmask_b32_e32 v53, v53, v57, vcc
	v_cndmask_b32_e32 v52, v52, v56, vcc
	v_mul_f64 v[56:57], v[52:53], s[50:51]
	v_rndne_f64_e32 v[56:57], v[56:57]
	v_fma_f64 v[58:59], s[52:53], v[56:57], v[52:53]
	v_fmac_f64_e32 v[58:59], s[54:55], v[56:57]
	v_mov_b64_e32 v[64:65], v[28:29]
	v_fmac_f64_e32 v[64:65], s[56:57], v[58:59]
	v_mov_b64_e32 v[66:67], v[30:31]
	;; [unrolled: 2-line block ×9, first 2 shown]
	v_fmac_f64_e32 v[64:65], v[58:59], v[66:67]
	v_fma_f64 v[64:65], v[58:59], v[64:65], 1.0
	v_cmp_neq_f64_e64 vcc, |v[52:53]|, s[62:63]
	v_fma_f64 v[58:59], v[58:59], v[64:65], 1.0
	v_cvt_i32_f64_e32 v56, v[56:57]
	v_cndmask_b32_e32 v55, 0, v55, vcc
	v_cndmask_b32_e32 v54, 0, v54, vcc
	v_ldexp_f64 v[56:57], v[58:59], v56
	v_cmp_nlt_f64_e32 vcc, s[58:59], v[52:53]
	v_cmp_ngt_f64_e64 s[2:3], s[60:61], v[52:53]
	s_xor_b64 s[4:5], s[4:5], s[6:7]
	v_cndmask_b32_e32 v57, v61, v57, vcc
	s_and_b64 vcc, s[2:3], vcc
	v_cndmask_b32_e64 v53, 0, v57, s[2:3]
	v_cndmask_b32_e32 v52, 0, v56, vcc
	v_mov_b64_e32 v[56:57], v[52:53]
	v_fmac_f64_e32 v[56:57], v[56:57], v[54:55]
	v_cmp_class_f64_e64 vcc, v[52:53], s70
	v_cmp_gt_f64_e64 s[6:7], 0, v[50:51]
	v_cmp_class_f64_e64 s[10:11], v[48:49], s70
	v_cndmask_b32_e32 v56, v56, v52, vcc
	v_cndmask_b32_e32 v57, v57, v53, vcc
	v_trunc_f64_e32 v[52:53], v[50:51]
	v_cmp_eq_f64_e32 vcc, v[52:53], v[50:51]
	v_mul_f64 v[52:53], v[50:51], 0.5
	v_trunc_f64_e32 v[54:55], v[52:53]
	v_cmp_neq_f64_e64 s[2:3], v[54:55], v[52:53]
	s_and_b64 s[2:3], vcc, s[2:3]
	v_cndmask_b32_e32 v54, 0, v56, vcc
	v_cndmask_b32_e64 v52, v60, v49, s[2:3]
	v_bfi_b32 v52, s71, v57, v52
	v_cndmask_b32_e32 v53, v62, v52, vcc
	v_cmp_gt_f64_e32 vcc, 0, v[48:49]
	v_cndmask_b32_e64 v55, 0, v49, s[2:3]
	s_nop 0
	v_cndmask_b32_e32 v54, v56, v54, vcc
	v_cndmask_b32_e32 v52, v52, v53, vcc
	v_cndmask_b32_e64 v53, v61, 0, s[4:5]
	v_cmp_neq_f64_e64 vcc, |v[48:49]|, 1.0
	v_cmp_eq_f64_e64 s[4:5], 0, v[48:49]
	s_xor_b64 s[6:7], s[6:7], s[4:5]
	v_cndmask_b32_e32 v53, v60, v53, vcc
	v_cmp_class_f64_e64 vcc, v[50:51], s70
	s_or_b64 s[2:3], s[4:5], s[10:11]
	s_nop 0
	v_cndmask_b32_e32 v52, v52, v53, vcc
	v_cndmask_b32_e64 v53, v61, 0, s[6:7]
	v_bfi_b32 v53, s71, v53, v55
	v_cndmask_b32_e64 v52, v52, v53, s[2:3]
	s_or_b64 s[2:3], s[2:3], vcc
	v_cndmask_b32_e64 v53, v54, 0, s[2:3]
	v_cmp_o_f64_e32 vcc, v[48:49], v[50:51]
	s_nop 1
	v_cndmask_b32_e32 v48, 0, v53, vcc
	v_cndmask_b32_e32 v49, v62, v52, vcc
	global_store_dwordx2 v[46:47], v[48:49], off
	s_branch .LBB53_3
.LBB53_20:
	s_cbranch_execz .LBB53_22
	s_branch .LBB53_25
.LBB53_21:
.LBB53_22:
	v_mov_b64_e32 v[4:5], 0x10000
	v_cmp_lt_i64_e32 vcc, s[22:23], v[4:5]
	s_and_b64 s[2:3], vcc, exec
	v_mov_b32_e32 v3, 0
	s_cselect_b32 s9, s23, 0
	s_cselect_b32 s8, s22, 0x10000
	v_lshlrev_b32_e32 v2, 2, v0
	s_mov_b32 s7, 0
	v_cmp_gt_i64_e32 vcc, s[8:9], v[2:3]
	s_and_saveexec_b64 s[2:3], vcc
	s_cbranch_execz .LBB53_25
; %bb.23:
	s_load_dword s0, s[0:1], 0xd44
	v_lshlrev_b32_e32 v2, 5, v0
	v_mov_b32_e32 v1, v3
	v_mov_b32_e32 v17, s17
	;; [unrolled: 1-line block ×3, first 2 shown]
	s_waitcnt lgkmcnt(0)
	s_and_b32 s6, s0, 0xffff
	s_add_u32 s0, s18, s20
	s_addc_u32 s1, s19, s21
	v_lshl_add_u64 v[2:3], s[0:1], 0, v[2:3]
	s_mov_b32 s0, 0x968915a9
	s_mov_b32 s1, 0x3fba6564
	v_mov_b64_e32 v[12:13], s[0:1]
	s_mov_b32 s0, 0xfca7ab0c
	s_mov_b32 s14, 0x55555555
	;; [unrolled: 1-line block ×30, first 2 shown]
	s_lshl_b32 s10, s6, 5
	v_lshl_add_u64 v[10:11], v[2:3], 0, 16
	s_mov_b64 s[12:13], 0
	v_mov_b32_e32 v16, 0x3ff00000
	s_mov_b32 s15, 0x3fe55555
	s_mov_b32 s17, 0xbfe55555
	;; [unrolled: 1-line block ×14, first 2 shown]
	s_movk_i32 s33, 0x204
	s_mov_b32 s45, 0x7ff00000
	s_mov_b32 s47, 0x3ff71547
	;; [unrolled: 1-line block ×4, first 2 shown]
	v_mov_b64_e32 v[14:15], s[0:1]
	s_mov_b32 s53, 0x3ec71dee
	s_mov_b32 s55, 0x3efa0199
	;; [unrolled: 1-line block ×9, first 2 shown]
	v_mov_b32_e32 v19, 0x7ff00000
	s_mov_b32 s71, 0xc090cc00
	s_brev_b32 s72, -2
	v_mov_b32_e32 v20, 0x7ff80000
.LBB53_24:                              ; =>This Inner Loop Header: Depth=1
	global_load_dwordx4 v[6:9], v[10:11], off offset:-16
	global_load_dwordx4 v[2:5], v[10:11], off
	s_mov_b32 s48, s40
	v_lshl_add_u64 v[0:1], v[0:1], 0, s[6:7]
	s_waitcnt vmcnt(1)
	v_cmp_neq_f64_e32 vcc, 1.0, v[6:7]
	s_nop 1
	v_cndmask_b32_e32 v23, v16, v17, vcc
	v_cndmask_b32_e32 v22, 0, v18, vcc
	v_cmp_neq_f64_e32 vcc, 0, v[22:23]
	v_trunc_f64_e32 v[24:25], v[22:23]
	v_mul_f64 v[26:27], v[22:23], 0.5
	v_cndmask_b32_e32 v7, v16, v7, vcc
	v_cndmask_b32_e32 v6, 0, v6, vcc
	v_frexp_mant_f64_e64 v[28:29], |v[6:7]|
	v_cmp_eq_f64_e64 s[0:1], v[24:25], v[22:23]
	v_trunc_f64_e32 v[24:25], v[26:27]
	v_cmp_gt_f64_e64 s[2:3], s[14:15], v[28:29]
	v_cmp_neq_f64_e32 vcc, v[24:25], v[26:27]
	v_frexp_exp_i32_f64_e32 v21, v[6:7]
	v_cndmask_b32_e64 v24, 0, 1, s[2:3]
	v_ldexp_f64 v[24:25], v[28:29], v24
	v_cmp_neq_f64_e64 s[4:5], v[22:23], |v[22:23]|
	v_cmp_lt_f64_e64 s[74:75], |v[6:7]|, 1.0
	v_subbrev_co_u32_e64 v21, s[2:3], 0, v21, s[2:3]
	v_add_f64 v[28:29], v[24:25], 1.0
	s_xor_b64 s[4:5], s[4:5], s[74:75]
	v_cvt_f64_i32_e32 v[30:31], v21
	v_rcp_f64_e32 v[34:35], v[28:29]
	v_cndmask_b32_e64 v26, v19, 0, s[4:5]
	v_cmp_neq_f64_e64 s[2:3], |v[6:7]|, 1.0
	v_add_f64 v[32:33], v[28:29], -1.0
	v_mul_f64 v[36:37], v[30:31], s[36:37]
	v_cndmask_b32_e64 v47, v16, v26, s[2:3]
	v_add_f64 v[26:27], v[24:25], -1.0
	v_add_f64 v[24:25], v[24:25], -v[32:33]
	v_fma_f64 v[32:33], v[30:31], s[36:37], -v[36:37]
	v_fmac_f64_e32 v[32:33], s[40:41], v[30:31]
	v_add_f64 v[30:31], v[36:37], v[32:33]
	v_fma_f64 v[38:39], -v[28:29], v[34:35], 1.0
	v_add_f64 v[36:37], v[30:31], -v[36:37]
	v_fmac_f64_e32 v[34:35], v[38:39], v[34:35]
	v_add_f64 v[32:33], v[32:33], -v[36:37]
	v_fma_f64 v[36:37], -v[28:29], v[34:35], 1.0
	v_fmac_f64_e32 v[34:35], v[36:37], v[34:35]
	v_mul_f64 v[36:37], v[26:27], v[34:35]
	v_mul_f64 v[38:39], v[28:29], v[36:37]
	v_fma_f64 v[28:29], v[36:37], v[28:29], -v[38:39]
	v_fmac_f64_e32 v[28:29], v[36:37], v[24:25]
	v_add_f64 v[24:25], v[38:39], v[28:29]
	v_add_f64 v[40:41], v[26:27], -v[24:25]
	v_add_f64 v[38:39], v[24:25], -v[38:39]
	;; [unrolled: 1-line block ×5, first 2 shown]
	v_add_f64 v[24:25], v[28:29], v[24:25]
	v_add_f64 v[24:25], v[40:41], v[24:25]
	v_mul_f64 v[24:25], v[34:35], v[24:25]
	v_add_f64 v[26:27], v[36:37], v[24:25]
	v_add_f64 v[28:29], v[26:27], -v[36:37]
	v_mul_f64 v[34:35], v[26:27], v[26:27]
	v_add_f64 v[24:25], v[24:25], -v[28:29]
	v_fma_f64 v[28:29], v[26:27], v[26:27], -v[34:35]
	v_add_f64 v[38:39], v[24:25], v[24:25]
	v_fmac_f64_e32 v[28:29], v[26:27], v[38:39]
	v_add_f64 v[38:39], v[34:35], v[28:29]
	v_add_f64 v[34:35], v[38:39], -v[34:35]
	v_fma_f64 v[42:43], s[18:19], v[38:39], v[12:13]
	v_mul_f64 v[44:45], v[26:27], v[38:39]
	v_add_f64 v[28:29], v[28:29], -v[34:35]
	v_fma_f64 v[34:35], v[38:39], v[42:43], s[20:21]
	v_fma_f64 v[42:43], v[38:39], v[26:27], -v[44:45]
	v_fma_f64 v[34:35], v[38:39], v[34:35], s[22:23]
	v_ldexp_f64 v[40:41], v[24:25], 1
	v_fmac_f64_e32 v[42:43], v[38:39], v[24:25]
	v_fma_f64 v[24:25], v[38:39], v[34:35], s[24:25]
	v_fma_f64 v[24:25], v[38:39], v[24:25], s[26:27]
	v_fmac_f64_e32 v[42:43], v[28:29], v[26:27]
	v_fma_f64 v[24:25], v[38:39], v[24:25], s[28:29]
	v_ldexp_f64 v[36:37], v[26:27], 1
	v_add_f64 v[26:27], v[44:45], v[42:43]
	v_fma_f64 v[24:25], v[38:39], v[24:25], s[30:31]
	v_add_f64 v[34:35], v[26:27], -v[44:45]
	v_fma_f64 v[24:25], v[38:39], v[24:25], s[34:35]
	v_add_f64 v[34:35], v[42:43], -v[34:35]
	v_mul_f64 v[42:43], v[38:39], v[24:25]
	v_fma_f64 v[38:39], v[38:39], v[24:25], -v[42:43]
	v_fmac_f64_e32 v[38:39], v[28:29], v[24:25]
	v_add_f64 v[24:25], v[42:43], v[38:39]
	v_add_f64 v[28:29], v[24:25], -v[42:43]
	v_add_f64 v[42:43], v[24:25], s[14:15]
	v_add_f64 v[28:29], v[38:39], -v[28:29]
	;; [unrolled: 2-line block ×3, first 2 shown]
	v_add_f64 v[28:29], v[28:29], s[42:43]
	v_add_f64 v[24:25], v[28:29], v[24:25]
	v_add_f64 v[28:29], v[42:43], v[24:25]
	v_add_f64 v[38:39], v[42:43], -v[28:29]
	v_mul_f64 v[42:43], v[26:27], v[28:29]
	v_add_f64 v[24:25], v[24:25], v[38:39]
	v_fma_f64 v[38:39], v[26:27], v[28:29], -v[42:43]
	v_fmac_f64_e32 v[38:39], v[26:27], v[24:25]
	v_fmac_f64_e32 v[38:39], v[34:35], v[28:29]
	v_add_f64 v[24:25], v[42:43], v[38:39]
	v_add_f64 v[26:27], v[24:25], -v[42:43]
	v_add_f64 v[28:29], v[36:37], v[24:25]
	v_add_f64 v[26:27], v[38:39], -v[26:27]
	v_add_f64 v[34:35], v[28:29], -v[36:37]
	;; [unrolled: 1-line block ×3, first 2 shown]
	v_add_f64 v[26:27], v[40:41], v[26:27]
	v_add_f64 v[24:25], v[26:27], v[24:25]
	;; [unrolled: 1-line block ×3, first 2 shown]
	v_add_f64 v[28:29], v[26:27], -v[28:29]
	v_add_f64 v[34:35], v[30:31], v[26:27]
	v_add_f64 v[24:25], v[24:25], -v[28:29]
	v_add_f64 v[28:29], v[34:35], -v[30:31]
	;; [unrolled: 1-line block ×4, first 2 shown]
	v_add_f64 v[28:29], v[32:33], v[24:25]
	v_add_f64 v[30:31], v[30:31], -v[36:37]
	v_add_f64 v[36:37], v[28:29], -v[32:33]
	v_add_f64 v[26:27], v[26:27], v[30:31]
	v_add_f64 v[30:31], v[28:29], -v[36:37]
	v_add_f64 v[26:27], v[28:29], v[26:27]
	v_add_f64 v[24:25], v[24:25], -v[36:37]
	v_add_f64 v[30:31], v[32:33], -v[30:31]
	v_add_f64 v[28:29], v[34:35], v[26:27]
	v_add_f64 v[24:25], v[24:25], v[30:31]
	v_add_f64 v[30:31], v[28:29], -v[34:35]
	v_add_f64 v[26:27], v[26:27], -v[30:31]
	v_add_f64 v[24:25], v[24:25], v[26:27]
	v_add_f64 v[26:27], v[28:29], v[24:25]
	v_add_f64 v[28:29], v[26:27], -v[28:29]
	v_mul_f64 v[30:31], v[22:23], v[26:27]
	v_add_f64 v[24:25], v[24:25], -v[28:29]
	v_fma_f64 v[26:27], v[22:23], v[26:27], -v[30:31]
	v_fmac_f64_e32 v[26:27], v[22:23], v[24:25]
	v_add_f64 v[24:25], v[30:31], v[26:27]
	v_cmp_class_f64_e64 s[2:3], v[30:31], s33
	v_add_f64 v[28:29], v[24:25], -v[30:31]
	v_add_f64 v[26:27], v[26:27], -v[28:29]
	v_cndmask_b32_e64 v25, v25, v31, s[2:3]
	v_cndmask_b32_e64 v24, v24, v30, s[2:3]
	v_mul_f64 v[28:29], v[24:25], s[46:47]
	v_rndne_f64_e32 v[28:29], v[28:29]
	v_fma_f64 v[30:31], s[38:39], v[28:29], v[24:25]
	v_fmac_f64_e32 v[30:31], s[48:49], v[28:29]
	v_cvt_i32_f64_e32 v21, v[28:29]
	v_fma_f64 v[28:29], s[50:51], v[30:31], v[14:15]
	v_fma_f64 v[28:29], v[30:31], v[28:29], s[52:53]
	;; [unrolled: 1-line block ×9, first 2 shown]
	v_fma_f64 v[28:29], v[30:31], v[28:29], 1.0
	v_cmp_neq_f64_e64 s[2:3], |v[24:25]|, s[44:45]
	v_fma_f64 v[28:29], v[30:31], v[28:29], 1.0
	v_ldexp_f64 v[28:29], v[28:29], v21
	v_cndmask_b32_e64 v27, 0, v27, s[2:3]
	v_cndmask_b32_e64 v26, 0, v26, s[2:3]
	v_cmp_nlt_f64_e64 s[2:3], s[68:69], v[24:25]
	v_cmp_ngt_f64_e64 s[4:5], s[70:71], v[24:25]
	s_and_b64 vcc, s[0:1], vcc
	v_cndmask_b32_e64 v21, v19, v29, s[2:3]
	s_and_b64 s[2:3], s[4:5], s[2:3]
	v_cndmask_b32_e64 v25, 0, v21, s[4:5]
	v_cndmask_b32_e64 v24, 0, v28, s[2:3]
	v_mov_b64_e32 v[28:29], v[24:25]
	v_fmac_f64_e32 v[28:29], v[28:29], v[26:27]
	v_cmp_class_f64_e64 s[2:3], v[24:25], s33
	v_cndmask_b32_e32 v46, v16, v7, vcc
	v_cmp_gt_f64_e64 s[4:5], 0, v[22:23]
	v_cndmask_b32_e64 v21, v28, v24, s[2:3]
	v_cndmask_b32_e64 v24, v29, v25, s[2:3]
	v_bfi_b32 v24, s72, v24, v46
	v_cmp_eq_f64_e64 s[2:3], 0, v[6:7]
	v_cndmask_b32_e64 v25, v20, v24, s[0:1]
	v_cndmask_b32_e64 v26, 0, v21, s[0:1]
	v_cmp_gt_f64_e64 s[0:1], 0, v[6:7]
	v_cmp_class_f64_e64 s[74:75], v[6:7], s33
	s_xor_b64 s[4:5], s[4:5], s[2:3]
	v_cndmask_b32_e64 v21, v21, v26, s[0:1]
	v_cndmask_b32_e64 v24, v24, v25, s[0:1]
	v_cmp_class_f64_e64 s[0:1], v[22:23], s33
	v_cndmask_b32_e64 v25, v19, 0, s[4:5]
	v_cndmask_b32_e32 v26, 0, v7, vcc
	s_or_b64 vcc, s[2:3], s[74:75]
	v_cndmask_b32_e64 v24, v24, v47, s[0:1]
	v_bfi_b32 v25, s72, v25, v26
	s_or_b64 s[0:1], vcc, s[0:1]
	v_cndmask_b32_e32 v24, v24, v25, vcc
	v_cndmask_b32_e64 v21, v21, 0, s[0:1]
	v_cmp_o_f64_e32 vcc, v[6:7], v[22:23]
	s_nop 1
	v_cndmask_b32_e32 v6, 0, v21, vcc
	v_cndmask_b32_e32 v7, v20, v24, vcc
	v_cmp_neq_f64_e32 vcc, 1.0, v[8:9]
	s_nop 1
	v_cndmask_b32_e32 v23, v16, v17, vcc
	v_cndmask_b32_e32 v22, 0, v18, vcc
	v_cmp_neq_f64_e32 vcc, 0, v[22:23]
	v_cmp_neq_f64_e64 s[2:3], v[22:23], |v[22:23]|
	s_nop 0
	v_cndmask_b32_e32 v9, v16, v9, vcc
	v_cndmask_b32_e32 v8, 0, v8, vcc
	v_frexp_mant_f64_e64 v[24:25], |v[8:9]|
	v_cmp_gt_f64_e32 vcc, s[14:15], v[24:25]
	v_frexp_exp_i32_f64_e32 v21, v[8:9]
	v_cmp_lt_f64_e64 s[4:5], |v[8:9]|, 1.0
	v_cndmask_b32_e64 v26, 0, 1, vcc
	v_ldexp_f64 v[24:25], v[24:25], v26
	v_add_f64 v[26:27], v[24:25], 1.0
	v_rcp_f64_e32 v[28:29], v[26:27]
	v_add_f64 v[32:33], v[26:27], -1.0
	v_add_f64 v[30:31], v[24:25], -1.0
	v_add_f64 v[24:25], v[24:25], -v[32:33]
	v_fma_f64 v[32:33], -v[26:27], v[28:29], 1.0
	v_fmac_f64_e32 v[28:29], v[32:33], v[28:29]
	v_fma_f64 v[32:33], -v[26:27], v[28:29], 1.0
	v_fmac_f64_e32 v[28:29], v[32:33], v[28:29]
	v_mul_f64 v[32:33], v[30:31], v[28:29]
	v_mul_f64 v[34:35], v[26:27], v[32:33]
	v_fma_f64 v[26:27], v[32:33], v[26:27], -v[34:35]
	v_fmac_f64_e32 v[26:27], v[32:33], v[24:25]
	v_add_f64 v[24:25], v[34:35], v[26:27]
	v_add_f64 v[36:37], v[30:31], -v[24:25]
	v_add_f64 v[34:35], v[24:25], -v[34:35]
	;; [unrolled: 1-line block ×5, first 2 shown]
	v_add_f64 v[24:25], v[26:27], v[24:25]
	v_add_f64 v[24:25], v[36:37], v[24:25]
	v_mul_f64 v[24:25], v[28:29], v[24:25]
	v_add_f64 v[26:27], v[32:33], v[24:25]
	v_add_f64 v[28:29], v[26:27], -v[32:33]
	v_add_f64 v[24:25], v[24:25], -v[28:29]
	v_mul_f64 v[28:29], v[26:27], v[26:27]
	v_fma_f64 v[30:31], v[26:27], v[26:27], -v[28:29]
	v_add_f64 v[32:33], v[24:25], v[24:25]
	v_fmac_f64_e32 v[30:31], v[26:27], v[32:33]
	v_add_f64 v[32:33], v[28:29], v[30:31]
	v_add_f64 v[28:29], v[32:33], -v[28:29]
	v_add_f64 v[28:29], v[30:31], -v[28:29]
	v_fma_f64 v[30:31], s[18:19], v[32:33], v[12:13]
	v_subbrev_co_u32_e32 v21, vcc, 0, v21, vcc
	v_fma_f64 v[30:31], v[32:33], v[30:31], s[20:21]
	v_fma_f64 v[30:31], v[32:33], v[30:31], s[22:23]
	v_cvt_f64_i32_e32 v[34:35], v21
	v_fma_f64 v[30:31], v[32:33], v[30:31], s[24:25]
	v_mul_f64 v[36:37], v[34:35], s[36:37]
	v_mul_f64 v[42:43], v[26:27], v[32:33]
	v_fma_f64 v[30:31], v[32:33], v[30:31], s[26:27]
	v_fma_f64 v[38:39], v[34:35], s[36:37], -v[36:37]
	v_fma_f64 v[44:45], v[32:33], v[26:27], -v[42:43]
	v_fma_f64 v[30:31], v[32:33], v[30:31], s[28:29]
	v_fmac_f64_e32 v[38:39], s[40:41], v[34:35]
	v_fmac_f64_e32 v[44:45], v[32:33], v[24:25]
	v_fma_f64 v[30:31], v[32:33], v[30:31], s[30:31]
	v_add_f64 v[34:35], v[36:37], v[38:39]
	v_fmac_f64_e32 v[44:45], v[28:29], v[26:27]
	v_fma_f64 v[30:31], v[32:33], v[30:31], s[34:35]
	v_add_f64 v[36:37], v[34:35], -v[36:37]
	v_ldexp_f64 v[40:41], v[24:25], 1
	v_add_f64 v[24:25], v[42:43], v[44:45]
	v_add_f64 v[36:37], v[38:39], -v[36:37]
	v_ldexp_f64 v[38:39], v[26:27], 1
	v_add_f64 v[26:27], v[24:25], -v[42:43]
	v_mul_f64 v[42:43], v[32:33], v[30:31]
	v_fma_f64 v[32:33], v[32:33], v[30:31], -v[42:43]
	v_fmac_f64_e32 v[32:33], v[28:29], v[30:31]
	v_add_f64 v[28:29], v[42:43], v[32:33]
	v_add_f64 v[30:31], v[28:29], -v[42:43]
	v_add_f64 v[30:31], v[32:33], -v[30:31]
	v_add_f64 v[32:33], v[28:29], s[14:15]
	v_add_f64 v[42:43], v[32:33], s[16:17]
	v_add_f64 v[28:29], v[28:29], -v[42:43]
	v_add_f64 v[30:31], v[30:31], s[42:43]
	v_add_f64 v[28:29], v[30:31], v[28:29]
	;; [unrolled: 1-line block ×3, first 2 shown]
	v_add_f64 v[32:33], v[32:33], -v[30:31]
	v_add_f64 v[28:29], v[28:29], v[32:33]
	v_mul_f64 v[32:33], v[24:25], v[30:31]
	v_fma_f64 v[42:43], v[24:25], v[30:31], -v[32:33]
	v_add_f64 v[26:27], v[44:45], -v[26:27]
	v_fmac_f64_e32 v[42:43], v[24:25], v[28:29]
	v_fmac_f64_e32 v[42:43], v[26:27], v[30:31]
	v_add_f64 v[24:25], v[32:33], v[42:43]
	v_add_f64 v[26:27], v[24:25], -v[32:33]
	v_add_f64 v[28:29], v[38:39], v[24:25]
	v_add_f64 v[26:27], v[42:43], -v[26:27]
	v_add_f64 v[30:31], v[28:29], -v[38:39]
	v_add_f64 v[24:25], v[24:25], -v[30:31]
	v_add_f64 v[26:27], v[40:41], v[26:27]
	v_add_f64 v[24:25], v[26:27], v[24:25]
	;; [unrolled: 1-line block ×3, first 2 shown]
	v_add_f64 v[28:29], v[26:27], -v[28:29]
	v_add_f64 v[24:25], v[24:25], -v[28:29]
	v_add_f64 v[28:29], v[34:35], v[26:27]
	v_add_f64 v[30:31], v[28:29], -v[34:35]
	v_add_f64 v[32:33], v[28:29], -v[30:31]
	;; [unrolled: 1-line block ×4, first 2 shown]
	v_add_f64 v[26:27], v[26:27], v[32:33]
	v_add_f64 v[30:31], v[36:37], v[24:25]
	v_add_f64 v[32:33], v[30:31], -v[36:37]
	v_add_f64 v[26:27], v[30:31], v[26:27]
	v_add_f64 v[34:35], v[30:31], -v[32:33]
	;; [unrolled: 2-line block ×3, first 2 shown]
	v_add_f64 v[24:25], v[24:25], -v[32:33]
	v_add_f64 v[28:29], v[30:31], -v[28:29]
	v_add_f64 v[24:25], v[24:25], v[34:35]
	v_add_f64 v[26:27], v[26:27], -v[28:29]
	v_add_f64 v[24:25], v[24:25], v[26:27]
	v_add_f64 v[26:27], v[30:31], v[24:25]
	v_add_f64 v[28:29], v[26:27], -v[30:31]
	v_add_f64 v[24:25], v[24:25], -v[28:29]
	v_mul_f64 v[28:29], v[22:23], v[26:27]
	v_fma_f64 v[26:27], v[22:23], v[26:27], -v[28:29]
	v_fmac_f64_e32 v[26:27], v[22:23], v[24:25]
	v_add_f64 v[24:25], v[28:29], v[26:27]
	v_cmp_class_f64_e64 vcc, v[28:29], s33
	v_add_f64 v[30:31], v[24:25], -v[28:29]
	v_add_f64 v[26:27], v[26:27], -v[30:31]
	v_cndmask_b32_e32 v25, v25, v29, vcc
	v_cndmask_b32_e32 v24, v24, v28, vcc
	v_mul_f64 v[28:29], v[24:25], s[46:47]
	v_rndne_f64_e32 v[28:29], v[28:29]
	v_fma_f64 v[30:31], s[38:39], v[28:29], v[24:25]
	v_fmac_f64_e32 v[30:31], s[48:49], v[28:29]
	v_fma_f64 v[32:33], s[50:51], v[30:31], v[14:15]
	v_fma_f64 v[32:33], v[30:31], v[32:33], s[52:53]
	;; [unrolled: 1-line block ×9, first 2 shown]
	v_fma_f64 v[32:33], v[30:31], v[32:33], 1.0
	v_cmp_neq_f64_e64 vcc, |v[24:25]|, s[44:45]
	v_fma_f64 v[30:31], v[30:31], v[32:33], 1.0
	v_cvt_i32_f64_e32 v21, v[28:29]
	v_cndmask_b32_e32 v27, 0, v27, vcc
	v_cndmask_b32_e32 v26, 0, v26, vcc
	v_ldexp_f64 v[28:29], v[30:31], v21
	v_cmp_nlt_f64_e32 vcc, s[68:69], v[24:25]
	v_cmp_ngt_f64_e64 s[0:1], s[70:71], v[24:25]
	s_xor_b64 s[2:3], s[2:3], s[4:5]
	v_cndmask_b32_e32 v21, v19, v29, vcc
	s_and_b64 vcc, s[0:1], vcc
	v_cndmask_b32_e64 v25, 0, v21, s[0:1]
	v_cndmask_b32_e32 v24, 0, v28, vcc
	v_mov_b64_e32 v[28:29], v[24:25]
	v_fmac_f64_e32 v[28:29], v[28:29], v[26:27]
	v_cmp_class_f64_e64 vcc, v[24:25], s33
	v_cmp_gt_f64_e64 s[4:5], 0, v[22:23]
	v_cmp_class_f64_e64 s[74:75], v[8:9], s33
	v_cndmask_b32_e32 v21, v28, v24, vcc
	v_cndmask_b32_e32 v28, v29, v25, vcc
	v_trunc_f64_e32 v[24:25], v[22:23]
	v_cmp_eq_f64_e32 vcc, v[24:25], v[22:23]
	v_mul_f64 v[24:25], v[22:23], 0.5
	v_trunc_f64_e32 v[26:27], v[24:25]
	v_cmp_neq_f64_e64 s[0:1], v[26:27], v[24:25]
	s_and_b64 s[0:1], vcc, s[0:1]
	v_cndmask_b32_e32 v26, 0, v21, vcc
	v_cndmask_b32_e64 v24, v16, v9, s[0:1]
	v_bfi_b32 v24, s72, v28, v24
	v_cndmask_b32_e32 v25, v20, v24, vcc
	v_cmp_gt_f64_e32 vcc, 0, v[8:9]
	s_nop 1
	v_cndmask_b32_e32 v21, v21, v26, vcc
	v_cndmask_b32_e32 v24, v24, v25, vcc
	v_cndmask_b32_e64 v25, v19, 0, s[2:3]
	v_cmp_neq_f64_e64 vcc, |v[8:9]|, 1.0
	v_cmp_eq_f64_e64 s[2:3], 0, v[8:9]
	s_xor_b64 s[4:5], s[4:5], s[2:3]
	v_cndmask_b32_e32 v25, v16, v25, vcc
	v_cmp_class_f64_e64 vcc, v[22:23], s33
	v_cndmask_b32_e64 v26, 0, v9, s[0:1]
	s_or_b64 s[0:1], s[2:3], s[74:75]
	v_cndmask_b32_e32 v24, v24, v25, vcc
	v_cndmask_b32_e64 v25, v19, 0, s[4:5]
	v_bfi_b32 v25, s72, v25, v26
	v_cndmask_b32_e64 v24, v24, v25, s[0:1]
	s_or_b64 s[0:1], s[0:1], vcc
	v_cndmask_b32_e64 v21, v21, 0, s[0:1]
	v_cmp_o_f64_e32 vcc, v[8:9], v[22:23]
	s_nop 1
	v_cndmask_b32_e32 v8, 0, v21, vcc
	v_cndmask_b32_e32 v9, v20, v24, vcc
	s_waitcnt vmcnt(0)
	v_cmp_neq_f64_e32 vcc, 1.0, v[2:3]
	s_nop 1
	v_cndmask_b32_e32 v23, v16, v17, vcc
	v_cndmask_b32_e32 v22, 0, v18, vcc
	v_cmp_neq_f64_e32 vcc, 0, v[22:23]
	v_cmp_neq_f64_e64 s[2:3], v[22:23], |v[22:23]|
	s_nop 0
	v_cndmask_b32_e32 v3, v16, v3, vcc
	v_cndmask_b32_e32 v2, 0, v2, vcc
	v_frexp_mant_f64_e64 v[24:25], |v[2:3]|
	v_cmp_gt_f64_e32 vcc, s[14:15], v[24:25]
	v_frexp_exp_i32_f64_e32 v21, v[2:3]
	v_cmp_lt_f64_e64 s[4:5], |v[2:3]|, 1.0
	v_cndmask_b32_e64 v26, 0, 1, vcc
	v_ldexp_f64 v[24:25], v[24:25], v26
	v_add_f64 v[26:27], v[24:25], 1.0
	v_rcp_f64_e32 v[28:29], v[26:27]
	v_add_f64 v[32:33], v[26:27], -1.0
	v_add_f64 v[30:31], v[24:25], -1.0
	v_add_f64 v[24:25], v[24:25], -v[32:33]
	v_fma_f64 v[32:33], -v[26:27], v[28:29], 1.0
	v_fmac_f64_e32 v[28:29], v[32:33], v[28:29]
	v_fma_f64 v[32:33], -v[26:27], v[28:29], 1.0
	v_fmac_f64_e32 v[28:29], v[32:33], v[28:29]
	v_mul_f64 v[32:33], v[30:31], v[28:29]
	v_mul_f64 v[34:35], v[26:27], v[32:33]
	v_fma_f64 v[26:27], v[32:33], v[26:27], -v[34:35]
	v_fmac_f64_e32 v[26:27], v[32:33], v[24:25]
	v_add_f64 v[24:25], v[34:35], v[26:27]
	v_add_f64 v[36:37], v[30:31], -v[24:25]
	v_add_f64 v[34:35], v[24:25], -v[34:35]
	;; [unrolled: 1-line block ×5, first 2 shown]
	v_add_f64 v[24:25], v[26:27], v[24:25]
	v_add_f64 v[24:25], v[36:37], v[24:25]
	v_mul_f64 v[24:25], v[28:29], v[24:25]
	v_add_f64 v[26:27], v[32:33], v[24:25]
	v_add_f64 v[28:29], v[26:27], -v[32:33]
	v_add_f64 v[24:25], v[24:25], -v[28:29]
	v_mul_f64 v[28:29], v[26:27], v[26:27]
	v_fma_f64 v[30:31], v[26:27], v[26:27], -v[28:29]
	v_add_f64 v[32:33], v[24:25], v[24:25]
	v_fmac_f64_e32 v[30:31], v[26:27], v[32:33]
	v_add_f64 v[32:33], v[28:29], v[30:31]
	v_add_f64 v[28:29], v[32:33], -v[28:29]
	v_add_f64 v[28:29], v[30:31], -v[28:29]
	v_fma_f64 v[30:31], s[18:19], v[32:33], v[12:13]
	v_subbrev_co_u32_e32 v21, vcc, 0, v21, vcc
	v_fma_f64 v[30:31], v[32:33], v[30:31], s[20:21]
	v_fma_f64 v[30:31], v[32:33], v[30:31], s[22:23]
	v_cvt_f64_i32_e32 v[34:35], v21
	v_fma_f64 v[30:31], v[32:33], v[30:31], s[24:25]
	v_mul_f64 v[36:37], v[34:35], s[36:37]
	v_mul_f64 v[42:43], v[26:27], v[32:33]
	v_fma_f64 v[30:31], v[32:33], v[30:31], s[26:27]
	v_fma_f64 v[38:39], v[34:35], s[36:37], -v[36:37]
	v_fma_f64 v[44:45], v[32:33], v[26:27], -v[42:43]
	v_fma_f64 v[30:31], v[32:33], v[30:31], s[28:29]
	v_fmac_f64_e32 v[38:39], s[40:41], v[34:35]
	v_fmac_f64_e32 v[44:45], v[32:33], v[24:25]
	v_fma_f64 v[30:31], v[32:33], v[30:31], s[30:31]
	v_add_f64 v[34:35], v[36:37], v[38:39]
	v_fmac_f64_e32 v[44:45], v[28:29], v[26:27]
	v_fma_f64 v[30:31], v[32:33], v[30:31], s[34:35]
	v_add_f64 v[36:37], v[34:35], -v[36:37]
	v_ldexp_f64 v[40:41], v[24:25], 1
	v_add_f64 v[24:25], v[42:43], v[44:45]
	v_add_f64 v[36:37], v[38:39], -v[36:37]
	v_ldexp_f64 v[38:39], v[26:27], 1
	v_add_f64 v[26:27], v[24:25], -v[42:43]
	v_mul_f64 v[42:43], v[32:33], v[30:31]
	v_fma_f64 v[32:33], v[32:33], v[30:31], -v[42:43]
	v_fmac_f64_e32 v[32:33], v[28:29], v[30:31]
	v_add_f64 v[28:29], v[42:43], v[32:33]
	v_add_f64 v[30:31], v[28:29], -v[42:43]
	v_add_f64 v[30:31], v[32:33], -v[30:31]
	v_add_f64 v[32:33], v[28:29], s[14:15]
	v_add_f64 v[42:43], v[32:33], s[16:17]
	v_add_f64 v[28:29], v[28:29], -v[42:43]
	v_add_f64 v[30:31], v[30:31], s[42:43]
	v_add_f64 v[28:29], v[30:31], v[28:29]
	;; [unrolled: 1-line block ×3, first 2 shown]
	v_add_f64 v[32:33], v[32:33], -v[30:31]
	v_add_f64 v[28:29], v[28:29], v[32:33]
	v_mul_f64 v[32:33], v[24:25], v[30:31]
	v_fma_f64 v[42:43], v[24:25], v[30:31], -v[32:33]
	v_add_f64 v[26:27], v[44:45], -v[26:27]
	v_fmac_f64_e32 v[42:43], v[24:25], v[28:29]
	v_fmac_f64_e32 v[42:43], v[26:27], v[30:31]
	v_add_f64 v[24:25], v[32:33], v[42:43]
	v_add_f64 v[26:27], v[24:25], -v[32:33]
	v_add_f64 v[28:29], v[38:39], v[24:25]
	v_add_f64 v[26:27], v[42:43], -v[26:27]
	v_add_f64 v[30:31], v[28:29], -v[38:39]
	;; [unrolled: 1-line block ×3, first 2 shown]
	v_add_f64 v[26:27], v[40:41], v[26:27]
	v_add_f64 v[24:25], v[26:27], v[24:25]
	;; [unrolled: 1-line block ×3, first 2 shown]
	v_add_f64 v[28:29], v[26:27], -v[28:29]
	v_add_f64 v[24:25], v[24:25], -v[28:29]
	v_add_f64 v[28:29], v[34:35], v[26:27]
	v_add_f64 v[30:31], v[28:29], -v[34:35]
	v_add_f64 v[32:33], v[28:29], -v[30:31]
	;; [unrolled: 1-line block ×4, first 2 shown]
	v_add_f64 v[26:27], v[26:27], v[32:33]
	v_add_f64 v[30:31], v[36:37], v[24:25]
	v_add_f64 v[32:33], v[30:31], -v[36:37]
	v_add_f64 v[26:27], v[30:31], v[26:27]
	v_add_f64 v[34:35], v[30:31], -v[32:33]
	;; [unrolled: 2-line block ×3, first 2 shown]
	v_add_f64 v[24:25], v[24:25], -v[32:33]
	v_add_f64 v[28:29], v[30:31], -v[28:29]
	v_add_f64 v[24:25], v[24:25], v[34:35]
	v_add_f64 v[26:27], v[26:27], -v[28:29]
	v_add_f64 v[24:25], v[24:25], v[26:27]
	v_add_f64 v[26:27], v[30:31], v[24:25]
	v_add_f64 v[28:29], v[26:27], -v[30:31]
	v_add_f64 v[24:25], v[24:25], -v[28:29]
	v_mul_f64 v[28:29], v[22:23], v[26:27]
	v_fma_f64 v[26:27], v[22:23], v[26:27], -v[28:29]
	v_fmac_f64_e32 v[26:27], v[22:23], v[24:25]
	v_add_f64 v[24:25], v[28:29], v[26:27]
	v_cmp_class_f64_e64 vcc, v[28:29], s33
	v_add_f64 v[30:31], v[24:25], -v[28:29]
	v_add_f64 v[26:27], v[26:27], -v[30:31]
	v_cndmask_b32_e32 v25, v25, v29, vcc
	v_cndmask_b32_e32 v24, v24, v28, vcc
	v_mul_f64 v[28:29], v[24:25], s[46:47]
	v_rndne_f64_e32 v[28:29], v[28:29]
	v_fma_f64 v[30:31], s[38:39], v[28:29], v[24:25]
	v_fmac_f64_e32 v[30:31], s[48:49], v[28:29]
	v_fma_f64 v[32:33], s[50:51], v[30:31], v[14:15]
	v_fma_f64 v[32:33], v[30:31], v[32:33], s[52:53]
	v_fma_f64 v[32:33], v[30:31], v[32:33], s[54:55]
	v_fma_f64 v[32:33], v[30:31], v[32:33], s[56:57]
	v_fma_f64 v[32:33], v[30:31], v[32:33], s[58:59]
	v_fma_f64 v[32:33], v[30:31], v[32:33], s[60:61]
	v_fma_f64 v[32:33], v[30:31], v[32:33], s[62:63]
	v_fma_f64 v[32:33], v[30:31], v[32:33], s[64:65]
	v_fma_f64 v[32:33], v[30:31], v[32:33], s[66:67]
	v_fma_f64 v[32:33], v[30:31], v[32:33], 1.0
	v_cmp_neq_f64_e64 vcc, |v[24:25]|, s[44:45]
	v_fma_f64 v[30:31], v[30:31], v[32:33], 1.0
	v_cvt_i32_f64_e32 v21, v[28:29]
	v_cndmask_b32_e32 v27, 0, v27, vcc
	v_cndmask_b32_e32 v26, 0, v26, vcc
	v_ldexp_f64 v[28:29], v[30:31], v21
	v_cmp_nlt_f64_e32 vcc, s[68:69], v[24:25]
	v_cmp_ngt_f64_e64 s[0:1], s[70:71], v[24:25]
	s_xor_b64 s[2:3], s[2:3], s[4:5]
	v_cndmask_b32_e32 v21, v19, v29, vcc
	s_and_b64 vcc, s[0:1], vcc
	v_cndmask_b32_e64 v25, 0, v21, s[0:1]
	v_cndmask_b32_e32 v24, 0, v28, vcc
	v_mov_b64_e32 v[28:29], v[24:25]
	v_fmac_f64_e32 v[28:29], v[28:29], v[26:27]
	v_cmp_class_f64_e64 vcc, v[24:25], s33
	v_cmp_gt_f64_e64 s[4:5], 0, v[22:23]
	v_cmp_class_f64_e64 s[74:75], v[2:3], s33
	v_cndmask_b32_e32 v21, v28, v24, vcc
	v_cndmask_b32_e32 v28, v29, v25, vcc
	v_trunc_f64_e32 v[24:25], v[22:23]
	v_cmp_eq_f64_e32 vcc, v[24:25], v[22:23]
	v_mul_f64 v[24:25], v[22:23], 0.5
	v_trunc_f64_e32 v[26:27], v[24:25]
	v_cmp_neq_f64_e64 s[0:1], v[26:27], v[24:25]
	s_and_b64 s[0:1], vcc, s[0:1]
	v_cndmask_b32_e32 v26, 0, v21, vcc
	v_cndmask_b32_e64 v24, v16, v3, s[0:1]
	v_bfi_b32 v24, s72, v28, v24
	v_cndmask_b32_e32 v25, v20, v24, vcc
	v_cmp_gt_f64_e32 vcc, 0, v[2:3]
	s_nop 1
	v_cndmask_b32_e32 v21, v21, v26, vcc
	v_cndmask_b32_e32 v24, v24, v25, vcc
	v_cndmask_b32_e64 v25, v19, 0, s[2:3]
	v_cmp_neq_f64_e64 vcc, |v[2:3]|, 1.0
	v_cmp_eq_f64_e64 s[2:3], 0, v[2:3]
	s_xor_b64 s[4:5], s[4:5], s[2:3]
	v_cndmask_b32_e32 v25, v16, v25, vcc
	v_cmp_class_f64_e64 vcc, v[22:23], s33
	v_cndmask_b32_e64 v26, 0, v3, s[0:1]
	s_or_b64 s[0:1], s[2:3], s[74:75]
	v_cndmask_b32_e32 v24, v24, v25, vcc
	v_cndmask_b32_e64 v25, v19, 0, s[4:5]
	v_bfi_b32 v25, s72, v25, v26
	v_cndmask_b32_e64 v24, v24, v25, s[0:1]
	s_or_b64 s[0:1], s[0:1], vcc
	v_cndmask_b32_e64 v21, v21, 0, s[0:1]
	v_cmp_o_f64_e32 vcc, v[2:3], v[22:23]
	s_nop 1
	v_cndmask_b32_e32 v2, 0, v21, vcc
	v_cndmask_b32_e32 v3, v20, v24, vcc
	v_cmp_neq_f64_e32 vcc, 1.0, v[4:5]
	s_nop 1
	v_cndmask_b32_e32 v23, v16, v17, vcc
	v_cndmask_b32_e32 v22, 0, v18, vcc
	v_cmp_neq_f64_e32 vcc, 0, v[22:23]
	v_cmp_neq_f64_e64 s[2:3], v[22:23], |v[22:23]|
	s_nop 0
	v_cndmask_b32_e32 v5, v16, v5, vcc
	v_cndmask_b32_e32 v4, 0, v4, vcc
	v_frexp_mant_f64_e64 v[24:25], |v[4:5]|
	v_cmp_gt_f64_e32 vcc, s[14:15], v[24:25]
	v_frexp_exp_i32_f64_e32 v21, v[4:5]
	v_cmp_lt_f64_e64 s[4:5], |v[4:5]|, 1.0
	v_cndmask_b32_e64 v26, 0, 1, vcc
	v_ldexp_f64 v[24:25], v[24:25], v26
	v_add_f64 v[26:27], v[24:25], 1.0
	v_rcp_f64_e32 v[28:29], v[26:27]
	v_add_f64 v[32:33], v[26:27], -1.0
	v_add_f64 v[30:31], v[24:25], -1.0
	v_add_f64 v[24:25], v[24:25], -v[32:33]
	v_fma_f64 v[32:33], -v[26:27], v[28:29], 1.0
	v_fmac_f64_e32 v[28:29], v[32:33], v[28:29]
	v_fma_f64 v[32:33], -v[26:27], v[28:29], 1.0
	v_fmac_f64_e32 v[28:29], v[32:33], v[28:29]
	v_mul_f64 v[32:33], v[30:31], v[28:29]
	v_mul_f64 v[34:35], v[26:27], v[32:33]
	v_fma_f64 v[26:27], v[32:33], v[26:27], -v[34:35]
	v_fmac_f64_e32 v[26:27], v[32:33], v[24:25]
	v_add_f64 v[24:25], v[34:35], v[26:27]
	v_add_f64 v[36:37], v[30:31], -v[24:25]
	v_add_f64 v[34:35], v[24:25], -v[34:35]
	;; [unrolled: 1-line block ×5, first 2 shown]
	v_add_f64 v[24:25], v[26:27], v[24:25]
	v_add_f64 v[24:25], v[36:37], v[24:25]
	v_mul_f64 v[24:25], v[28:29], v[24:25]
	v_add_f64 v[26:27], v[32:33], v[24:25]
	v_add_f64 v[28:29], v[26:27], -v[32:33]
	v_add_f64 v[24:25], v[24:25], -v[28:29]
	v_mul_f64 v[28:29], v[26:27], v[26:27]
	v_fma_f64 v[30:31], v[26:27], v[26:27], -v[28:29]
	v_add_f64 v[32:33], v[24:25], v[24:25]
	v_fmac_f64_e32 v[30:31], v[26:27], v[32:33]
	v_add_f64 v[32:33], v[28:29], v[30:31]
	v_add_f64 v[28:29], v[32:33], -v[28:29]
	v_add_f64 v[28:29], v[30:31], -v[28:29]
	v_fma_f64 v[30:31], s[18:19], v[32:33], v[12:13]
	v_subbrev_co_u32_e32 v21, vcc, 0, v21, vcc
	v_fma_f64 v[30:31], v[32:33], v[30:31], s[20:21]
	v_fma_f64 v[30:31], v[32:33], v[30:31], s[22:23]
	v_cvt_f64_i32_e32 v[34:35], v21
	v_fma_f64 v[30:31], v[32:33], v[30:31], s[24:25]
	v_mul_f64 v[36:37], v[34:35], s[36:37]
	v_mul_f64 v[42:43], v[26:27], v[32:33]
	v_fma_f64 v[30:31], v[32:33], v[30:31], s[26:27]
	v_fma_f64 v[38:39], v[34:35], s[36:37], -v[36:37]
	v_fma_f64 v[44:45], v[32:33], v[26:27], -v[42:43]
	v_fma_f64 v[30:31], v[32:33], v[30:31], s[28:29]
	v_fmac_f64_e32 v[38:39], s[40:41], v[34:35]
	v_fmac_f64_e32 v[44:45], v[32:33], v[24:25]
	v_fma_f64 v[30:31], v[32:33], v[30:31], s[30:31]
	v_add_f64 v[34:35], v[36:37], v[38:39]
	v_fmac_f64_e32 v[44:45], v[28:29], v[26:27]
	v_fma_f64 v[30:31], v[32:33], v[30:31], s[34:35]
	v_add_f64 v[36:37], v[34:35], -v[36:37]
	v_ldexp_f64 v[40:41], v[24:25], 1
	v_add_f64 v[24:25], v[42:43], v[44:45]
	v_add_f64 v[36:37], v[38:39], -v[36:37]
	v_ldexp_f64 v[38:39], v[26:27], 1
	v_add_f64 v[26:27], v[24:25], -v[42:43]
	v_mul_f64 v[42:43], v[32:33], v[30:31]
	v_fma_f64 v[32:33], v[32:33], v[30:31], -v[42:43]
	v_fmac_f64_e32 v[32:33], v[28:29], v[30:31]
	v_add_f64 v[28:29], v[42:43], v[32:33]
	v_add_f64 v[30:31], v[28:29], -v[42:43]
	v_add_f64 v[30:31], v[32:33], -v[30:31]
	v_add_f64 v[32:33], v[28:29], s[14:15]
	v_add_f64 v[42:43], v[32:33], s[16:17]
	v_add_f64 v[28:29], v[28:29], -v[42:43]
	v_add_f64 v[30:31], v[30:31], s[42:43]
	v_add_f64 v[28:29], v[30:31], v[28:29]
	;; [unrolled: 1-line block ×3, first 2 shown]
	v_add_f64 v[32:33], v[32:33], -v[30:31]
	v_add_f64 v[28:29], v[28:29], v[32:33]
	v_mul_f64 v[32:33], v[24:25], v[30:31]
	v_fma_f64 v[42:43], v[24:25], v[30:31], -v[32:33]
	v_add_f64 v[26:27], v[44:45], -v[26:27]
	v_fmac_f64_e32 v[42:43], v[24:25], v[28:29]
	v_fmac_f64_e32 v[42:43], v[26:27], v[30:31]
	v_add_f64 v[24:25], v[32:33], v[42:43]
	v_add_f64 v[26:27], v[24:25], -v[32:33]
	v_add_f64 v[28:29], v[38:39], v[24:25]
	v_add_f64 v[26:27], v[42:43], -v[26:27]
	v_add_f64 v[30:31], v[28:29], -v[38:39]
	;; [unrolled: 1-line block ×3, first 2 shown]
	v_add_f64 v[26:27], v[40:41], v[26:27]
	v_add_f64 v[24:25], v[26:27], v[24:25]
	;; [unrolled: 1-line block ×3, first 2 shown]
	v_add_f64 v[28:29], v[26:27], -v[28:29]
	v_add_f64 v[24:25], v[24:25], -v[28:29]
	v_add_f64 v[28:29], v[34:35], v[26:27]
	v_add_f64 v[30:31], v[28:29], -v[34:35]
	v_add_f64 v[32:33], v[28:29], -v[30:31]
	;; [unrolled: 1-line block ×4, first 2 shown]
	v_add_f64 v[26:27], v[26:27], v[32:33]
	v_add_f64 v[30:31], v[36:37], v[24:25]
	v_add_f64 v[32:33], v[30:31], -v[36:37]
	v_add_f64 v[26:27], v[30:31], v[26:27]
	v_add_f64 v[34:35], v[30:31], -v[32:33]
	;; [unrolled: 2-line block ×3, first 2 shown]
	v_add_f64 v[24:25], v[24:25], -v[32:33]
	v_add_f64 v[28:29], v[30:31], -v[28:29]
	v_add_f64 v[24:25], v[24:25], v[34:35]
	v_add_f64 v[26:27], v[26:27], -v[28:29]
	v_add_f64 v[24:25], v[24:25], v[26:27]
	v_add_f64 v[26:27], v[30:31], v[24:25]
	v_add_f64 v[28:29], v[26:27], -v[30:31]
	v_add_f64 v[24:25], v[24:25], -v[28:29]
	v_mul_f64 v[28:29], v[22:23], v[26:27]
	v_fma_f64 v[26:27], v[22:23], v[26:27], -v[28:29]
	v_fmac_f64_e32 v[26:27], v[22:23], v[24:25]
	v_add_f64 v[24:25], v[28:29], v[26:27]
	v_cmp_class_f64_e64 vcc, v[28:29], s33
	v_add_f64 v[30:31], v[24:25], -v[28:29]
	v_add_f64 v[26:27], v[26:27], -v[30:31]
	v_cndmask_b32_e32 v25, v25, v29, vcc
	v_cndmask_b32_e32 v24, v24, v28, vcc
	v_mul_f64 v[28:29], v[24:25], s[46:47]
	v_rndne_f64_e32 v[28:29], v[28:29]
	v_fma_f64 v[30:31], s[38:39], v[28:29], v[24:25]
	v_fmac_f64_e32 v[30:31], s[48:49], v[28:29]
	v_fma_f64 v[32:33], s[50:51], v[30:31], v[14:15]
	v_fma_f64 v[32:33], v[30:31], v[32:33], s[52:53]
	;; [unrolled: 1-line block ×9, first 2 shown]
	v_fma_f64 v[32:33], v[30:31], v[32:33], 1.0
	v_cmp_neq_f64_e64 vcc, |v[24:25]|, s[44:45]
	v_fma_f64 v[30:31], v[30:31], v[32:33], 1.0
	v_cvt_i32_f64_e32 v21, v[28:29]
	v_cndmask_b32_e32 v27, 0, v27, vcc
	v_cndmask_b32_e32 v26, 0, v26, vcc
	v_ldexp_f64 v[28:29], v[30:31], v21
	v_cmp_nlt_f64_e32 vcc, s[68:69], v[24:25]
	v_cmp_ngt_f64_e64 s[0:1], s[70:71], v[24:25]
	s_xor_b64 s[2:3], s[2:3], s[4:5]
	v_cndmask_b32_e32 v21, v19, v29, vcc
	s_and_b64 vcc, s[0:1], vcc
	v_cndmask_b32_e64 v25, 0, v21, s[0:1]
	v_cndmask_b32_e32 v24, 0, v28, vcc
	v_mov_b64_e32 v[28:29], v[24:25]
	v_fmac_f64_e32 v[28:29], v[28:29], v[26:27]
	v_cmp_class_f64_e64 vcc, v[24:25], s33
	v_cmp_gt_f64_e64 s[4:5], 0, v[22:23]
	v_cmp_class_f64_e64 s[74:75], v[4:5], s33
	v_cndmask_b32_e32 v21, v28, v24, vcc
	v_cndmask_b32_e32 v28, v29, v25, vcc
	v_trunc_f64_e32 v[24:25], v[22:23]
	v_cmp_eq_f64_e32 vcc, v[24:25], v[22:23]
	v_mul_f64 v[24:25], v[22:23], 0.5
	v_trunc_f64_e32 v[26:27], v[24:25]
	v_cmp_neq_f64_e64 s[0:1], v[26:27], v[24:25]
	s_and_b64 s[0:1], vcc, s[0:1]
	v_cndmask_b32_e32 v26, 0, v21, vcc
	v_cndmask_b32_e64 v24, v16, v5, s[0:1]
	v_bfi_b32 v24, s72, v28, v24
	v_cndmask_b32_e32 v25, v20, v24, vcc
	v_cmp_gt_f64_e32 vcc, 0, v[4:5]
	s_nop 1
	v_cndmask_b32_e32 v21, v21, v26, vcc
	v_cndmask_b32_e32 v24, v24, v25, vcc
	v_cndmask_b32_e64 v25, v19, 0, s[2:3]
	v_cmp_neq_f64_e64 vcc, |v[4:5]|, 1.0
	v_cmp_eq_f64_e64 s[2:3], 0, v[4:5]
	s_xor_b64 s[4:5], s[4:5], s[2:3]
	v_cndmask_b32_e32 v25, v16, v25, vcc
	v_cmp_class_f64_e64 vcc, v[22:23], s33
	v_cndmask_b32_e64 v26, 0, v5, s[0:1]
	s_or_b64 s[0:1], s[2:3], s[74:75]
	v_cndmask_b32_e32 v24, v24, v25, vcc
	v_cndmask_b32_e64 v25, v19, 0, s[4:5]
	v_bfi_b32 v25, s72, v25, v26
	v_cndmask_b32_e64 v24, v24, v25, s[0:1]
	s_or_b64 s[0:1], s[0:1], vcc
	v_cndmask_b32_e64 v21, v21, 0, s[0:1]
	v_cmp_o_f64_e32 vcc, v[4:5], v[22:23]
	s_nop 1
	v_cndmask_b32_e32 v4, 0, v21, vcc
	v_cndmask_b32_e32 v5, v20, v24, vcc
	global_store_dwordx4 v[10:11], v[6:9], off offset:-16
	global_store_dwordx4 v[10:11], v[2:5], off
	v_lshl_add_u64 v[10:11], v[10:11], 0, s[10:11]
	s_nop 0
	v_lshlrev_b64 v[2:3], 2, v[0:1]
	v_cmp_le_i64_e32 vcc, s[8:9], v[2:3]
	s_or_b64 s[12:13], vcc, s[12:13]
	s_andn2_b64 exec, exec, s[12:13]
	s_cbranch_execnz .LBB53_24
.LBB53_25:
	s_endpgm
	.section	.rodata,"a",@progbits
	.p2align	6, 0x0
	.amdhsa_kernel _ZN2at6native12_GLOBAL__N_125multi_tensor_apply_kernelINS1_18TensorListMetadataILi1EEENS1_21BinaryOpScalarFunctorIdLi1ELi1ELi0EEEJNS1_13power_functorIdEEdEEEvT_T0_DpT1_
		.amdhsa_group_segment_fixed_size 0
		.amdhsa_private_segment_fixed_size 0
		.amdhsa_kernarg_size 3640
		.amdhsa_user_sgpr_count 2
		.amdhsa_user_sgpr_dispatch_ptr 0
		.amdhsa_user_sgpr_queue_ptr 0
		.amdhsa_user_sgpr_kernarg_segment_ptr 1
		.amdhsa_user_sgpr_dispatch_id 0
		.amdhsa_user_sgpr_kernarg_preload_length 0
		.amdhsa_user_sgpr_kernarg_preload_offset 0
		.amdhsa_user_sgpr_private_segment_size 0
		.amdhsa_uses_dynamic_stack 0
		.amdhsa_enable_private_segment 0
		.amdhsa_system_sgpr_workgroup_id_x 1
		.amdhsa_system_sgpr_workgroup_id_y 0
		.amdhsa_system_sgpr_workgroup_id_z 0
		.amdhsa_system_sgpr_workgroup_info 0
		.amdhsa_system_vgpr_workitem_id 0
		.amdhsa_next_free_vgpr 86
		.amdhsa_next_free_sgpr 76
		.amdhsa_accum_offset 88
		.amdhsa_reserve_vcc 1
		.amdhsa_float_round_mode_32 0
		.amdhsa_float_round_mode_16_64 0
		.amdhsa_float_denorm_mode_32 3
		.amdhsa_float_denorm_mode_16_64 3
		.amdhsa_dx10_clamp 1
		.amdhsa_ieee_mode 1
		.amdhsa_fp16_overflow 0
		.amdhsa_tg_split 0
		.amdhsa_exception_fp_ieee_invalid_op 0
		.amdhsa_exception_fp_denorm_src 0
		.amdhsa_exception_fp_ieee_div_zero 0
		.amdhsa_exception_fp_ieee_overflow 0
		.amdhsa_exception_fp_ieee_underflow 0
		.amdhsa_exception_fp_ieee_inexact 0
		.amdhsa_exception_int_div_zero 0
	.end_amdhsa_kernel
	.section	.text._ZN2at6native12_GLOBAL__N_125multi_tensor_apply_kernelINS1_18TensorListMetadataILi1EEENS1_21BinaryOpScalarFunctorIdLi1ELi1ELi0EEEJNS1_13power_functorIdEEdEEEvT_T0_DpT1_,"axG",@progbits,_ZN2at6native12_GLOBAL__N_125multi_tensor_apply_kernelINS1_18TensorListMetadataILi1EEENS1_21BinaryOpScalarFunctorIdLi1ELi1ELi0EEEJNS1_13power_functorIdEEdEEEvT_T0_DpT1_,comdat
.Lfunc_end53:
	.size	_ZN2at6native12_GLOBAL__N_125multi_tensor_apply_kernelINS1_18TensorListMetadataILi1EEENS1_21BinaryOpScalarFunctorIdLi1ELi1ELi0EEEJNS1_13power_functorIdEEdEEEvT_T0_DpT1_, .Lfunc_end53-_ZN2at6native12_GLOBAL__N_125multi_tensor_apply_kernelINS1_18TensorListMetadataILi1EEENS1_21BinaryOpScalarFunctorIdLi1ELi1ELi0EEEJNS1_13power_functorIdEEdEEEvT_T0_DpT1_
                                        ; -- End function
	.set _ZN2at6native12_GLOBAL__N_125multi_tensor_apply_kernelINS1_18TensorListMetadataILi1EEENS1_21BinaryOpScalarFunctorIdLi1ELi1ELi0EEEJNS1_13power_functorIdEEdEEEvT_T0_DpT1_.num_vgpr, 86
	.set _ZN2at6native12_GLOBAL__N_125multi_tensor_apply_kernelINS1_18TensorListMetadataILi1EEENS1_21BinaryOpScalarFunctorIdLi1ELi1ELi0EEEJNS1_13power_functorIdEEdEEEvT_T0_DpT1_.num_agpr, 0
	.set _ZN2at6native12_GLOBAL__N_125multi_tensor_apply_kernelINS1_18TensorListMetadataILi1EEENS1_21BinaryOpScalarFunctorIdLi1ELi1ELi0EEEJNS1_13power_functorIdEEdEEEvT_T0_DpT1_.numbered_sgpr, 76
	.set _ZN2at6native12_GLOBAL__N_125multi_tensor_apply_kernelINS1_18TensorListMetadataILi1EEENS1_21BinaryOpScalarFunctorIdLi1ELi1ELi0EEEJNS1_13power_functorIdEEdEEEvT_T0_DpT1_.num_named_barrier, 0
	.set _ZN2at6native12_GLOBAL__N_125multi_tensor_apply_kernelINS1_18TensorListMetadataILi1EEENS1_21BinaryOpScalarFunctorIdLi1ELi1ELi0EEEJNS1_13power_functorIdEEdEEEvT_T0_DpT1_.private_seg_size, 0
	.set _ZN2at6native12_GLOBAL__N_125multi_tensor_apply_kernelINS1_18TensorListMetadataILi1EEENS1_21BinaryOpScalarFunctorIdLi1ELi1ELi0EEEJNS1_13power_functorIdEEdEEEvT_T0_DpT1_.uses_vcc, 1
	.set _ZN2at6native12_GLOBAL__N_125multi_tensor_apply_kernelINS1_18TensorListMetadataILi1EEENS1_21BinaryOpScalarFunctorIdLi1ELi1ELi0EEEJNS1_13power_functorIdEEdEEEvT_T0_DpT1_.uses_flat_scratch, 0
	.set _ZN2at6native12_GLOBAL__N_125multi_tensor_apply_kernelINS1_18TensorListMetadataILi1EEENS1_21BinaryOpScalarFunctorIdLi1ELi1ELi0EEEJNS1_13power_functorIdEEdEEEvT_T0_DpT1_.has_dyn_sized_stack, 0
	.set _ZN2at6native12_GLOBAL__N_125multi_tensor_apply_kernelINS1_18TensorListMetadataILi1EEENS1_21BinaryOpScalarFunctorIdLi1ELi1ELi0EEEJNS1_13power_functorIdEEdEEEvT_T0_DpT1_.has_recursion, 0
	.set _ZN2at6native12_GLOBAL__N_125multi_tensor_apply_kernelINS1_18TensorListMetadataILi1EEENS1_21BinaryOpScalarFunctorIdLi1ELi1ELi0EEEJNS1_13power_functorIdEEdEEEvT_T0_DpT1_.has_indirect_call, 0
	.section	.AMDGPU.csdata,"",@progbits
; Kernel info:
; codeLenInByte = 13016
; TotalNumSgprs: 82
; NumVgprs: 86
; NumAgprs: 0
; TotalNumVgprs: 86
; ScratchSize: 0
; MemoryBound: 0
; FloatMode: 240
; IeeeMode: 1
; LDSByteSize: 0 bytes/workgroup (compile time only)
; SGPRBlocks: 10
; VGPRBlocks: 10
; NumSGPRsForWavesPerEU: 82
; NumVGPRsForWavesPerEU: 86
; AccumOffset: 88
; Occupancy: 5
; WaveLimiterHint : 0
; COMPUTE_PGM_RSRC2:SCRATCH_EN: 0
; COMPUTE_PGM_RSRC2:USER_SGPR: 2
; COMPUTE_PGM_RSRC2:TRAP_HANDLER: 0
; COMPUTE_PGM_RSRC2:TGID_X_EN: 1
; COMPUTE_PGM_RSRC2:TGID_Y_EN: 0
; COMPUTE_PGM_RSRC2:TGID_Z_EN: 0
; COMPUTE_PGM_RSRC2:TIDIG_COMP_CNT: 0
; COMPUTE_PGM_RSRC3_GFX90A:ACCUM_OFFSET: 21
; COMPUTE_PGM_RSRC3_GFX90A:TG_SPLIT: 0
	.section	.text._ZN2at6native12_GLOBAL__N_125multi_tensor_apply_kernelINS1_18TensorListMetadataILi1EEENS1_21BinaryOpScalarFunctorIfLi1ELi1ELi0EEEJNS1_13power_functorIfEEfEEEvT_T0_DpT1_,"axG",@progbits,_ZN2at6native12_GLOBAL__N_125multi_tensor_apply_kernelINS1_18TensorListMetadataILi1EEENS1_21BinaryOpScalarFunctorIfLi1ELi1ELi0EEEJNS1_13power_functorIfEEfEEEvT_T0_DpT1_,comdat
	.globl	_ZN2at6native12_GLOBAL__N_125multi_tensor_apply_kernelINS1_18TensorListMetadataILi1EEENS1_21BinaryOpScalarFunctorIfLi1ELi1ELi0EEEJNS1_13power_functorIfEEfEEEvT_T0_DpT1_ ; -- Begin function _ZN2at6native12_GLOBAL__N_125multi_tensor_apply_kernelINS1_18TensorListMetadataILi1EEENS1_21BinaryOpScalarFunctorIfLi1ELi1ELi0EEEJNS1_13power_functorIfEEfEEEvT_T0_DpT1_
	.p2align	8
	.type	_ZN2at6native12_GLOBAL__N_125multi_tensor_apply_kernelINS1_18TensorListMetadataILi1EEENS1_21BinaryOpScalarFunctorIfLi1ELi1ELi0EEEJNS1_13power_functorIfEEfEEEvT_T0_DpT1_,@function
_ZN2at6native12_GLOBAL__N_125multi_tensor_apply_kernelINS1_18TensorListMetadataILi1EEENS1_21BinaryOpScalarFunctorIfLi1ELi1ELi0EEEJNS1_13power_functorIfEEfEEEvT_T0_DpT1_: ; @_ZN2at6native12_GLOBAL__N_125multi_tensor_apply_kernelINS1_18TensorListMetadataILi1EEENS1_21BinaryOpScalarFunctorIfLi1ELi1ELi0EEEJNS1_13power_functorIfEEfEEEvT_T0_DpT1_
; %bb.0:
	v_mov_b32_e32 v1, s2
	global_load_ubyte v1, v1, s[0:1] offset:1760
	s_add_u32 s3, s0, s2
	s_mul_hi_u32 s4, s2, 3
	s_mul_i32 s2, s2, 3
	s_addc_u32 s5, s1, 0
	s_add_u32 s2, s3, s2
	s_addc_u32 s3, s5, s4
	s_load_dword s2, s[2:3], 0x820
	s_mov_b32 s7, 0
	s_waitcnt vmcnt(0)
	v_readfirstlane_b32 s3, v1
	s_lshl_b32 s3, s3, 3
	s_load_dword s33, s[0:1], 0xd2c
	s_load_dwordx2 s[4:5], s[0:1], s3 offset:0x370
	s_load_dwordx2 s[16:17], s[0:1], s3 offset:0x0
	s_waitcnt lgkmcnt(0)
	s_ashr_i32 s3, s2, 31
	s_lshl_b64 s[18:19], s[2:3], 18
	s_lshl_b64 s[2:3], s[2:3], 16
	s_and_b32 s6, s16, 15
	s_sub_u32 s20, s4, s2
	s_subb_u32 s21, s5, s3
	s_and_b32 s2, s4, 3
	s_mov_b32 s3, s7
	s_or_b64 s[2:3], s[6:7], s[2:3]
	s_cmp_eq_u64 s[2:3], 0
	s_cbranch_scc1 .LBB54_21
; %bb.1:
	v_cmp_lt_i64_e64 s[2:3], s[20:21], 1
	s_and_b64 vcc, exec, s[2:3]
	s_cbranch_vccnz .LBB54_20
; %bb.2:
	s_load_dword s2, s[0:1], 0xd3c
	v_mov_b64_e32 v[2:3], 0x10000
	v_cmp_lt_i64_e32 vcc, s[20:21], v[2:3]
	s_and_b64 s[4:5], vcc, exec
	s_cselect_b32 s23, s21, 0
	s_cselect_b32 s22, s20, 0x10000
	s_waitcnt lgkmcnt(0)
	s_and_b32 s2, s2, 0xffff
	v_cmp_lt_u64_e32 vcc, s[20:21], v[2:3]
	s_and_b64 s[4:5], vcc, exec
	s_mov_b32 s3, 0
	v_mov_b32_e32 v1, 0
	s_cselect_b32 s25, s21, 0
	s_cselect_b32 s24, s20, 0x10000
	s_lshl_b32 s4, s2, 1
	s_lshl_b32 s42, s2, 2
	s_add_u32 s8, s16, s18
	v_lshl_add_u64 v[8:9], v[0:1], 0, s[2:3]
	s_mov_b32 s5, s3
	s_mul_i32 s6, s2, 3
	s_mov_b32 s7, s3
	v_lshlrev_b32_e32 v2, 2, v0
	v_mov_b32_e32 v3, v1
	s_addc_u32 s9, s17, s19
	v_lshlrev_b32_e32 v10, 2, v8
	v_mov_b32_e32 v11, v1
	v_lshl_add_u64 v[2:3], s[8:9], 0, v[2:3]
	s_lshl_b32 s26, s2, 4
	s_mov_b32 s27, s3
	s_mul_i32 s28, s2, 12
	s_mov_b32 s29, s3
	v_lshl_add_u64 v[4:5], s[6:7], 0, v[0:1]
	s_lshl_b32 s30, s2, 3
	s_mov_b32 s31, s3
	v_lshl_add_u64 v[6:7], s[4:5], 0, v[0:1]
	v_lshl_add_u64 v[10:11], s[8:9], 0, v[10:11]
	s_mov_b64 s[34:35], 0
	s_movk_i32 s43, 0x204
	s_mov_b32 s44, 0x7f800000
	s_brev_b32 s45, -2
	s_mov_b32 s46, 0x3f2aaaab
	s_mov_b32 s47, 0x3f317218
	v_mov_b32_e32 v16, 0x3e91f4c4
	s_mov_b32 s48, 0x42b17218
	s_mov_b32 s49, 0x3fb8aa3b
	;; [unrolled: 1-line block ×3, first 2 shown]
	v_mov_b32_e32 v17, 0x7f800000
	v_mov_b32_e32 v18, 0x37000000
	;; [unrolled: 1-line block ×3, first 2 shown]
                                        ; implicit-def: $vgpr12
	s_branch .LBB54_4
.LBB54_3:                               ;   in Loop: Header=BB54_4 Depth=1
	s_or_b64 exec, exec, s[6:7]
	s_add_u32 s34, s34, s42
	s_addc_u32 s35, s35, 0
	v_mov_b64_e32 v[12:13], s[22:23]
	v_cmp_lt_i64_e32 vcc, s[34:35], v[12:13]
	v_lshl_add_u64 v[2:3], v[2:3], 0, s[26:27]
	v_lshl_add_u64 v[10:11], v[10:11], 0, s[26:27]
	s_cbranch_vccz .LBB54_20
.LBB54_4:                               ; =>This Inner Loop Header: Depth=1
	v_lshl_add_u64 v[12:13], v[0:1], 0, s[34:35]
	v_cmp_gt_u64_e64 s[6:7], s[24:25], v[12:13]
	s_waitcnt vmcnt(0)
	v_mov_b32_e32 v23, 0
	s_and_saveexec_b64 s[2:3], s[6:7]
	s_cbranch_execz .LBB54_6
; %bb.5:                                ;   in Loop: Header=BB54_4 Depth=1
	global_load_dword v23, v[2:3], off
.LBB54_6:                               ;   in Loop: Header=BB54_4 Depth=1
	s_or_b64 exec, exec, s[2:3]
	v_lshl_add_u64 v[12:13], v[8:9], 0, s[34:35]
	v_cmp_gt_u64_e64 s[4:5], s[24:25], v[12:13]
	v_mov_b32_e32 v21, 0
	v_mov_b32_e32 v22, 0
	s_and_saveexec_b64 s[2:3], s[4:5]
	s_cbranch_execz .LBB54_8
; %bb.7:                                ;   in Loop: Header=BB54_4 Depth=1
	global_load_dword v22, v[10:11], off
.LBB54_8:                               ;   in Loop: Header=BB54_4 Depth=1
	s_or_b64 exec, exec, s[2:3]
	v_lshl_add_u64 v[12:13], v[6:7], 0, s[34:35]
	v_cmp_gt_u64_e64 s[2:3], s[24:25], v[12:13]
	v_lshl_add_u64 v[14:15], v[2:3], 0, s[30:31]
	s_and_saveexec_b64 s[8:9], s[2:3]
	s_cbranch_execz .LBB54_10
; %bb.9:                                ;   in Loop: Header=BB54_4 Depth=1
	global_load_dword v21, v[14:15], off
.LBB54_10:                              ;   in Loop: Header=BB54_4 Depth=1
	s_or_b64 exec, exec, s[8:9]
	v_lshl_add_u64 v[12:13], v[4:5], 0, s[34:35]
	v_cmp_gt_u64_e32 vcc, s[24:25], v[12:13]
	v_mov_b32_e32 v20, 0
	v_lshl_add_u64 v[12:13], v[2:3], 0, s[28:29]
	s_and_saveexec_b64 s[8:9], vcc
	s_cbranch_execnz .LBB54_15
; %bb.11:                               ;   in Loop: Header=BB54_4 Depth=1
	s_or_b64 exec, exec, s[8:9]
	s_and_saveexec_b64 s[36:37], s[6:7]
	s_cbranch_execnz .LBB54_16
.LBB54_12:                              ;   in Loop: Header=BB54_4 Depth=1
	s_or_b64 exec, exec, s[36:37]
	s_and_saveexec_b64 s[10:11], s[4:5]
	s_cbranch_execnz .LBB54_17
.LBB54_13:                              ;   in Loop: Header=BB54_4 Depth=1
	s_or_b64 exec, exec, s[10:11]
	s_and_saveexec_b64 s[8:9], s[2:3]
	s_cbranch_execnz .LBB54_18
.LBB54_14:                              ;   in Loop: Header=BB54_4 Depth=1
	s_or_b64 exec, exec, s[8:9]
	s_and_saveexec_b64 s[6:7], vcc
	s_cbranch_execz .LBB54_3
	s_branch .LBB54_19
.LBB54_15:                              ;   in Loop: Header=BB54_4 Depth=1
	global_load_dword v20, v[12:13], off
	s_or_b64 exec, exec, s[8:9]
	s_and_saveexec_b64 s[36:37], s[6:7]
	s_cbranch_execz .LBB54_12
.LBB54_16:                              ;   in Loop: Header=BB54_4 Depth=1
	v_mov_b32_e32 v24, s33
	s_waitcnt vmcnt(0)
	v_cmp_neq_f32_e64 s[6:7], 1.0, v23
	s_nop 1
	v_cndmask_b32_e64 v38, 1.0, v24, s[6:7]
	v_cmp_neq_f32_e64 s[6:7], 0, v38
	v_cmp_gt_f32_e64 s[8:9], 0, v38
	v_trunc_f32_e32 v24, v38
	v_cndmask_b32_e64 v23, 1.0, v23, s[6:7]
	v_cmp_eq_f32_e64 s[6:7], 0, v23
	s_xor_b64 s[8:9], s[8:9], s[6:7]
	v_cndmask_b32_e64 v26, v17, 0, s[8:9]
	v_cmp_eq_f32_e64 s[8:9], v24, v38
	v_mul_f32_e32 v24, 0.5, v38
	v_trunc_f32_e32 v25, v24
	v_cmp_neq_f32_e64 s[10:11], v25, v24
	v_cvt_f64_f32_e64 v[24:25], |v23|
	v_frexp_exp_i32_f64_e32 v24, v[24:25]
	v_frexp_mant_f32_e64 v25, |v23|
	s_and_b64 s[10:11], s[8:9], s[10:11]
	v_cmp_gt_f32_e64 s[12:13], s46, v25
	v_cndmask_b32_e64 v27, 0, v23, s[10:11]
	v_bfi_b32 v39, s45, v26, v27
	v_subbrev_co_u32_e64 v24, s[14:15], 0, v24, s[12:13]
	v_cvt_f32_i32_e32 v28, v24
	v_cndmask_b32_e64 v27, 1.0, 2.0, s[12:13]
	v_mul_f32_e32 v25, v25, v27
	v_add_f32_e32 v27, 1.0, v25
	v_rcp_f32_e32 v36, v27
	v_mul_f32_e32 v24, 0x3f317218, v28
	v_fma_f32 v26, v28, s47, -v24
	v_fmac_f32_e32 v26, 0xb102e308, v28
	v_add_f32_e32 v28, -1.0, v27
	v_add_f32_e32 v29, -1.0, v25
	v_sub_f32_e32 v28, v25, v28
	v_mul_f32_e32 v25, v29, v36
	v_mul_f32_e32 v30, v27, v25
	v_fma_f32 v32, v25, v27, -v30
	v_fmac_f32_e32 v32, v25, v28
	v_add_f32_e32 v28, v30, v32
	v_sub_f32_e32 v31, v29, v28
	v_pk_add_f32 v[34:35], v[28:29], v[30:31] neg_lo:[0,1] neg_hi:[0,1]
	v_mov_b32_e32 v33, v28
	v_pk_add_f32 v[28:29], v[34:35], v[32:33] neg_lo:[0,1] neg_hi:[0,1]
	v_cmp_neq_f32_e64 s[14:15], v38, |v38|
	v_add_f32_e32 v27, v28, v29
	v_add_f32_e32 v27, v31, v27
	v_mul_f32_e32 v29, v36, v27
	v_add_f32_e32 v28, v25, v29
	v_sub_f32_e32 v25, v28, v25
	v_mul_f32_e32 v31, v28, v28
	v_sub_f32_e32 v40, v29, v25
	v_add_f32_e32 v25, v40, v40
	v_fma_f32 v29, v28, v28, -v31
	v_fmac_f32_e32 v29, v28, v25
	v_add_f32_e32 v30, v31, v29
	v_sub_f32_e32 v25, v30, v31
	v_sub_f32_e32 v25, v29, v25
	v_fmamk_f32 v29, v30, 0x3e76c4e1, v16
	v_fmaak_f32 v29, v30, v29, 0x3ecccdef
	v_mul_f32_e32 v31, v30, v29
	v_fma_f32 v32, v30, v29, -v31
	v_fmac_f32_e32 v32, v25, v29
	v_add_f32_e32 v34, v31, v32
	v_add_f32_e32 v33, 0x3f2aaaaa, v34
	v_sub_f32_e32 v29, v34, v31
	v_sub_f32_e32 v29, v32, v29
	v_add_f32_e32 v31, 0xbf2aaaaa, v33
	v_add_f32_e32 v29, 0x31739010, v29
	v_sub_f32_e32 v31, v34, v31
	v_pk_mul_f32 v[34:35], v[28:29], v[30:31]
	v_pk_add_f32 v[36:37], v[28:29], v[30:31]
	v_fma_f32 v32, v30, v28, -v34
	v_fmac_f32_e32 v32, v30, v40
	v_mov_b32_e32 v35, v37
	v_fmac_f32_e32 v32, v25, v28
	v_ldexp_f32 v27, v28, 1
	v_pk_add_f32 v[28:29], v[34:35], v[32:33]
	v_ldexp_f32 v36, v40, 1
	v_pk_mul_f32 v[30:31], v[28:29], v[28:29] op_sel:[0,1] op_sel_hi:[1,0]
	v_sub_f32_e32 v25, v28, v34
	v_sub_f32_e32 v31, v33, v29
	v_sub_f32_e32 v25, v32, v25
	v_add_f32_e32 v31, v37, v31
	v_fma_f32 v32, v28, v29, -v30
	v_fmac_f32_e32 v32, v28, v31
	v_fmac_f32_e32 v32, v25, v29
	v_add_f32_e32 v25, v30, v32
	v_pk_add_f32 v[28:29], v[24:25], v[26:27]
	v_mov_b32_e32 v34, v25
	v_mov_b32_e32 v35, v29
	;; [unrolled: 1-line block ×3, first 2 shown]
	v_pk_add_f32 v[30:31], v[34:35], v[30:31] neg_lo:[0,1] neg_hi:[0,1]
	v_mov_b32_e32 v33, v25
	v_pk_add_f32 v[30:31], v[32:33], v[30:31] neg_lo:[0,1] neg_hi:[0,1]
	v_mov_b32_e32 v27, v28
	v_add_f32_e32 v25, v36, v30
	v_add_f32_e32 v25, v25, v31
	v_pk_add_f32 v[30:31], v[28:29], v[24:25] neg_lo:[0,1] neg_hi:[0,1]
	v_pk_add_f32 v[32:33], v[28:29], v[24:25]
	v_mov_b32_e32 v24, v25
	v_mov_b32_e32 v31, v33
	v_pk_add_f32 v[34:35], v[26:27], v[30:31] neg_lo:[0,1] neg_hi:[0,1]
	v_pk_add_f32 v[26:27], v[26:27], v[30:31]
	v_mov_b32_e32 v25, v28
	v_pk_add_f32 v[30:31], v[26:27], v[28:29] op_sel:[1,0] op_sel_hi:[0,1] neg_lo:[0,1] neg_hi:[0,1]
	v_pk_add_f32 v[36:37], v[32:33], v[30:31] op_sel_hi:[1,0] neg_lo:[0,1] neg_hi:[0,1]
	v_mov_b32_e32 v32, v33
	v_mov_b32_e32 v33, v27
	v_pk_mov_b32 v[30:31], v[28:29], v[30:31] op_sel:[1,0]
	v_mov_b32_e32 v36, v34
	v_pk_add_f32 v[30:31], v[32:33], v[30:31] neg_lo:[0,1] neg_hi:[0,1]
	v_mov_b32_e32 v35, v27
	v_pk_add_f32 v[24:25], v[24:25], v[30:31] neg_lo:[0,1] neg_hi:[0,1]
	v_cmp_lt_f32_e64 s[40:41], |v23|, 1.0
	v_pk_add_f32 v[28:29], v[36:37], v[24:25]
	v_cmp_class_f32_e64 s[38:39], v23, s43
	v_pk_add_f32 v[30:31], v[28:29], v[28:29] op_sel:[0,1] op_sel_hi:[1,0]
	s_or_b64 s[6:7], s[6:7], s[38:39]
	v_pk_add_f32 v[26:27], v[26:27], v[30:31] op_sel:[1,0] op_sel_hi:[0,1]
	v_mov_b32_e32 v29, v26
	v_pk_add_f32 v[32:33], v[28:29], v[34:35] neg_lo:[0,1] neg_hi:[0,1]
	v_mov_b32_e32 v25, v30
	v_sub_f32_e32 v27, v28, v32
	v_pk_add_f32 v[24:25], v[24:25], v[32:33] neg_lo:[0,1] neg_hi:[0,1]
	v_sub_f32_e32 v27, v34, v27
	v_add_f32_e32 v24, v24, v27
	v_add_f32_e32 v24, v24, v25
	;; [unrolled: 1-line block ×3, first 2 shown]
	v_mul_f32_e32 v27, v38, v25
	v_sub_f32_e32 v26, v25, v26
	v_sub_f32_e32 v24, v24, v26
	v_fma_f32 v25, v38, v25, -v27
	v_fmac_f32_e32 v25, v38, v24
	v_add_f32_e32 v24, v27, v25
	v_cmp_class_f32_e64 s[12:13], v27, s43
	s_nop 1
	v_cndmask_b32_e64 v26, v24, v27, s[12:13]
	v_cmp_eq_f32_e64 s[12:13], s48, v26
	v_sub_f32_e32 v24, v24, v27
	v_sub_f32_e32 v24, v25, v24
	v_cndmask_b32_e64 v28, 0, v18, s[12:13]
	v_sub_f32_e32 v29, v26, v28
	v_mul_f32_e32 v30, 0x3fb8aa3b, v29
	v_fma_f32 v31, v29, s49, -v30
	v_rndne_f32_e32 v32, v30
	v_fmac_f32_e32 v31, 0x32a5705f, v29
	v_sub_f32_e32 v30, v30, v32
	v_add_f32_e32 v30, v30, v31
	v_exp_f32_e32 v30, v30
	v_cvt_i32_f32_e32 v31, v32
	s_xor_b64 s[12:13], s[14:15], s[40:41]
	v_cndmask_b32_e64 v32, v17, 0, s[12:13]
	v_cmp_neq_f32_e64 s[12:13], |v23|, 1.0
	v_ldexp_f32 v30, v30, v31
	v_cndmask_b32_e64 v25, 1.0, v23, s[10:11]
	v_cndmask_b32_e64 v32, 1.0, v32, s[12:13]
	v_cmp_ngt_f32_e64 s[12:13], s50, v29
	s_nop 1
	v_cndmask_b32_e64 v30, 0, v30, s[12:13]
	v_cmp_nlt_f32_e64 s[12:13], s48, v29
	s_nop 1
	v_cndmask_b32_e64 v29, v17, v30, s[12:13]
	v_cmp_neq_f32_e64 s[12:13], |v26|, s44
	s_nop 1
	v_cndmask_b32_e64 v24, 0, v24, s[12:13]
	v_add_f32_e32 v24, v28, v24
	v_fma_f32 v24, v29, v24, v29
	v_cmp_class_f32_e64 s[12:13], v29, s43
	s_nop 1
	v_cndmask_b32_e64 v24, v24, v29, s[12:13]
	v_bfi_b32 v24, s45, v24, v25
	v_cndmask_b32_e64 v25, v19, v24, s[8:9]
	v_cmp_gt_f32_e64 s[8:9], 0, v23
	s_nop 1
	v_cndmask_b32_e64 v24, v24, v25, s[8:9]
	v_cmp_class_f32_e64 s[8:9], v38, s43
	s_nop 1
	v_cndmask_b32_e64 v24, v24, v32, s[8:9]
	v_cndmask_b32_e64 v24, v24, v39, s[6:7]
	v_cmp_o_f32_e64 s[6:7], v23, v38
	s_nop 1
	v_cndmask_b32_e64 v23, v19, v24, s[6:7]
	global_store_dword v[2:3], v23, off
	s_or_b64 exec, exec, s[36:37]
	s_and_saveexec_b64 s[10:11], s[4:5]
	s_cbranch_execz .LBB54_13
.LBB54_17:                              ;   in Loop: Header=BB54_4 Depth=1
	s_waitcnt vmcnt(0)
	v_mov_b32_e32 v23, s33
	v_cmp_neq_f32_e64 s[4:5], 1.0, v22
	s_nop 1
	v_cndmask_b32_e64 v36, 1.0, v23, s[4:5]
	v_cmp_neq_f32_e64 s[4:5], 0, v36
	s_nop 1
	v_cndmask_b32_e64 v37, 1.0, v22, s[4:5]
	v_frexp_mant_f32_e64 v22, |v37|
	v_cmp_gt_f32_e64 s[4:5], s46, v22
	v_cmp_lt_f32_e64 s[8:9], |v37|, 1.0
	v_cmp_class_f32_e64 s[12:13], v37, s43
	v_cndmask_b32_e64 v23, 1.0, 2.0, s[4:5]
	v_mul_f32_e32 v22, v22, v23
	v_add_f32_e32 v25, 1.0, v22
	v_rcp_f32_e32 v30, v25
	v_add_f32_e32 v23, -1.0, v25
	v_sub_f32_e32 v27, v22, v23
	v_add_f32_e32 v23, -1.0, v22
	v_mul_f32_e32 v31, v23, v30
	v_mul_f32_e32 v24, v25, v31
	v_fma_f32 v26, v31, v25, -v24
	v_fmac_f32_e32 v26, v31, v27
	v_add_f32_e32 v22, v24, v26
	v_sub_f32_e32 v25, v23, v22
	v_pk_add_f32 v[28:29], v[22:23], v[24:25] neg_lo:[0,1] neg_hi:[0,1]
	v_mov_b32_e32 v27, v22
	v_pk_add_f32 v[22:23], v[28:29], v[26:27] neg_lo:[0,1] neg_hi:[0,1]
	s_nop 0
	v_add_f32_e32 v22, v22, v23
	v_add_f32_e32 v22, v25, v22
	v_mul_f32_e32 v23, v30, v22
	v_add_f32_e32 v22, v31, v23
	v_sub_f32_e32 v24, v22, v31
	v_sub_f32_e32 v32, v23, v24
	v_mul_f32_e32 v23, v22, v22
	v_fma_f32 v25, v22, v22, -v23
	v_add_f32_e32 v24, v32, v32
	v_fmac_f32_e32 v25, v22, v24
	v_add_f32_e32 v24, v23, v25
	v_fmamk_f32 v26, v24, 0x3e76c4e1, v16
	v_fmaak_f32 v26, v24, v26, 0x3ecccdef
	v_sub_f32_e32 v23, v24, v23
	v_sub_f32_e32 v33, v25, v23
	v_mul_f32_e32 v23, v24, v26
	v_fma_f32 v25, v24, v26, -v23
	v_fmac_f32_e32 v25, v33, v26
	v_add_f32_e32 v26, v23, v25
	v_add_f32_e32 v27, 0x3f2aaaaa, v26
	v_sub_f32_e32 v23, v26, v23
	v_sub_f32_e32 v23, v25, v23
	v_add_f32_e32 v25, 0xbf2aaaaa, v27
	v_add_f32_e32 v23, 0x31739010, v23
	v_sub_f32_e32 v25, v26, v25
	v_pk_mul_f32 v[28:29], v[22:23], v[24:25]
	v_pk_add_f32 v[30:31], v[22:23], v[24:25]
	v_fma_f32 v26, v24, v22, -v28
	v_fmac_f32_e32 v26, v24, v32
	v_mov_b32_e32 v29, v31
	v_fmac_f32_e32 v26, v33, v22
	v_pk_add_f32 v[24:25], v[28:29], v[26:27]
	v_ldexp_f32 v34, v32, 1
	v_sub_f32_e32 v23, v24, v28
	v_sub_f32_e32 v23, v26, v23
	;; [unrolled: 1-line block ×3, first 2 shown]
	v_add_f32_e32 v30, v31, v26
	v_pk_mul_f32 v[26:27], v[24:25], v[24:25] op_sel:[0,1] op_sel_hi:[1,0]
	v_cvt_f64_f32_e64 v[28:29], |v37|
	v_frexp_exp_i32_f64_e32 v27, v[28:29]
	v_subbrev_co_u32_e64 v27, s[4:5], 0, v27, s[4:5]
	v_cvt_f32_i32_e32 v27, v27
	v_fma_f32 v28, v24, v25, -v26
	v_fmac_f32_e32 v28, v24, v30
	v_fmac_f32_e32 v28, v23, v25
	v_mul_f32_e32 v24, 0x3f317218, v27
	v_fma_f32 v30, v27, s47, -v24
	v_fmac_f32_e32 v30, 0xb102e308, v27
	v_ldexp_f32 v31, v22, 1
	v_add_f32_e32 v25, v26, v28
	v_pk_add_f32 v[22:23], v[24:25], v[30:31]
	v_mov_b32_e32 v32, v25
	v_mov_b32_e32 v33, v23
	v_mov_b32_e32 v27, v31
	v_pk_add_f32 v[26:27], v[32:33], v[26:27] neg_lo:[0,1] neg_hi:[0,1]
	v_mov_b32_e32 v29, v25
	v_pk_add_f32 v[26:27], v[28:29], v[26:27] neg_lo:[0,1] neg_hi:[0,1]
	v_mov_b32_e32 v31, v22
	v_add_f32_e32 v25, v34, v26
	v_add_f32_e32 v25, v25, v27
	v_pk_add_f32 v[26:27], v[22:23], v[24:25] neg_lo:[0,1] neg_hi:[0,1]
	v_pk_add_f32 v[28:29], v[22:23], v[24:25]
	v_mov_b32_e32 v24, v25
	v_mov_b32_e32 v27, v29
	v_pk_add_f32 v[32:33], v[30:31], v[26:27] neg_lo:[0,1] neg_hi:[0,1]
	v_pk_add_f32 v[26:27], v[30:31], v[26:27]
	v_mov_b32_e32 v25, v22
	v_pk_add_f32 v[30:31], v[26:27], v[22:23] op_sel:[1,0] op_sel_hi:[0,1] neg_lo:[0,1] neg_hi:[0,1]
	v_pk_add_f32 v[34:35], v[28:29], v[30:31] op_sel_hi:[1,0] neg_lo:[0,1] neg_hi:[0,1]
	v_mov_b32_e32 v28, v29
	v_mov_b32_e32 v29, v27
	v_pk_mov_b32 v[30:31], v[22:23], v[30:31] op_sel:[1,0]
	v_mov_b32_e32 v34, v32
	v_pk_add_f32 v[28:29], v[28:29], v[30:31] neg_lo:[0,1] neg_hi:[0,1]
	v_mov_b32_e32 v33, v27
	v_pk_add_f32 v[22:23], v[24:25], v[28:29] neg_lo:[0,1] neg_hi:[0,1]
	s_nop 0
	v_pk_add_f32 v[24:25], v[34:35], v[22:23]
	s_nop 0
	v_pk_add_f32 v[28:29], v[24:25], v[24:25] op_sel:[0,1] op_sel_hi:[1,0]
	s_nop 0
	v_pk_add_f32 v[26:27], v[26:27], v[28:29] op_sel:[1,0] op_sel_hi:[0,1]
	v_mov_b32_e32 v25, v26
	v_pk_add_f32 v[30:31], v[24:25], v[32:33] neg_lo:[0,1] neg_hi:[0,1]
	v_mov_b32_e32 v23, v28
	v_sub_f32_e32 v24, v24, v30
	v_pk_add_f32 v[22:23], v[22:23], v[30:31] neg_lo:[0,1] neg_hi:[0,1]
	v_sub_f32_e32 v24, v32, v24
	v_add_f32_e32 v22, v22, v24
	v_add_f32_e32 v22, v22, v23
	;; [unrolled: 1-line block ×3, first 2 shown]
	v_sub_f32_e32 v24, v23, v26
	v_sub_f32_e32 v22, v22, v24
	v_mul_f32_e32 v24, v36, v23
	v_fma_f32 v23, v36, v23, -v24
	v_fmac_f32_e32 v23, v36, v22
	v_add_f32_e32 v22, v24, v23
	v_cmp_class_f32_e64 s[4:5], v24, s43
	v_sub_f32_e32 v25, v22, v24
	v_sub_f32_e32 v23, v23, v25
	v_cndmask_b32_e64 v22, v22, v24, s[4:5]
	v_cmp_eq_f32_e64 s[4:5], s48, v22
	s_nop 1
	v_cndmask_b32_e64 v24, 0, v18, s[4:5]
	v_sub_f32_e32 v25, v22, v24
	v_mul_f32_e32 v26, 0x3fb8aa3b, v25
	v_fma_f32 v27, v25, s49, -v26
	v_rndne_f32_e32 v28, v26
	v_fmac_f32_e32 v27, 0x32a5705f, v25
	v_sub_f32_e32 v26, v26, v28
	v_add_f32_e32 v26, v26, v27
	v_exp_f32_e32 v26, v26
	v_cvt_i32_f32_e32 v27, v28
	v_cmp_neq_f32_e64 s[4:5], |v22|, s44
	s_nop 1
	v_cndmask_b32_e64 v22, 0, v23, s[4:5]
	v_ldexp_f32 v23, v26, v27
	v_cmp_ngt_f32_e64 s[4:5], s50, v25
	v_add_f32_e32 v22, v24, v22
	s_nop 0
	v_cndmask_b32_e64 v23, 0, v23, s[4:5]
	v_cmp_nlt_f32_e64 s[4:5], s48, v25
	s_nop 1
	v_cndmask_b32_e64 v23, v17, v23, s[4:5]
	v_fma_f32 v22, v23, v22, v23
	v_cmp_class_f32_e64 s[4:5], v23, s43
	s_nop 1
	v_cndmask_b32_e64 v22, v22, v23, s[4:5]
	v_trunc_f32_e32 v23, v36
	v_cmp_eq_f32_e64 s[4:5], v23, v36
	v_mul_f32_e32 v23, 0.5, v36
	v_trunc_f32_e32 v24, v23
	v_cmp_neq_f32_e64 s[6:7], v24, v23
	s_and_b64 s[6:7], s[4:5], s[6:7]
	s_nop 0
	v_cndmask_b32_e64 v23, 1.0, v37, s[6:7]
	v_bfi_b32 v22, s45, v22, v23
	v_cndmask_b32_e64 v23, v19, v22, s[4:5]
	v_cmp_gt_f32_e64 s[4:5], 0, v37
	v_cndmask_b32_e64 v24, 0, v37, s[6:7]
	s_nop 0
	v_cndmask_b32_e64 v22, v22, v23, s[4:5]
	v_cmp_neq_f32_e64 s[4:5], v36, |v36|
	s_xor_b64 s[4:5], s[4:5], s[8:9]
	v_cmp_gt_f32_e64 s[8:9], 0, v36
	v_cndmask_b32_e64 v23, v17, 0, s[4:5]
	v_cmp_neq_f32_e64 s[4:5], |v37|, 1.0
	s_nop 1
	v_cndmask_b32_e64 v23, 1.0, v23, s[4:5]
	v_cmp_class_f32_e64 s[4:5], v36, s43
	s_nop 1
	v_cndmask_b32_e64 v22, v22, v23, s[4:5]
	v_cmp_eq_f32_e64 s[4:5], 0, v37
	s_xor_b64 s[8:9], s[8:9], s[4:5]
	v_cndmask_b32_e64 v23, v17, 0, s[8:9]
	v_bfi_b32 v23, s45, v23, v24
	s_or_b64 s[4:5], s[4:5], s[12:13]
	v_cndmask_b32_e64 v22, v22, v23, s[4:5]
	v_cmp_o_f32_e64 s[4:5], v37, v36
	s_nop 1
	v_cndmask_b32_e64 v22, v19, v22, s[4:5]
	global_store_dword v[10:11], v22, off
	s_or_b64 exec, exec, s[10:11]
	s_and_saveexec_b64 s[8:9], s[2:3]
	s_cbranch_execz .LBB54_14
.LBB54_18:                              ;   in Loop: Header=BB54_4 Depth=1
	s_waitcnt vmcnt(0)
	v_mov_b32_e32 v22, s33
	v_cmp_neq_f32_e64 s[2:3], 1.0, v21
	s_nop 1
	v_cndmask_b32_e64 v36, 1.0, v22, s[2:3]
	v_cmp_neq_f32_e64 s[2:3], 0, v36
	s_nop 1
	v_cndmask_b32_e64 v21, 1.0, v21, s[2:3]
	v_frexp_mant_f32_e64 v22, |v21|
	v_cmp_gt_f32_e64 s[2:3], s46, v22
	v_cmp_lt_f32_e64 s[6:7], |v21|, 1.0
	v_cmp_class_f32_e64 s[10:11], v21, s43
	v_cndmask_b32_e64 v23, 1.0, 2.0, s[2:3]
	v_mul_f32_e32 v22, v22, v23
	v_add_f32_e32 v25, 1.0, v22
	v_rcp_f32_e32 v30, v25
	v_add_f32_e32 v23, -1.0, v25
	v_sub_f32_e32 v27, v22, v23
	v_add_f32_e32 v23, -1.0, v22
	v_mul_f32_e32 v31, v23, v30
	v_mul_f32_e32 v24, v25, v31
	v_fma_f32 v26, v31, v25, -v24
	v_fmac_f32_e32 v26, v31, v27
	v_add_f32_e32 v22, v24, v26
	v_sub_f32_e32 v25, v23, v22
	v_pk_add_f32 v[28:29], v[22:23], v[24:25] neg_lo:[0,1] neg_hi:[0,1]
	v_mov_b32_e32 v27, v22
	v_pk_add_f32 v[22:23], v[28:29], v[26:27] neg_lo:[0,1] neg_hi:[0,1]
	s_nop 0
	v_add_f32_e32 v22, v22, v23
	v_add_f32_e32 v22, v25, v22
	v_mul_f32_e32 v23, v30, v22
	v_add_f32_e32 v22, v31, v23
	v_sub_f32_e32 v24, v22, v31
	v_sub_f32_e32 v32, v23, v24
	v_mul_f32_e32 v23, v22, v22
	v_fma_f32 v25, v22, v22, -v23
	v_add_f32_e32 v24, v32, v32
	v_fmac_f32_e32 v25, v22, v24
	v_add_f32_e32 v24, v23, v25
	v_fmamk_f32 v26, v24, 0x3e76c4e1, v16
	v_fmaak_f32 v26, v24, v26, 0x3ecccdef
	v_sub_f32_e32 v23, v24, v23
	v_sub_f32_e32 v33, v25, v23
	v_mul_f32_e32 v23, v24, v26
	v_fma_f32 v25, v24, v26, -v23
	v_fmac_f32_e32 v25, v33, v26
	v_add_f32_e32 v26, v23, v25
	v_add_f32_e32 v27, 0x3f2aaaaa, v26
	v_sub_f32_e32 v23, v26, v23
	v_sub_f32_e32 v23, v25, v23
	v_add_f32_e32 v25, 0xbf2aaaaa, v27
	v_add_f32_e32 v23, 0x31739010, v23
	v_sub_f32_e32 v25, v26, v25
	v_pk_mul_f32 v[28:29], v[22:23], v[24:25]
	v_pk_add_f32 v[30:31], v[22:23], v[24:25]
	v_fma_f32 v26, v24, v22, -v28
	v_fmac_f32_e32 v26, v24, v32
	v_mov_b32_e32 v29, v31
	v_fmac_f32_e32 v26, v33, v22
	v_pk_add_f32 v[24:25], v[28:29], v[26:27]
	v_ldexp_f32 v34, v32, 1
	v_sub_f32_e32 v23, v24, v28
	v_sub_f32_e32 v23, v26, v23
	;; [unrolled: 1-line block ×3, first 2 shown]
	v_add_f32_e32 v30, v31, v26
	v_pk_mul_f32 v[26:27], v[24:25], v[24:25] op_sel:[0,1] op_sel_hi:[1,0]
	v_cvt_f64_f32_e64 v[28:29], |v21|
	v_frexp_exp_i32_f64_e32 v27, v[28:29]
	v_subbrev_co_u32_e64 v27, s[2:3], 0, v27, s[2:3]
	v_cvt_f32_i32_e32 v27, v27
	v_fma_f32 v28, v24, v25, -v26
	v_fmac_f32_e32 v28, v24, v30
	v_fmac_f32_e32 v28, v23, v25
	v_mul_f32_e32 v24, 0x3f317218, v27
	v_fma_f32 v30, v27, s47, -v24
	v_fmac_f32_e32 v30, 0xb102e308, v27
	v_ldexp_f32 v31, v22, 1
	v_add_f32_e32 v25, v26, v28
	v_pk_add_f32 v[22:23], v[24:25], v[30:31]
	v_mov_b32_e32 v32, v25
	v_mov_b32_e32 v33, v23
	;; [unrolled: 1-line block ×3, first 2 shown]
	v_pk_add_f32 v[26:27], v[32:33], v[26:27] neg_lo:[0,1] neg_hi:[0,1]
	v_mov_b32_e32 v29, v25
	v_pk_add_f32 v[26:27], v[28:29], v[26:27] neg_lo:[0,1] neg_hi:[0,1]
	v_mov_b32_e32 v31, v22
	v_add_f32_e32 v25, v34, v26
	v_add_f32_e32 v25, v25, v27
	v_pk_add_f32 v[26:27], v[22:23], v[24:25] neg_lo:[0,1] neg_hi:[0,1]
	v_pk_add_f32 v[28:29], v[22:23], v[24:25]
	v_mov_b32_e32 v24, v25
	v_mov_b32_e32 v27, v29
	v_pk_add_f32 v[32:33], v[30:31], v[26:27] neg_lo:[0,1] neg_hi:[0,1]
	v_pk_add_f32 v[26:27], v[30:31], v[26:27]
	v_mov_b32_e32 v25, v22
	v_pk_add_f32 v[30:31], v[26:27], v[22:23] op_sel:[1,0] op_sel_hi:[0,1] neg_lo:[0,1] neg_hi:[0,1]
	v_pk_add_f32 v[34:35], v[28:29], v[30:31] op_sel_hi:[1,0] neg_lo:[0,1] neg_hi:[0,1]
	v_mov_b32_e32 v28, v29
	v_mov_b32_e32 v29, v27
	v_pk_mov_b32 v[30:31], v[22:23], v[30:31] op_sel:[1,0]
	v_mov_b32_e32 v34, v32
	v_pk_add_f32 v[28:29], v[28:29], v[30:31] neg_lo:[0,1] neg_hi:[0,1]
	v_mov_b32_e32 v33, v27
	v_pk_add_f32 v[22:23], v[24:25], v[28:29] neg_lo:[0,1] neg_hi:[0,1]
	s_nop 0
	v_pk_add_f32 v[24:25], v[34:35], v[22:23]
	s_nop 0
	v_pk_add_f32 v[28:29], v[24:25], v[24:25] op_sel:[0,1] op_sel_hi:[1,0]
	s_nop 0
	v_pk_add_f32 v[26:27], v[26:27], v[28:29] op_sel:[1,0] op_sel_hi:[0,1]
	v_mov_b32_e32 v25, v26
	v_pk_add_f32 v[30:31], v[24:25], v[32:33] neg_lo:[0,1] neg_hi:[0,1]
	v_mov_b32_e32 v23, v28
	v_sub_f32_e32 v24, v24, v30
	v_pk_add_f32 v[22:23], v[22:23], v[30:31] neg_lo:[0,1] neg_hi:[0,1]
	v_sub_f32_e32 v24, v32, v24
	v_add_f32_e32 v22, v22, v24
	v_add_f32_e32 v22, v22, v23
	;; [unrolled: 1-line block ×3, first 2 shown]
	v_sub_f32_e32 v24, v23, v26
	v_sub_f32_e32 v22, v22, v24
	v_mul_f32_e32 v24, v36, v23
	v_fma_f32 v23, v36, v23, -v24
	v_fmac_f32_e32 v23, v36, v22
	v_add_f32_e32 v22, v24, v23
	v_cmp_class_f32_e64 s[2:3], v24, s43
	v_sub_f32_e32 v25, v22, v24
	v_sub_f32_e32 v23, v23, v25
	v_cndmask_b32_e64 v22, v22, v24, s[2:3]
	v_cmp_eq_f32_e64 s[2:3], s48, v22
	s_nop 1
	v_cndmask_b32_e64 v24, 0, v18, s[2:3]
	v_sub_f32_e32 v25, v22, v24
	v_mul_f32_e32 v26, 0x3fb8aa3b, v25
	v_fma_f32 v27, v25, s49, -v26
	v_rndne_f32_e32 v28, v26
	v_fmac_f32_e32 v27, 0x32a5705f, v25
	v_sub_f32_e32 v26, v26, v28
	v_add_f32_e32 v26, v26, v27
	v_exp_f32_e32 v26, v26
	v_cvt_i32_f32_e32 v27, v28
	v_cmp_neq_f32_e64 s[2:3], |v22|, s44
	s_nop 1
	v_cndmask_b32_e64 v22, 0, v23, s[2:3]
	v_ldexp_f32 v23, v26, v27
	v_cmp_ngt_f32_e64 s[2:3], s50, v25
	v_add_f32_e32 v22, v24, v22
	s_nop 0
	v_cndmask_b32_e64 v23, 0, v23, s[2:3]
	v_cmp_nlt_f32_e64 s[2:3], s48, v25
	s_nop 1
	v_cndmask_b32_e64 v23, v17, v23, s[2:3]
	v_fma_f32 v22, v23, v22, v23
	v_cmp_class_f32_e64 s[2:3], v23, s43
	s_nop 1
	v_cndmask_b32_e64 v22, v22, v23, s[2:3]
	v_trunc_f32_e32 v23, v36
	v_cmp_eq_f32_e64 s[2:3], v23, v36
	v_mul_f32_e32 v23, 0.5, v36
	v_trunc_f32_e32 v24, v23
	v_cmp_neq_f32_e64 s[4:5], v24, v23
	s_and_b64 s[4:5], s[2:3], s[4:5]
	s_nop 0
	v_cndmask_b32_e64 v23, 1.0, v21, s[4:5]
	v_bfi_b32 v22, s45, v22, v23
	v_cndmask_b32_e64 v23, v19, v22, s[2:3]
	v_cmp_gt_f32_e64 s[2:3], 0, v21
	v_cndmask_b32_e64 v24, 0, v21, s[4:5]
	s_nop 0
	v_cndmask_b32_e64 v22, v22, v23, s[2:3]
	v_cmp_neq_f32_e64 s[2:3], v36, |v36|
	s_xor_b64 s[2:3], s[2:3], s[6:7]
	v_cmp_gt_f32_e64 s[6:7], 0, v36
	v_cndmask_b32_e64 v23, v17, 0, s[2:3]
	v_cmp_neq_f32_e64 s[2:3], |v21|, 1.0
	s_nop 1
	v_cndmask_b32_e64 v23, 1.0, v23, s[2:3]
	v_cmp_class_f32_e64 s[2:3], v36, s43
	s_nop 1
	v_cndmask_b32_e64 v22, v22, v23, s[2:3]
	v_cmp_eq_f32_e64 s[2:3], 0, v21
	s_xor_b64 s[6:7], s[6:7], s[2:3]
	v_cndmask_b32_e64 v23, v17, 0, s[6:7]
	v_bfi_b32 v23, s45, v23, v24
	s_or_b64 s[2:3], s[2:3], s[10:11]
	v_cndmask_b32_e64 v22, v22, v23, s[2:3]
	v_cmp_o_f32_e64 s[2:3], v21, v36
	s_nop 1
	v_cndmask_b32_e64 v21, v19, v22, s[2:3]
	global_store_dword v[14:15], v21, off
	s_or_b64 exec, exec, s[8:9]
	s_and_saveexec_b64 s[6:7], vcc
	s_cbranch_execz .LBB54_3
.LBB54_19:                              ;   in Loop: Header=BB54_4 Depth=1
	v_mov_b32_e32 v14, s33
	s_waitcnt vmcnt(0)
	v_cmp_neq_f32_e32 vcc, 1.0, v20
	s_nop 1
	v_cndmask_b32_e32 v32, 1.0, v14, vcc
	v_cmp_neq_f32_e32 vcc, 0, v32
	v_cmp_neq_f32_e64 s[4:5], v32, |v32|
	s_nop 0
	v_cndmask_b32_e32 v33, 1.0, v20, vcc
	v_frexp_mant_f32_e64 v14, |v33|
	v_cmp_gt_f32_e32 vcc, s46, v14
	v_cmp_lt_f32_e64 s[8:9], |v33|, 1.0
	s_xor_b64 s[4:5], s[4:5], s[8:9]
	v_cndmask_b32_e64 v15, 1.0, 2.0, vcc
	v_mul_f32_e32 v14, v14, v15
	v_add_f32_e32 v21, 1.0, v14
	v_rcp_f32_e32 v26, v21
	v_add_f32_e32 v15, -1.0, v21
	v_sub_f32_e32 v23, v14, v15
	v_add_f32_e32 v15, -1.0, v14
	v_mul_f32_e32 v27, v15, v26
	v_mul_f32_e32 v20, v21, v27
	v_fma_f32 v22, v27, v21, -v20
	v_fmac_f32_e32 v22, v27, v23
	v_add_f32_e32 v14, v20, v22
	v_sub_f32_e32 v21, v15, v14
	v_pk_add_f32 v[24:25], v[14:15], v[20:21] neg_lo:[0,1] neg_hi:[0,1]
	v_mov_b32_e32 v23, v14
	v_pk_add_f32 v[14:15], v[24:25], v[22:23] neg_lo:[0,1] neg_hi:[0,1]
	v_cmp_class_f32_e64 s[8:9], v33, s43
	v_add_f32_e32 v14, v14, v15
	v_add_f32_e32 v14, v21, v14
	v_mul_f32_e32 v15, v26, v14
	v_add_f32_e32 v14, v27, v15
	v_sub_f32_e32 v20, v14, v27
	v_sub_f32_e32 v28, v15, v20
	v_mul_f32_e32 v15, v14, v14
	v_fma_f32 v21, v14, v14, -v15
	v_add_f32_e32 v20, v28, v28
	v_fmac_f32_e32 v21, v14, v20
	v_add_f32_e32 v20, v15, v21
	v_fmamk_f32 v22, v20, 0x3e76c4e1, v16
	v_fmaak_f32 v22, v20, v22, 0x3ecccdef
	v_sub_f32_e32 v15, v20, v15
	v_sub_f32_e32 v29, v21, v15
	v_mul_f32_e32 v15, v20, v22
	v_fma_f32 v21, v20, v22, -v15
	v_fmac_f32_e32 v21, v29, v22
	v_add_f32_e32 v22, v15, v21
	v_add_f32_e32 v23, 0x3f2aaaaa, v22
	v_sub_f32_e32 v15, v22, v15
	v_sub_f32_e32 v15, v21, v15
	v_add_f32_e32 v21, 0xbf2aaaaa, v23
	v_add_f32_e32 v15, 0x31739010, v15
	v_sub_f32_e32 v21, v22, v21
	v_pk_mul_f32 v[24:25], v[14:15], v[20:21]
	v_pk_add_f32 v[26:27], v[14:15], v[20:21]
	v_fma_f32 v22, v20, v14, -v24
	v_fmac_f32_e32 v22, v20, v28
	v_mov_b32_e32 v25, v27
	v_fmac_f32_e32 v22, v29, v14
	v_pk_add_f32 v[20:21], v[24:25], v[22:23]
	v_ldexp_f32 v30, v28, 1
	v_sub_f32_e32 v15, v20, v24
	v_sub_f32_e32 v15, v22, v15
	;; [unrolled: 1-line block ×3, first 2 shown]
	v_add_f32_e32 v26, v27, v22
	v_pk_mul_f32 v[22:23], v[20:21], v[20:21] op_sel:[0,1] op_sel_hi:[1,0]
	v_cvt_f64_f32_e64 v[24:25], |v33|
	v_frexp_exp_i32_f64_e32 v23, v[24:25]
	v_subbrev_co_u32_e32 v23, vcc, 0, v23, vcc
	v_cvt_f32_i32_e32 v23, v23
	v_fma_f32 v24, v20, v21, -v22
	v_fmac_f32_e32 v24, v20, v26
	v_fmac_f32_e32 v24, v15, v21
	v_mul_f32_e32 v20, 0x3f317218, v23
	v_fma_f32 v26, v23, s47, -v20
	v_fmac_f32_e32 v26, 0xb102e308, v23
	v_ldexp_f32 v27, v14, 1
	v_add_f32_e32 v21, v22, v24
	v_pk_add_f32 v[14:15], v[20:21], v[26:27]
	v_mov_b32_e32 v28, v21
	v_mov_b32_e32 v29, v15
	;; [unrolled: 1-line block ×3, first 2 shown]
	v_pk_add_f32 v[22:23], v[28:29], v[22:23] neg_lo:[0,1] neg_hi:[0,1]
	v_mov_b32_e32 v25, v21
	v_pk_add_f32 v[22:23], v[24:25], v[22:23] neg_lo:[0,1] neg_hi:[0,1]
	v_mov_b32_e32 v27, v14
	v_add_f32_e32 v21, v30, v22
	v_add_f32_e32 v21, v21, v23
	v_pk_add_f32 v[22:23], v[14:15], v[20:21] neg_lo:[0,1] neg_hi:[0,1]
	v_pk_add_f32 v[24:25], v[14:15], v[20:21]
	v_mov_b32_e32 v20, v21
	v_mov_b32_e32 v23, v25
	v_pk_add_f32 v[28:29], v[26:27], v[22:23] neg_lo:[0,1] neg_hi:[0,1]
	v_pk_add_f32 v[22:23], v[26:27], v[22:23]
	v_mov_b32_e32 v21, v14
	v_pk_add_f32 v[26:27], v[22:23], v[14:15] op_sel:[1,0] op_sel_hi:[0,1] neg_lo:[0,1] neg_hi:[0,1]
	v_pk_add_f32 v[30:31], v[24:25], v[26:27] op_sel_hi:[1,0] neg_lo:[0,1] neg_hi:[0,1]
	v_mov_b32_e32 v24, v25
	v_mov_b32_e32 v25, v23
	v_pk_mov_b32 v[26:27], v[14:15], v[26:27] op_sel:[1,0]
	v_mov_b32_e32 v30, v28
	v_pk_add_f32 v[24:25], v[24:25], v[26:27] neg_lo:[0,1] neg_hi:[0,1]
	v_mov_b32_e32 v29, v23
	v_pk_add_f32 v[14:15], v[20:21], v[24:25] neg_lo:[0,1] neg_hi:[0,1]
	s_nop 0
	v_pk_add_f32 v[20:21], v[30:31], v[14:15]
	s_nop 0
	v_pk_add_f32 v[24:25], v[20:21], v[20:21] op_sel:[0,1] op_sel_hi:[1,0]
	s_nop 0
	v_pk_add_f32 v[22:23], v[22:23], v[24:25] op_sel:[1,0] op_sel_hi:[0,1]
	v_mov_b32_e32 v21, v22
	v_pk_add_f32 v[26:27], v[20:21], v[28:29] neg_lo:[0,1] neg_hi:[0,1]
	v_mov_b32_e32 v15, v24
	v_sub_f32_e32 v20, v20, v26
	v_pk_add_f32 v[14:15], v[14:15], v[26:27] neg_lo:[0,1] neg_hi:[0,1]
	v_sub_f32_e32 v20, v28, v20
	v_add_f32_e32 v14, v14, v20
	v_add_f32_e32 v14, v14, v15
	;; [unrolled: 1-line block ×3, first 2 shown]
	v_sub_f32_e32 v20, v15, v22
	v_sub_f32_e32 v14, v14, v20
	v_mul_f32_e32 v20, v32, v15
	v_fma_f32 v15, v32, v15, -v20
	v_fmac_f32_e32 v15, v32, v14
	v_add_f32_e32 v14, v20, v15
	v_cmp_class_f32_e64 vcc, v20, s43
	v_sub_f32_e32 v21, v14, v20
	v_sub_f32_e32 v15, v15, v21
	v_cndmask_b32_e32 v14, v14, v20, vcc
	v_cmp_eq_f32_e32 vcc, s48, v14
	s_nop 1
	v_cndmask_b32_e32 v20, 0, v18, vcc
	v_sub_f32_e32 v21, v14, v20
	v_mul_f32_e32 v22, 0x3fb8aa3b, v21
	v_fma_f32 v23, v21, s49, -v22
	v_rndne_f32_e32 v24, v22
	v_fmac_f32_e32 v23, 0x32a5705f, v21
	v_sub_f32_e32 v22, v22, v24
	v_add_f32_e32 v22, v22, v23
	v_exp_f32_e32 v22, v22
	v_cvt_i32_f32_e32 v23, v24
	v_cmp_neq_f32_e64 vcc, |v14|, s44
	s_nop 1
	v_cndmask_b32_e32 v14, 0, v15, vcc
	v_ldexp_f32 v15, v22, v23
	v_cmp_ngt_f32_e32 vcc, s50, v21
	v_add_f32_e32 v14, v20, v14
	s_nop 0
	v_cndmask_b32_e32 v15, 0, v15, vcc
	v_cmp_nlt_f32_e32 vcc, s48, v21
	s_nop 1
	v_cndmask_b32_e32 v15, v17, v15, vcc
	v_fma_f32 v14, v15, v14, v15
	v_cmp_class_f32_e64 vcc, v15, s43
	s_nop 1
	v_cndmask_b32_e32 v14, v14, v15, vcc
	v_trunc_f32_e32 v15, v32
	v_cmp_eq_f32_e32 vcc, v15, v32
	v_mul_f32_e32 v15, 0.5, v32
	v_trunc_f32_e32 v20, v15
	v_cmp_neq_f32_e64 s[2:3], v20, v15
	s_and_b64 s[2:3], vcc, s[2:3]
	s_nop 0
	v_cndmask_b32_e64 v15, 1.0, v33, s[2:3]
	v_bfi_b32 v14, s45, v14, v15
	v_cndmask_b32_e32 v15, v19, v14, vcc
	v_cmp_gt_f32_e32 vcc, 0, v33
	v_cndmask_b32_e64 v20, 0, v33, s[2:3]
	s_nop 0
	v_cndmask_b32_e32 v14, v14, v15, vcc
	v_cndmask_b32_e64 v15, v17, 0, s[4:5]
	v_cmp_neq_f32_e64 vcc, |v33|, 1.0
	v_cmp_gt_f32_e64 s[4:5], 0, v32
	s_nop 0
	v_cndmask_b32_e32 v15, 1.0, v15, vcc
	v_cmp_class_f32_e64 vcc, v32, s43
	s_nop 1
	v_cndmask_b32_e32 v14, v14, v15, vcc
	v_cmp_eq_f32_e32 vcc, 0, v33
	s_xor_b64 s[4:5], s[4:5], vcc
	v_cndmask_b32_e64 v15, v17, 0, s[4:5]
	v_bfi_b32 v15, s45, v15, v20
	s_or_b64 vcc, vcc, s[8:9]
	v_cndmask_b32_e32 v14, v14, v15, vcc
	v_cmp_o_f32_e32 vcc, v33, v32
	s_nop 1
	v_cndmask_b32_e32 v14, v19, v14, vcc
	global_store_dword v[12:13], v14, off
	s_branch .LBB54_3
.LBB54_20:
	s_cbranch_execz .LBB54_22
	s_branch .LBB54_25
.LBB54_21:
.LBB54_22:
	v_mov_b64_e32 v[4:5], 0x10000
	v_cmp_lt_i64_e32 vcc, s[20:21], v[4:5]
	s_and_b64 s[2:3], vcc, exec
	v_mov_b32_e32 v3, 0
	s_cselect_b32 s21, s21, 0
	s_cselect_b32 s20, s20, 0x10000
	v_lshlrev_b32_e32 v2, 2, v0
	s_mov_b32 s15, 0
	v_cmp_gt_i64_e32 vcc, s[20:21], v[2:3]
	s_and_saveexec_b64 s[2:3], vcc
	s_cbranch_execz .LBB54_25
; %bb.23:
	s_load_dword s0, s[0:1], 0xd3c
	v_lshlrev_b32_e32 v2, 4, v0
	v_mov_b32_e32 v1, v3
	v_mov_b32_e32 v10, s33
	;; [unrolled: 1-line block ×3, first 2 shown]
	s_waitcnt lgkmcnt(0)
	s_and_b32 s14, s0, 0xffff
	s_add_u32 s0, s16, s18
	s_addc_u32 s1, s17, s19
	v_lshl_add_u64 v[2:3], s[0:1], 0, v[2:3]
	s_lshl_b32 s16, s14, 4
	v_lshl_add_u64 v[6:7], v[2:3], 0, 8
	s_mov_b32 s17, s15
	s_mov_b64 s[18:19], 0
	s_mov_b32 s22, 0x3f2aaaab
	v_mov_b32_e32 v12, 0x3e91f4c4
	s_mov_b32 s23, 0x3f317218
	v_mov_b32_e32 v13, 0x204
	s_mov_b32 s24, 0x42b17218
	s_movk_i32 s25, 0x204
	v_mov_b32_e32 v14, 0x37000000
	s_mov_b32 s26, 0x3fb8aa3b
	s_mov_b32 s27, 0xc2ce8ed0
	v_mov_b32_e32 v15, 0x7f800000
	s_brev_b32 s28, -2
	v_mov_b32_e32 v16, 0x7fc00000
                                        ; implicit-def: $vgpr2
.LBB54_24:                              ; =>This Inner Loop Header: Depth=1
	global_load_dwordx4 v[2:5], v[6:7], off offset:-8
	v_lshl_add_u64 v[0:1], v[0:1], 0, s[14:15]
	s_waitcnt vmcnt(0)
	v_cmp_neq_f32_e32 vcc, 1.0, v3
	s_nop 1
	v_cndmask_b32_e32 v9, 1.0, v10, vcc
	v_cmp_neq_f32_e32 vcc, 1.0, v2
	v_cmp_gt_f32_e64 s[12:13], 0, v9
	s_nop 0
	v_cndmask_b32_e32 v8, 1.0, v11, vcc
	v_cmp_neq_f32_e32 vcc, 0, v9
	v_cmp_neq_f32_e64 s[6:7], v8, |v8|
	s_nop 0
	v_cndmask_b32_e32 v3, 1.0, v3, vcc
	v_cmp_neq_f32_e32 vcc, 0, v8
	v_frexp_mant_f32_e64 v20, |v3|
	v_cmp_lt_f32_e64 s[8:9], |v3|, 1.0
	v_cndmask_b32_e32 v2, 1.0, v2, vcc
	v_frexp_mant_f32_e64 v17, |v2|
	v_cmp_gt_f32_e64 s[0:1], s22, v17
	v_cvt_f64_f32_e64 v[18:19], |v2|
	v_cmp_gt_f32_e32 vcc, s22, v20
	v_cndmask_b32_e64 v21, 1.0, 2.0, s[0:1]
	v_frexp_exp_i32_f64_e32 v18, v[18:19]
	v_cndmask_b32_e64 v19, 1.0, 2.0, vcc
	v_mul_f32_e32 v17, v17, v21
	v_mul_f32_e32 v20, v20, v19
	v_add_f32_e32 v23, 1.0, v17
	v_add_f32_e32 v25, 1.0, v20
	v_rcp_f32_e32 v34, v23
	v_subbrev_co_u32_e64 v18, s[0:1], 0, v18, s[0:1]
	v_rcp_f32_e32 v35, v25
	v_cvt_f32_i32_e32 v18, v18
	v_add_f32_e32 v19, -1.0, v17
	v_add_f32_e32 v21, -1.0, v20
	v_mul_f32_e32 v36, v19, v34
	v_add_f32_e32 v22, -1.0, v23
	v_mul_f32_e32 v37, v21, v35
	v_mul_f32_e32 v26, v23, v36
	v_add_f32_e32 v24, -1.0, v25
	v_sub_f32_e32 v17, v17, v22
	v_mul_f32_e32 v22, 0x3f317218, v18
	v_mul_f32_e32 v28, v25, v37
	v_fma_f32 v30, v36, v23, -v26
	v_sub_f32_e32 v20, v20, v24
	v_fma_f32 v24, v18, s23, -v22
	v_fma_f32 v32, v37, v25, -v28
	v_fmac_f32_e32 v30, v36, v17
	v_fmac_f32_e32 v24, 0xb102e308, v18
	;; [unrolled: 1-line block ×3, first 2 shown]
	v_add_f32_e32 v18, v26, v30
	v_add_f32_e32 v20, v28, v32
	v_sub_f32_e32 v27, v19, v18
	v_mov_b32_e32 v31, v18
	v_sub_f32_e32 v29, v21, v20
	v_pk_add_f32 v[18:19], v[18:19], v[26:27] neg_lo:[0,1] neg_hi:[0,1]
	v_mov_b32_e32 v33, v20
	v_pk_add_f32 v[20:21], v[20:21], v[28:29] neg_lo:[0,1] neg_hi:[0,1]
	v_pk_add_f32 v[18:19], v[18:19], v[30:31] neg_lo:[0,1] neg_hi:[0,1]
	;; [unrolled: 1-line block ×3, first 2 shown]
	v_add_f32_e32 v17, v18, v19
	v_add_f32_e32 v18, v20, v21
	;; [unrolled: 1-line block ×4, first 2 shown]
	v_mul_f32_e32 v17, v34, v17
	v_mul_f32_e32 v19, v35, v18
	v_add_f32_e32 v18, v36, v17
	v_add_f32_e32 v20, v37, v19
	v_sub_f32_e32 v21, v18, v36
	v_mul_f32_e32 v23, v18, v18
	v_sub_f32_e32 v26, v20, v37
	v_sub_f32_e32 v17, v17, v21
	v_mul_f32_e32 v27, v20, v20
	v_fma_f32 v21, v18, v18, -v23
	v_sub_f32_e32 v36, v19, v26
	v_add_f32_e32 v26, v17, v17
	v_fma_f32 v19, v20, v20, -v27
	v_add_f32_e32 v28, v36, v36
	v_fmac_f32_e32 v21, v18, v26
	v_fmac_f32_e32 v19, v20, v28
	v_add_f32_e32 v26, v23, v21
	v_add_f32_e32 v28, v27, v19
	v_fmamk_f32 v30, v26, 0x3e76c4e1, v12
	v_sub_f32_e32 v23, v26, v23
	v_fmamk_f32 v31, v28, 0x3e76c4e1, v12
	v_sub_f32_e32 v27, v28, v27
	v_fmaak_f32 v30, v26, v30, 0x3ecccdef
	v_sub_f32_e32 v21, v21, v23
	v_fmaak_f32 v23, v28, v31, 0x3ecccdef
	v_sub_f32_e32 v37, v19, v27
	v_mul_f32_e32 v19, v26, v30
	v_mul_f32_e32 v38, v28, v23
	v_fma_f32 v27, v26, v30, -v19
	v_fma_f32 v39, v28, v23, -v38
	v_fmac_f32_e32 v27, v21, v30
	v_fmac_f32_e32 v39, v37, v23
	v_add_f32_e32 v23, v19, v27
	v_add_f32_e32 v31, 0x3f2aaaaa, v23
	v_sub_f32_e32 v19, v23, v19
	v_sub_f32_e32 v19, v27, v19
	v_add_f32_e32 v27, 0xbf2aaaaa, v31
	v_add_f32_e32 v19, 0x31739010, v19
	v_sub_f32_e32 v27, v23, v27
	v_pk_mul_f32 v[32:33], v[18:19], v[26:27]
	v_pk_add_f32 v[34:35], v[18:19], v[26:27]
	v_fma_f32 v30, v26, v18, -v32
	v_fmac_f32_e32 v30, v26, v17
	v_mov_b32_e32 v33, v35
	v_fmac_f32_e32 v30, v21, v18
	v_ldexp_f32 v25, v18, 1
	v_pk_add_f32 v[18:19], v[32:33], v[30:31]
	v_ldexp_f32 v29, v17, 1
	v_sub_f32_e32 v17, v18, v32
	v_sub_f32_e32 v21, v31, v19
	v_pk_mul_f32 v[26:27], v[18:19], v[18:19] op_sel:[0,1] op_sel_hi:[1,0]
	v_sub_f32_e32 v17, v30, v17
	v_add_f32_e32 v21, v35, v21
	v_fma_f32 v30, v18, v19, -v26
	v_fmac_f32_e32 v30, v18, v21
	v_fmac_f32_e32 v30, v17, v19
	v_add_f32_e32 v23, v26, v30
	v_pk_add_f32 v[18:19], v[22:23], v[24:25]
	v_mov_b32_e32 v27, v25
	v_mov_b32_e32 v32, v23
	;; [unrolled: 1-line block ×4, first 2 shown]
	v_pk_add_f32 v[26:27], v[32:33], v[26:27] neg_lo:[0,1] neg_hi:[0,1]
	v_mov_b32_e32 v25, v18
	v_pk_add_f32 v[26:27], v[30:31], v[26:27] neg_lo:[0,1] neg_hi:[0,1]
	v_mov_b32_e32 v35, v18
	v_add_f32_e32 v17, v29, v26
	v_add_f32_e32 v23, v17, v27
	v_pk_add_f32 v[26:27], v[18:19], v[22:23] neg_lo:[0,1] neg_hi:[0,1]
	v_pk_add_f32 v[30:31], v[18:19], v[22:23]
	v_mov_b32_e32 v34, v23
	v_mov_b32_e32 v27, v31
	v_pk_add_f32 v[22:23], v[24:25], v[26:27] neg_lo:[0,1] neg_hi:[0,1]
	v_pk_add_f32 v[24:25], v[24:25], v[26:27]
	v_add_f32_e32 v17, v38, v39
	v_pk_add_f32 v[26:27], v[24:25], v[18:19] op_sel:[1,0] op_sel_hi:[0,1] neg_lo:[0,1] neg_hi:[0,1]
	v_mov_b32_e32 v24, v31
	v_pk_mov_b32 v[18:19], v[18:19], v[26:27] op_sel:[1,0]
	v_pk_add_f32 v[30:31], v[30:31], v[26:27] op_sel_hi:[1,0] neg_lo:[0,1] neg_hi:[0,1]
	v_pk_add_f32 v[18:19], v[24:25], v[18:19] neg_lo:[0,1] neg_hi:[0,1]
	v_mov_b32_e32 v30, v22
	v_pk_add_f32 v[18:19], v[34:35], v[18:19] neg_lo:[0,1] neg_hi:[0,1]
	v_mov_b32_e32 v23, v25
	v_pk_add_f32 v[26:27], v[30:31], v[18:19]
	v_sub_f32_e32 v19, v17, v38
	v_add_f32_e32 v31, 0x3f2aaaaa, v17
	v_sub_f32_e32 v19, v39, v19
	v_add_f32_e32 v21, 0x31739010, v19
	v_add_f32_e32 v19, 0xbf2aaaaa, v31
	v_sub_f32_e32 v29, v17, v19
	v_pk_mul_f32 v[32:33], v[20:21], v[28:29]
	v_pk_add_f32 v[34:35], v[20:21], v[28:29]
	v_fma_f32 v30, v28, v20, -v32
	v_fmac_f32_e32 v30, v28, v36
	v_mov_b32_e32 v33, v35
	v_fmac_f32_e32 v30, v37, v20
	v_pk_add_f32 v[28:29], v[32:33], v[30:31]
	v_cmp_lt_f32_e64 s[10:11], |v2|, 1.0
	v_sub_f32_e32 v17, v28, v32
	v_cvt_f64_f32_e64 v[32:33], |v3|
	v_frexp_exp_i32_f64_e32 v21, v[32:33]
	v_subbrev_co_u32_e32 v21, vcc, 0, v21, vcc
	v_cvt_f32_i32_e32 v21, v21
	v_sub_f32_e32 v17, v30, v17
	v_sub_f32_e32 v19, v31, v29
	v_pk_mul_f32 v[30:31], v[28:29], v[28:29] op_sel:[0,1] op_sel_hi:[1,0]
	v_add_f32_e32 v19, v35, v19
	v_fma_f32 v32, v28, v29, -v30
	v_fmac_f32_e32 v32, v28, v19
	v_mul_f32_e32 v28, 0x3f317218, v21
	v_fmac_f32_e32 v32, v17, v29
	v_fma_f32 v34, v21, s23, -v28
	v_fmac_f32_e32 v34, 0xb102e308, v21
	v_ldexp_f32 v35, v20, 1
	v_add_f32_e32 v29, v30, v32
	v_pk_add_f32 v[20:21], v[28:29], v[34:35]
	v_ldexp_f32 v17, v36, 1
	v_mov_b32_e32 v36, v29
	v_mov_b32_e32 v37, v21
	;; [unrolled: 1-line block ×3, first 2 shown]
	v_pk_add_f32 v[30:31], v[36:37], v[30:31] neg_lo:[0,1] neg_hi:[0,1]
	v_mov_b32_e32 v33, v29
	v_pk_add_f32 v[30:31], v[32:33], v[30:31] neg_lo:[0,1] neg_hi:[0,1]
	v_mov_b32_e32 v35, v20
	v_add_f32_e32 v17, v17, v30
	v_add_f32_e32 v29, v17, v31
	v_pk_add_f32 v[30:31], v[20:21], v[28:29] neg_lo:[0,1] neg_hi:[0,1]
	v_pk_add_f32 v[32:33], v[20:21], v[28:29]
	v_mov_b32_e32 v28, v29
	v_mov_b32_e32 v31, v33
	v_pk_add_f32 v[36:37], v[34:35], v[30:31] neg_lo:[0,1] neg_hi:[0,1]
	v_pk_add_f32 v[30:31], v[34:35], v[30:31]
	v_mov_b32_e32 v29, v20
	v_pk_add_f32 v[34:35], v[30:31], v[20:21] op_sel:[1,0] op_sel_hi:[0,1] neg_lo:[0,1] neg_hi:[0,1]
	v_pk_add_f32 v[38:39], v[32:33], v[34:35] op_sel_hi:[1,0] neg_lo:[0,1] neg_hi:[0,1]
	v_mov_b32_e32 v30, v33
	v_pk_mov_b32 v[32:33], v[20:21], v[34:35] op_sel:[1,0]
	v_mov_b32_e32 v38, v36
	v_pk_add_f32 v[32:33], v[30:31], v[32:33] neg_lo:[0,1] neg_hi:[0,1]
	v_mov_b32_e32 v34, v27
	v_pk_add_f32 v[20:21], v[28:29], v[32:33] neg_lo:[0,1] neg_hi:[0,1]
	v_mov_b32_e32 v32, v26
	v_pk_add_f32 v[28:29], v[38:39], v[20:21]
	v_mov_b32_e32 v30, v25
	v_mov_b32_e32 v33, v28
	;; [unrolled: 1-line block ×3, first 2 shown]
	v_pk_add_f32 v[34:35], v[32:33], v[34:35]
	v_mov_b32_e32 v37, v31
	v_pk_add_f32 v[24:25], v[30:31], v[34:35]
	v_mov_b32_e32 v19, v34
	v_mov_b32_e32 v27, v24
	;; [unrolled: 1-line block ×3, first 2 shown]
	v_pk_add_f32 v[26:27], v[26:27], v[22:23] neg_lo:[0,1] neg_hi:[0,1]
	v_pk_add_f32 v[28:29], v[28:29], v[36:37] neg_lo:[0,1] neg_hi:[0,1]
	;; [unrolled: 1-line block ×3, first 2 shown]
	v_mov_b32_e32 v27, v28
	v_mov_b32_e32 v21, v35
	v_pk_add_f32 v[26:27], v[32:33], v[26:27] neg_lo:[0,1] neg_hi:[0,1]
	v_mov_b32_e32 v23, v36
	v_pk_add_f32 v[20:21], v[20:21], v[28:29] neg_lo:[0,1] neg_hi:[0,1]
	v_pk_add_f32 v[22:23], v[22:23], v[26:27] neg_lo:[0,1] neg_hi:[0,1]
	v_mov_b32_e32 v26, v18
	v_mov_b32_e32 v27, v20
	v_pk_add_f32 v[22:23], v[26:27], v[22:23]
	v_mov_b32_e32 v20, v19
	v_pk_add_f32 v[18:19], v[22:23], v[20:21]
	v_trunc_f32_e32 v27, v8
	v_pk_add_f32 v[20:21], v[24:25], v[18:19]
	s_nop 0
	v_pk_add_f32 v[22:23], v[20:21], v[24:25] neg_lo:[0,1] neg_hi:[0,1]
	s_nop 0
	v_pk_add_f32 v[18:19], v[18:19], v[22:23] neg_lo:[0,1] neg_hi:[0,1]
	v_pk_mul_f32 v[22:23], v[8:9], v[20:21]
	s_nop 0
	v_fma_f32 v17, v8, v20, -v22
	v_fmac_f32_e32 v17, v8, v18
	v_add_f32_e32 v18, v22, v17
	v_cmp_class_f32_e32 vcc, v22, v13
	v_sub_f32_e32 v20, v18, v22
	v_sub_f32_e32 v17, v17, v20
	v_cndmask_b32_e32 v24, v18, v22, vcc
	v_fma_f32 v18, v9, v21, -v23
	v_fmac_f32_e32 v18, v9, v19
	v_add_f32_e32 v19, v23, v18
	v_sub_f32_e32 v20, v19, v23
	v_cmp_eq_f32_e32 vcc, s24, v24
	v_sub_f32_e32 v20, v18, v20
	s_nop 0
	v_cndmask_b32_e32 v18, 0, v14, vcc
	v_sub_f32_e32 v21, v24, v18
	v_mul_f32_e32 v22, 0x3fb8aa3b, v21
	v_fma_f32 v25, v21, s26, -v22
	v_rndne_f32_e32 v26, v22
	v_fmac_f32_e32 v25, 0x32a5705f, v21
	v_sub_f32_e32 v22, v22, v26
	v_add_f32_e32 v22, v22, v25
	v_exp_f32_e32 v22, v22
	v_cvt_i32_f32_e32 v25, v26
	v_cmp_class_f32_e32 vcc, v23, v13
	s_nop 1
	v_cndmask_b32_e32 v26, v19, v23, vcc
	v_cmp_class_f32_e64 s[0:1], v26, s25
	v_cmp_ngt_f32_e32 vcc, s27, v21
	s_nop 0
	v_cndmask_b32_e64 v19, v20, 0, s[0:1]
	v_ldexp_f32 v20, v22, v25
	v_cndmask_b32_e32 v20, 0, v20, vcc
	v_cmp_nlt_f32_e32 vcc, s24, v21
	v_cmp_class_f32_e64 s[0:1], v24, s25
	v_pk_mul_f32 v[22:23], v[8:9], 0.5 op_sel_hi:[1,0]
	v_cndmask_b32_e32 v20, v15, v20, vcc
	v_cmp_eq_f32_e32 vcc, s24, v26
	v_cndmask_b32_e64 v24, v17, 0, s[0:1]
	v_trunc_f32_e32 v28, v22
	v_cndmask_b32_e32 v25, 0, v14, vcc
	v_sub_f32_e32 v21, v26, v25
	v_mul_f32_e32 v26, 0x3fb8aa3b, v21
	v_fma_f32 v29, v21, s26, -v26
	v_rndne_f32_e32 v30, v26
	v_fmac_f32_e32 v29, 0x32a5705f, v21
	v_sub_f32_e32 v26, v26, v30
	v_add_f32_e32 v26, v26, v29
	v_exp_f32_e32 v26, v26
	v_cvt_i32_f32_e32 v29, v30
	v_cmp_ngt_f32_e32 vcc, s27, v21
	v_pk_add_f32 v[18:19], v[24:25], v[18:19]
	v_cmp_eq_f32_e64 s[0:1], v27, v8
	v_ldexp_f32 v17, v26, v29
	v_cndmask_b32_e32 v17, 0, v17, vcc
	v_cmp_nlt_f32_e32 vcc, s24, v21
	v_cmp_neq_f32_e64 s[4:5], v28, v22
	s_and_b64 s[4:5], s[0:1], s[4:5]
	v_cndmask_b32_e32 v21, v15, v17, vcc
	v_pk_fma_f32 v[18:19], v[20:21], v[18:19], v[20:21]
	v_cmp_class_f32_e32 vcc, v21, v13
	s_nop 1
	v_cndmask_b32_e32 v17, v19, v21, vcc
	v_cmp_class_f32_e32 vcc, v20, v13
	v_trunc_f32_e32 v19, v9
	v_cndmask_b32_e64 v21, 0, v2, s[4:5]
	v_cndmask_b32_e32 v18, v18, v20, vcc
	v_cmp_eq_f32_e32 vcc, v19, v9
	v_trunc_f32_e32 v19, v23
	v_cmp_neq_f32_e64 s[2:3], v19, v23
	s_and_b64 s[2:3], vcc, s[2:3]
	v_cndmask_b32_e64 v20, 1.0, v2, s[4:5]
	v_cndmask_b32_e64 v19, 1.0, v3, s[2:3]
	v_bfi_b32 v18, s28, v18, v20
	v_bfi_b32 v17, s28, v17, v19
	v_cndmask_b32_e32 v19, v16, v17, vcc
	v_cndmask_b32_e64 v20, v16, v18, s[0:1]
	v_cmp_gt_f32_e32 vcc, 0, v2
	v_cmp_neq_f32_e64 s[0:1], v9, |v9|
	s_xor_b64 s[0:1], s[0:1], s[8:9]
	v_cndmask_b32_e32 v18, v18, v20, vcc
	v_cmp_gt_f32_e32 vcc, 0, v3
	v_cmp_eq_f32_e64 s[8:9], 0, v3
	v_cndmask_b32_e64 v22, 0, v3, s[2:3]
	v_cndmask_b32_e32 v17, v17, v19, vcc
	v_cndmask_b32_e64 v19, v15, 0, s[0:1]
	s_xor_b64 s[0:1], s[6:7], s[10:11]
	v_cndmask_b32_e64 v20, v15, 0, s[0:1]
	v_cmp_neq_f32_e64 vcc, |v2|, 1.0
	v_cmp_eq_f32_e64 s[6:7], 0, v2
	v_cmp_gt_f32_e64 s[10:11], 0, v8
	v_cndmask_b32_e32 v20, 1.0, v20, vcc
	v_cmp_neq_f32_e64 vcc, |v3|, 1.0
	s_xor_b64 s[10:11], s[10:11], s[6:7]
	v_cmp_class_f32_e64 s[0:1], v3, v13
	v_cndmask_b32_e32 v19, 1.0, v19, vcc
	v_cmp_class_f32_e32 vcc, v9, v13
	s_nop 1
	v_cndmask_b32_e32 v17, v17, v19, vcc
	v_cmp_class_f32_e32 vcc, v8, v13
	v_cndmask_b32_e64 v19, v15, 0, s[10:11]
	s_xor_b64 s[10:11], s[12:13], s[8:9]
	v_cndmask_b32_e32 v18, v18, v20, vcc
	v_cmp_class_f32_e32 vcc, v2, v13
	v_cndmask_b32_e64 v20, v15, 0, s[10:11]
	v_bfi_b32 v19, s28, v19, v21
	s_or_b64 vcc, s[6:7], vcc
	v_bfi_b32 v20, s28, v20, v22
	v_cndmask_b32_e32 v18, v18, v19, vcc
	s_or_b64 vcc, s[8:9], s[0:1]
	v_cndmask_b32_e32 v17, v17, v20, vcc
	v_cmp_o_f32_e32 vcc, v3, v9
	s_nop 1
	v_cndmask_b32_e32 v3, v16, v17, vcc
	v_cmp_o_f32_e32 vcc, v2, v8
	s_nop 1
	v_cndmask_b32_e32 v2, v16, v18, vcc
	v_cmp_neq_f32_e32 vcc, 1.0, v5
	s_nop 1
	v_cndmask_b32_e32 v9, 1.0, v10, vcc
	v_cmp_neq_f32_e32 vcc, 1.0, v4
	v_cmp_gt_f32_e64 s[12:13], 0, v9
	s_nop 0
	v_cndmask_b32_e32 v8, 1.0, v11, vcc
	v_cmp_neq_f32_e32 vcc, 0, v9
	v_cmp_neq_f32_e64 s[6:7], v8, |v8|
	s_nop 0
	v_cndmask_b32_e32 v17, 1.0, v5, vcc
	v_cmp_neq_f32_e32 vcc, 0, v8
	v_cmp_lt_f32_e64 s[8:9], |v17|, 1.0
	s_nop 0
	v_cndmask_b32_e32 v38, 1.0, v4, vcc
	v_frexp_mant_f32_e64 v4, |v38|
	v_cmp_gt_f32_e32 vcc, s22, v4
	v_cmp_lt_f32_e64 s[10:11], |v38|, 1.0
	s_nop 0
	v_cndmask_b32_e64 v5, 1.0, 2.0, vcc
	v_mul_f32_e32 v4, v4, v5
	v_add_f32_e32 v19, 1.0, v4
	v_rcp_f32_e32 v24, v19
	v_add_f32_e32 v5, -1.0, v19
	v_sub_f32_e32 v21, v4, v5
	v_add_f32_e32 v5, -1.0, v4
	v_mul_f32_e32 v25, v5, v24
	v_mul_f32_e32 v18, v19, v25
	v_fma_f32 v20, v25, v19, -v18
	v_fmac_f32_e32 v20, v25, v21
	v_add_f32_e32 v4, v18, v20
	v_sub_f32_e32 v19, v5, v4
	v_pk_add_f32 v[22:23], v[4:5], v[18:19] neg_lo:[0,1] neg_hi:[0,1]
	v_mov_b32_e32 v21, v4
	v_pk_add_f32 v[4:5], v[22:23], v[20:21] neg_lo:[0,1] neg_hi:[0,1]
	s_nop 0
	v_add_f32_e32 v4, v4, v5
	v_add_f32_e32 v4, v19, v4
	v_mul_f32_e32 v5, v24, v4
	v_add_f32_e32 v4, v25, v5
	v_sub_f32_e32 v18, v4, v25
	v_sub_f32_e32 v26, v5, v18
	v_mul_f32_e32 v5, v4, v4
	v_fma_f32 v19, v4, v4, -v5
	v_add_f32_e32 v18, v26, v26
	v_fmac_f32_e32 v19, v4, v18
	v_add_f32_e32 v18, v5, v19
	v_fmamk_f32 v20, v18, 0x3e76c4e1, v12
	v_fmaak_f32 v20, v18, v20, 0x3ecccdef
	v_sub_f32_e32 v5, v18, v5
	v_sub_f32_e32 v27, v19, v5
	v_mul_f32_e32 v5, v18, v20
	v_fma_f32 v19, v18, v20, -v5
	v_fmac_f32_e32 v19, v27, v20
	v_add_f32_e32 v20, v5, v19
	v_add_f32_e32 v21, 0x3f2aaaaa, v20
	v_sub_f32_e32 v5, v20, v5
	v_sub_f32_e32 v5, v19, v5
	v_add_f32_e32 v19, 0xbf2aaaaa, v21
	v_add_f32_e32 v5, 0x31739010, v5
	v_sub_f32_e32 v19, v20, v19
	v_pk_mul_f32 v[22:23], v[4:5], v[18:19]
	v_pk_add_f32 v[24:25], v[4:5], v[18:19]
	v_fma_f32 v20, v18, v4, -v22
	v_fmac_f32_e32 v20, v18, v26
	v_mov_b32_e32 v23, v25
	v_fmac_f32_e32 v20, v27, v4
	v_pk_add_f32 v[18:19], v[22:23], v[20:21]
	v_ldexp_f32 v28, v26, 1
	v_sub_f32_e32 v5, v18, v22
	v_sub_f32_e32 v5, v20, v5
	;; [unrolled: 1-line block ×3, first 2 shown]
	v_add_f32_e32 v24, v25, v20
	v_pk_mul_f32 v[20:21], v[18:19], v[18:19] op_sel:[0,1] op_sel_hi:[1,0]
	v_cvt_f64_f32_e64 v[22:23], |v38|
	v_frexp_exp_i32_f64_e32 v21, v[22:23]
	v_subbrev_co_u32_e32 v21, vcc, 0, v21, vcc
	v_cvt_f32_i32_e32 v21, v21
	v_fma_f32 v22, v18, v19, -v20
	v_fmac_f32_e32 v22, v18, v24
	v_fmac_f32_e32 v22, v5, v19
	v_mul_f32_e32 v18, 0x3f317218, v21
	v_fma_f32 v24, v21, s23, -v18
	v_fmac_f32_e32 v24, 0xb102e308, v21
	v_ldexp_f32 v25, v4, 1
	v_add_f32_e32 v19, v20, v22
	v_pk_add_f32 v[4:5], v[18:19], v[24:25]
	v_mov_b32_e32 v26, v19
	v_mov_b32_e32 v27, v5
	;; [unrolled: 1-line block ×3, first 2 shown]
	v_pk_add_f32 v[20:21], v[26:27], v[20:21] neg_lo:[0,1] neg_hi:[0,1]
	v_mov_b32_e32 v23, v19
	v_pk_add_f32 v[20:21], v[22:23], v[20:21] neg_lo:[0,1] neg_hi:[0,1]
	v_mov_b32_e32 v25, v4
	v_add_f32_e32 v19, v28, v20
	v_add_f32_e32 v19, v19, v21
	v_pk_add_f32 v[20:21], v[4:5], v[18:19] neg_lo:[0,1] neg_hi:[0,1]
	v_pk_add_f32 v[22:23], v[4:5], v[18:19]
	v_mov_b32_e32 v18, v19
	v_mov_b32_e32 v21, v23
	v_pk_add_f32 v[26:27], v[24:25], v[20:21] neg_lo:[0,1] neg_hi:[0,1]
	v_pk_add_f32 v[20:21], v[24:25], v[20:21]
	v_mov_b32_e32 v19, v4
	v_pk_add_f32 v[24:25], v[20:21], v[4:5] op_sel:[1,0] op_sel_hi:[0,1] neg_lo:[0,1] neg_hi:[0,1]
	v_pk_add_f32 v[28:29], v[22:23], v[24:25] op_sel_hi:[1,0] neg_lo:[0,1] neg_hi:[0,1]
	v_mov_b32_e32 v20, v23
	v_pk_mov_b32 v[22:23], v[4:5], v[24:25] op_sel:[1,0]
	v_mov_b32_e32 v28, v26
	v_pk_add_f32 v[22:23], v[20:21], v[22:23] neg_lo:[0,1] neg_hi:[0,1]
	v_mov_b32_e32 v27, v21
	v_pk_add_f32 v[4:5], v[18:19], v[22:23] neg_lo:[0,1] neg_hi:[0,1]
	s_nop 0
	v_pk_add_f32 v[18:19], v[28:29], v[4:5]
	v_frexp_mant_f32_e64 v5, |v17|
	v_cmp_gt_f32_e32 vcc, s22, v5
	s_nop 1
	v_cndmask_b32_e64 v20, 1.0, 2.0, vcc
	v_mul_f32_e32 v5, v5, v20
	v_add_f32_e32 v20, 1.0, v5
	v_rcp_f32_e32 v32, v20
	v_add_f32_e32 v22, -1.0, v20
	v_add_f32_e32 v23, -1.0, v5
	v_sub_f32_e32 v22, v5, v22
	v_mul_f32_e32 v5, v23, v32
	v_mul_f32_e32 v24, v20, v5
	v_fma_f32 v28, v5, v20, -v24
	v_fmac_f32_e32 v28, v5, v22
	v_add_f32_e32 v22, v24, v28
	v_sub_f32_e32 v25, v23, v22
	v_pk_add_f32 v[30:31], v[22:23], v[24:25] neg_lo:[0,1] neg_hi:[0,1]
	v_mov_b32_e32 v29, v22
	v_pk_add_f32 v[22:23], v[30:31], v[28:29] neg_lo:[0,1] neg_hi:[0,1]
	s_nop 0
	v_add_f32_e32 v20, v22, v23
	v_add_f32_e32 v20, v25, v20
	v_mul_f32_e32 v20, v32, v20
	v_add_f32_e32 v22, v5, v20
	v_sub_f32_e32 v5, v22, v5
	v_sub_f32_e32 v5, v20, v5
	v_mul_f32_e32 v20, v22, v22
	v_fma_f32 v23, v22, v22, -v20
	v_add_f32_e32 v24, v5, v5
	v_fmac_f32_e32 v23, v22, v24
	v_add_f32_e32 v24, v20, v23
	v_fmamk_f32 v25, v24, 0x3e76c4e1, v12
	v_fmaak_f32 v25, v24, v25, 0x3ecccdef
	v_sub_f32_e32 v20, v24, v20
	v_sub_f32_e32 v20, v23, v20
	v_mul_f32_e32 v23, v24, v25
	v_fma_f32 v28, v24, v25, -v23
	v_fmac_f32_e32 v28, v20, v25
	v_add_f32_e32 v25, v23, v28
	v_add_f32_e32 v29, 0x3f2aaaaa, v25
	v_sub_f32_e32 v23, v25, v23
	v_sub_f32_e32 v23, v28, v23
	v_add_f32_e32 v28, 0xbf2aaaaa, v29
	v_add_f32_e32 v23, 0x31739010, v23
	v_sub_f32_e32 v25, v25, v28
	v_pk_mul_f32 v[30:31], v[22:23], v[24:25]
	v_pk_add_f32 v[32:33], v[22:23], v[24:25]
	v_fma_f32 v28, v24, v22, -v30
	v_fmac_f32_e32 v28, v24, v5
	v_mov_b32_e32 v31, v33
	v_fmac_f32_e32 v28, v20, v22
	v_pk_add_f32 v[24:25], v[30:31], v[28:29]
	v_ldexp_f32 v5, v5, 1
	v_sub_f32_e32 v20, v24, v30
	v_sub_f32_e32 v20, v28, v20
	;; [unrolled: 1-line block ×3, first 2 shown]
	v_pk_mul_f32 v[28:29], v[24:25], v[24:25] op_sel:[0,1] op_sel_hi:[1,0]
	v_cvt_f64_f32_e64 v[30:31], |v17|
	v_frexp_exp_i32_f64_e32 v29, v[30:31]
	v_subbrev_co_u32_e32 v29, vcc, 0, v29, vcc
	v_cvt_f32_i32_e32 v29, v29
	v_add_f32_e32 v23, v33, v23
	v_fma_f32 v30, v24, v25, -v28
	v_fmac_f32_e32 v30, v24, v23
	v_mul_f32_e32 v24, 0x3f317218, v29
	v_fmac_f32_e32 v30, v20, v25
	v_fma_f32 v32, v29, s23, -v24
	v_fmac_f32_e32 v32, 0xb102e308, v29
	v_ldexp_f32 v33, v22, 1
	v_add_f32_e32 v25, v28, v30
	v_pk_add_f32 v[22:23], v[24:25], v[32:33]
	v_mov_b32_e32 v34, v25
	v_mov_b32_e32 v35, v23
	v_mov_b32_e32 v29, v33
	v_pk_add_f32 v[28:29], v[34:35], v[28:29] neg_lo:[0,1] neg_hi:[0,1]
	v_mov_b32_e32 v31, v25
	v_pk_add_f32 v[28:29], v[30:31], v[28:29] neg_lo:[0,1] neg_hi:[0,1]
	v_mov_b32_e32 v33, v22
	v_add_f32_e32 v5, v5, v28
	v_add_f32_e32 v25, v5, v29
	v_pk_add_f32 v[28:29], v[22:23], v[24:25] neg_lo:[0,1] neg_hi:[0,1]
	v_pk_add_f32 v[30:31], v[22:23], v[24:25]
	v_mov_b32_e32 v24, v25
	v_mov_b32_e32 v29, v31
	v_pk_add_f32 v[34:35], v[32:33], v[28:29] neg_lo:[0,1] neg_hi:[0,1]
	v_pk_add_f32 v[28:29], v[32:33], v[28:29]
	v_mov_b32_e32 v25, v22
	v_pk_add_f32 v[32:33], v[28:29], v[22:23] op_sel:[1,0] op_sel_hi:[0,1] neg_lo:[0,1] neg_hi:[0,1]
	v_pk_add_f32 v[36:37], v[30:31], v[32:33] op_sel_hi:[1,0] neg_lo:[0,1] neg_hi:[0,1]
	v_mov_b32_e32 v28, v31
	v_pk_mov_b32 v[30:31], v[22:23], v[32:33] op_sel:[1,0]
	v_mov_b32_e32 v36, v34
	v_pk_add_f32 v[30:31], v[28:29], v[30:31] neg_lo:[0,1] neg_hi:[0,1]
	v_mov_b32_e32 v32, v19
	v_pk_add_f32 v[22:23], v[24:25], v[30:31] neg_lo:[0,1] neg_hi:[0,1]
	v_mov_b32_e32 v30, v18
	v_pk_add_f32 v[24:25], v[36:37], v[22:23]
	v_mov_b32_e32 v28, v21
	v_mov_b32_e32 v31, v24
	;; [unrolled: 1-line block ×3, first 2 shown]
	v_pk_add_f32 v[32:33], v[30:31], v[32:33]
	v_mov_b32_e32 v35, v29
	v_pk_add_f32 v[20:21], v[28:29], v[32:33]
	v_mov_b32_e32 v5, v32
	v_mov_b32_e32 v19, v20
	;; [unrolled: 1-line block ×3, first 2 shown]
	v_pk_add_f32 v[18:19], v[18:19], v[26:27] neg_lo:[0,1] neg_hi:[0,1]
	v_pk_add_f32 v[24:25], v[24:25], v[34:35] neg_lo:[0,1] neg_hi:[0,1]
	;; [unrolled: 1-line block ×3, first 2 shown]
	v_mov_b32_e32 v19, v24
	v_mov_b32_e32 v23, v33
	v_pk_add_f32 v[18:19], v[30:31], v[18:19] neg_lo:[0,1] neg_hi:[0,1]
	v_mov_b32_e32 v27, v34
	v_pk_add_f32 v[22:23], v[22:23], v[24:25] neg_lo:[0,1] neg_hi:[0,1]
	v_pk_add_f32 v[18:19], v[26:27], v[18:19] neg_lo:[0,1] neg_hi:[0,1]
	v_mov_b32_e32 v24, v4
	v_mov_b32_e32 v25, v22
	v_pk_add_f32 v[18:19], v[24:25], v[18:19]
	v_mov_b32_e32 v22, v5
	v_pk_add_f32 v[4:5], v[18:19], v[22:23]
	v_trunc_f32_e32 v26, v8
	v_pk_add_f32 v[18:19], v[20:21], v[4:5]
	s_nop 0
	v_pk_add_f32 v[20:21], v[18:19], v[20:21] neg_lo:[0,1] neg_hi:[0,1]
	s_nop 0
	v_pk_add_f32 v[4:5], v[4:5], v[20:21] neg_lo:[0,1] neg_hi:[0,1]
	v_pk_mul_f32 v[20:21], v[8:9], v[18:19]
	s_nop 0
	v_fma_f32 v18, v8, v18, -v20
	v_fmac_f32_e32 v18, v8, v4
	v_add_f32_e32 v4, v20, v18
	v_cmp_class_f32_e32 vcc, v20, v13
	v_sub_f32_e32 v22, v4, v20
	v_sub_f32_e32 v22, v18, v22
	v_cndmask_b32_e32 v24, v4, v20, vcc
	v_fma_f32 v4, v9, v19, -v21
	v_fmac_f32_e32 v4, v9, v5
	v_add_f32_e32 v5, v21, v4
	v_sub_f32_e32 v18, v5, v21
	v_cmp_eq_f32_e32 vcc, s24, v24
	v_sub_f32_e32 v18, v4, v18
	s_nop 0
	v_cndmask_b32_e32 v4, 0, v14, vcc
	v_sub_f32_e32 v19, v24, v4
	v_mul_f32_e32 v20, 0x3fb8aa3b, v19
	v_fma_f32 v23, v19, s26, -v20
	v_rndne_f32_e32 v25, v20
	v_fmac_f32_e32 v23, 0x32a5705f, v19
	v_sub_f32_e32 v20, v20, v25
	v_add_f32_e32 v20, v20, v23
	v_exp_f32_e32 v20, v20
	v_cvt_i32_f32_e32 v23, v25
	v_cmp_class_f32_e32 vcc, v21, v13
	s_nop 1
	v_cndmask_b32_e32 v25, v5, v21, vcc
	v_cmp_class_f32_e64 s[0:1], v25, s25
	v_cmp_ngt_f32_e32 vcc, s27, v19
	s_nop 0
	v_cndmask_b32_e64 v5, v18, 0, s[0:1]
	v_ldexp_f32 v18, v20, v23
	v_cndmask_b32_e32 v18, 0, v18, vcc
	v_cmp_nlt_f32_e32 vcc, s24, v19
	v_cmp_class_f32_e64 s[0:1], v24, s25
	v_pk_mul_f32 v[20:21], v[8:9], 0.5 op_sel_hi:[1,0]
	v_cndmask_b32_e32 v18, v15, v18, vcc
	v_cmp_eq_f32_e32 vcc, s24, v25
	v_cndmask_b32_e64 v22, v22, 0, s[0:1]
	v_trunc_f32_e32 v27, v20
	v_cndmask_b32_e32 v23, 0, v14, vcc
	v_sub_f32_e32 v19, v25, v23
	v_mul_f32_e32 v25, 0x3fb8aa3b, v19
	v_fma_f32 v28, v19, s26, -v25
	v_rndne_f32_e32 v29, v25
	v_fmac_f32_e32 v28, 0x32a5705f, v19
	v_sub_f32_e32 v25, v25, v29
	v_add_f32_e32 v25, v25, v28
	v_exp_f32_e32 v25, v25
	v_cvt_i32_f32_e32 v28, v29
	v_pk_add_f32 v[4:5], v[22:23], v[4:5]
	v_cmp_ngt_f32_e32 vcc, s27, v19
	v_cmp_eq_f32_e64 s[0:1], v26, v8
	v_ldexp_f32 v22, v25, v28
	v_cndmask_b32_e32 v22, 0, v22, vcc
	v_cmp_nlt_f32_e32 vcc, s24, v19
	v_cmp_neq_f32_e64 s[4:5], v27, v20
	s_and_b64 s[4:5], s[0:1], s[4:5]
	v_cndmask_b32_e32 v19, v15, v22, vcc
	v_pk_fma_f32 v[4:5], v[18:19], v[4:5], v[18:19]
	v_cmp_class_f32_e32 vcc, v19, v13
	v_cndmask_b32_e64 v20, 0, v38, s[4:5]
	s_nop 0
	v_cndmask_b32_e32 v5, v5, v19, vcc
	v_cmp_class_f32_e32 vcc, v18, v13
	v_cndmask_b32_e64 v19, 1.0, v38, s[4:5]
	s_nop 0
	v_cndmask_b32_e32 v4, v4, v18, vcc
	v_trunc_f32_e32 v18, v9
	v_cmp_eq_f32_e32 vcc, v18, v9
	v_trunc_f32_e32 v18, v21
	v_cmp_neq_f32_e64 s[2:3], v18, v21
	s_and_b64 s[2:3], vcc, s[2:3]
	v_bfi_b32 v4, s28, v4, v19
	v_cndmask_b32_e64 v18, 1.0, v17, s[2:3]
	v_bfi_b32 v5, s28, v5, v18
	v_cndmask_b32_e32 v18, v16, v5, vcc
	v_cndmask_b32_e64 v19, v16, v4, s[0:1]
	v_cmp_gt_f32_e32 vcc, 0, v38
	v_cmp_neq_f32_e64 s[0:1], v9, |v9|
	s_xor_b64 s[0:1], s[0:1], s[8:9]
	v_cndmask_b32_e32 v4, v4, v19, vcc
	v_cmp_gt_f32_e32 vcc, 0, v17
	v_cmp_eq_f32_e64 s[8:9], 0, v17
	v_cndmask_b32_e64 v21, 0, v17, s[2:3]
	v_cndmask_b32_e32 v5, v5, v18, vcc
	v_cndmask_b32_e64 v18, v15, 0, s[0:1]
	s_xor_b64 s[0:1], s[6:7], s[10:11]
	v_cndmask_b32_e64 v19, v15, 0, s[0:1]
	v_cmp_neq_f32_e64 vcc, |v38|, 1.0
	v_cmp_eq_f32_e64 s[6:7], 0, v38
	v_cmp_gt_f32_e64 s[10:11], 0, v8
	v_cndmask_b32_e32 v19, 1.0, v19, vcc
	v_cmp_neq_f32_e64 vcc, |v17|, 1.0
	s_xor_b64 s[10:11], s[10:11], s[6:7]
	v_cmp_class_f32_e64 s[0:1], v17, v13
	v_cndmask_b32_e32 v18, 1.0, v18, vcc
	v_cmp_class_f32_e32 vcc, v9, v13
	s_nop 1
	v_cndmask_b32_e32 v5, v5, v18, vcc
	v_cmp_class_f32_e32 vcc, v8, v13
	v_cndmask_b32_e64 v18, v15, 0, s[10:11]
	s_xor_b64 s[10:11], s[12:13], s[8:9]
	v_cndmask_b32_e32 v4, v4, v19, vcc
	v_cmp_class_f32_e32 vcc, v38, v13
	v_cndmask_b32_e64 v19, v15, 0, s[10:11]
	v_bfi_b32 v18, s28, v18, v20
	s_or_b64 vcc, s[6:7], vcc
	v_bfi_b32 v19, s28, v19, v21
	v_cndmask_b32_e32 v4, v4, v18, vcc
	s_or_b64 vcc, s[8:9], s[0:1]
	v_cndmask_b32_e32 v5, v5, v19, vcc
	v_cmp_o_f32_e32 vcc, v17, v9
	s_nop 1
	v_cndmask_b32_e32 v5, v16, v5, vcc
	v_cmp_o_f32_e32 vcc, v38, v8
	s_nop 1
	v_cndmask_b32_e32 v4, v16, v4, vcc
	global_store_dwordx4 v[6:7], v[2:5], off offset:-8
	v_lshl_add_u64 v[6:7], v[6:7], 0, s[16:17]
	s_nop 0
	v_lshlrev_b64 v[2:3], 2, v[0:1]
	v_cmp_le_i64_e32 vcc, s[20:21], v[2:3]
	s_or_b64 s[18:19], vcc, s[18:19]
	s_andn2_b64 exec, exec, s[18:19]
	s_cbranch_execnz .LBB54_24
.LBB54_25:
	s_endpgm
	.section	.rodata,"a",@progbits
	.p2align	6, 0x0
	.amdhsa_kernel _ZN2at6native12_GLOBAL__N_125multi_tensor_apply_kernelINS1_18TensorListMetadataILi1EEENS1_21BinaryOpScalarFunctorIfLi1ELi1ELi0EEEJNS1_13power_functorIfEEfEEEvT_T0_DpT1_
		.amdhsa_group_segment_fixed_size 0
		.amdhsa_private_segment_fixed_size 0
		.amdhsa_kernarg_size 3632
		.amdhsa_user_sgpr_count 2
		.amdhsa_user_sgpr_dispatch_ptr 0
		.amdhsa_user_sgpr_queue_ptr 0
		.amdhsa_user_sgpr_kernarg_segment_ptr 1
		.amdhsa_user_sgpr_dispatch_id 0
		.amdhsa_user_sgpr_kernarg_preload_length 0
		.amdhsa_user_sgpr_kernarg_preload_offset 0
		.amdhsa_user_sgpr_private_segment_size 0
		.amdhsa_uses_dynamic_stack 0
		.amdhsa_enable_private_segment 0
		.amdhsa_system_sgpr_workgroup_id_x 1
		.amdhsa_system_sgpr_workgroup_id_y 0
		.amdhsa_system_sgpr_workgroup_id_z 0
		.amdhsa_system_sgpr_workgroup_info 0
		.amdhsa_system_vgpr_workitem_id 0
		.amdhsa_next_free_vgpr 41
		.amdhsa_next_free_sgpr 51
		.amdhsa_accum_offset 44
		.amdhsa_reserve_vcc 1
		.amdhsa_float_round_mode_32 0
		.amdhsa_float_round_mode_16_64 0
		.amdhsa_float_denorm_mode_32 3
		.amdhsa_float_denorm_mode_16_64 3
		.amdhsa_dx10_clamp 1
		.amdhsa_ieee_mode 1
		.amdhsa_fp16_overflow 0
		.amdhsa_tg_split 0
		.amdhsa_exception_fp_ieee_invalid_op 0
		.amdhsa_exception_fp_denorm_src 0
		.amdhsa_exception_fp_ieee_div_zero 0
		.amdhsa_exception_fp_ieee_overflow 0
		.amdhsa_exception_fp_ieee_underflow 0
		.amdhsa_exception_fp_ieee_inexact 0
		.amdhsa_exception_int_div_zero 0
	.end_amdhsa_kernel
	.section	.text._ZN2at6native12_GLOBAL__N_125multi_tensor_apply_kernelINS1_18TensorListMetadataILi1EEENS1_21BinaryOpScalarFunctorIfLi1ELi1ELi0EEEJNS1_13power_functorIfEEfEEEvT_T0_DpT1_,"axG",@progbits,_ZN2at6native12_GLOBAL__N_125multi_tensor_apply_kernelINS1_18TensorListMetadataILi1EEENS1_21BinaryOpScalarFunctorIfLi1ELi1ELi0EEEJNS1_13power_functorIfEEfEEEvT_T0_DpT1_,comdat
.Lfunc_end54:
	.size	_ZN2at6native12_GLOBAL__N_125multi_tensor_apply_kernelINS1_18TensorListMetadataILi1EEENS1_21BinaryOpScalarFunctorIfLi1ELi1ELi0EEEJNS1_13power_functorIfEEfEEEvT_T0_DpT1_, .Lfunc_end54-_ZN2at6native12_GLOBAL__N_125multi_tensor_apply_kernelINS1_18TensorListMetadataILi1EEENS1_21BinaryOpScalarFunctorIfLi1ELi1ELi0EEEJNS1_13power_functorIfEEfEEEvT_T0_DpT1_
                                        ; -- End function
	.set _ZN2at6native12_GLOBAL__N_125multi_tensor_apply_kernelINS1_18TensorListMetadataILi1EEENS1_21BinaryOpScalarFunctorIfLi1ELi1ELi0EEEJNS1_13power_functorIfEEfEEEvT_T0_DpT1_.num_vgpr, 41
	.set _ZN2at6native12_GLOBAL__N_125multi_tensor_apply_kernelINS1_18TensorListMetadataILi1EEENS1_21BinaryOpScalarFunctorIfLi1ELi1ELi0EEEJNS1_13power_functorIfEEfEEEvT_T0_DpT1_.num_agpr, 0
	.set _ZN2at6native12_GLOBAL__N_125multi_tensor_apply_kernelINS1_18TensorListMetadataILi1EEENS1_21BinaryOpScalarFunctorIfLi1ELi1ELi0EEEJNS1_13power_functorIfEEfEEEvT_T0_DpT1_.numbered_sgpr, 51
	.set _ZN2at6native12_GLOBAL__N_125multi_tensor_apply_kernelINS1_18TensorListMetadataILi1EEENS1_21BinaryOpScalarFunctorIfLi1ELi1ELi0EEEJNS1_13power_functorIfEEfEEEvT_T0_DpT1_.num_named_barrier, 0
	.set _ZN2at6native12_GLOBAL__N_125multi_tensor_apply_kernelINS1_18TensorListMetadataILi1EEENS1_21BinaryOpScalarFunctorIfLi1ELi1ELi0EEEJNS1_13power_functorIfEEfEEEvT_T0_DpT1_.private_seg_size, 0
	.set _ZN2at6native12_GLOBAL__N_125multi_tensor_apply_kernelINS1_18TensorListMetadataILi1EEENS1_21BinaryOpScalarFunctorIfLi1ELi1ELi0EEEJNS1_13power_functorIfEEfEEEvT_T0_DpT1_.uses_vcc, 1
	.set _ZN2at6native12_GLOBAL__N_125multi_tensor_apply_kernelINS1_18TensorListMetadataILi1EEENS1_21BinaryOpScalarFunctorIfLi1ELi1ELi0EEEJNS1_13power_functorIfEEfEEEvT_T0_DpT1_.uses_flat_scratch, 0
	.set _ZN2at6native12_GLOBAL__N_125multi_tensor_apply_kernelINS1_18TensorListMetadataILi1EEENS1_21BinaryOpScalarFunctorIfLi1ELi1ELi0EEEJNS1_13power_functorIfEEfEEEvT_T0_DpT1_.has_dyn_sized_stack, 0
	.set _ZN2at6native12_GLOBAL__N_125multi_tensor_apply_kernelINS1_18TensorListMetadataILi1EEENS1_21BinaryOpScalarFunctorIfLi1ELi1ELi0EEEJNS1_13power_functorIfEEfEEEvT_T0_DpT1_.has_recursion, 0
	.set _ZN2at6native12_GLOBAL__N_125multi_tensor_apply_kernelINS1_18TensorListMetadataILi1EEENS1_21BinaryOpScalarFunctorIfLi1ELi1ELi0EEEJNS1_13power_functorIfEEfEEEvT_T0_DpT1_.has_indirect_call, 0
	.section	.AMDGPU.csdata,"",@progbits
; Kernel info:
; codeLenInByte = 9288
; TotalNumSgprs: 57
; NumVgprs: 41
; NumAgprs: 0
; TotalNumVgprs: 41
; ScratchSize: 0
; MemoryBound: 0
; FloatMode: 240
; IeeeMode: 1
; LDSByteSize: 0 bytes/workgroup (compile time only)
; SGPRBlocks: 7
; VGPRBlocks: 5
; NumSGPRsForWavesPerEU: 57
; NumVGPRsForWavesPerEU: 41
; AccumOffset: 44
; Occupancy: 8
; WaveLimiterHint : 0
; COMPUTE_PGM_RSRC2:SCRATCH_EN: 0
; COMPUTE_PGM_RSRC2:USER_SGPR: 2
; COMPUTE_PGM_RSRC2:TRAP_HANDLER: 0
; COMPUTE_PGM_RSRC2:TGID_X_EN: 1
; COMPUTE_PGM_RSRC2:TGID_Y_EN: 0
; COMPUTE_PGM_RSRC2:TGID_Z_EN: 0
; COMPUTE_PGM_RSRC2:TIDIG_COMP_CNT: 0
; COMPUTE_PGM_RSRC3_GFX90A:ACCUM_OFFSET: 10
; COMPUTE_PGM_RSRC3_GFX90A:TG_SPLIT: 0
	.text
	.p2align	2                               ; -- Begin function _ZN2at6native12_GLOBAL__N_14pow_IdEEN3c107complexIT_EES6_S6_
	.type	_ZN2at6native12_GLOBAL__N_14pow_IdEEN3c107complexIT_EES6_S6_,@function
_ZN2at6native12_GLOBAL__N_14pow_IdEEN3c107complexIT_EES6_S6_: ; @_ZN2at6native12_GLOBAL__N_14pow_IdEEN3c107complexIT_EES6_S6_
; %bb.0:
	s_waitcnt vmcnt(0) expcnt(0) lgkmcnt(0)
	v_cmp_o_f64_e32 vcc, v[0:1], v[2:3]
                                        ; implicit-def: $vgpr8_vgpr9
                                        ; implicit-def: $vgpr12_vgpr13
	s_and_saveexec_b64 s[0:1], vcc
	s_xor_b64 s[4:5], exec, s[0:1]
	s_cbranch_execz .LBB55_28
; %bb.1:
	v_and_b32_e32 v16, 0x7fffffff, v1
	v_and_b32_e32 v15, 0x7fffffff, v3
	v_cmp_lt_f64_e64 s[0:1], |v[0:1]|, |v[2:3]|
	s_mov_b32 s2, 0x85ebc8a0
	s_mov_b32 s3, 0x7fd1ccf3
	v_cndmask_b32_e64 v11, v15, v16, s[0:1]
	v_cndmask_b32_e64 v10, v2, v0, s[0:1]
	v_mov_b32_e32 v14, v2
	v_cmp_nlt_f64_e32 vcc, s[2:3], v[10:11]
                                        ; implicit-def: $vgpr8_vgpr9
                                        ; implicit-def: $vgpr12_vgpr13
	s_and_saveexec_b64 s[2:3], vcc
	s_xor_b64 s[6:7], exec, s[2:3]
	s_cbranch_execz .LBB55_25
; %bb.2:
	v_cndmask_b32_e64 v17, v16, v15, s[0:1]
	v_cndmask_b32_e64 v16, v0, v14, s[0:1]
	v_cmp_neq_f64_e32 vcc, 1.0, v[16:17]
                                        ; implicit-def: $vgpr8_vgpr9
                                        ; implicit-def: $vgpr12_vgpr13
	s_and_saveexec_b64 s[2:3], vcc
	s_xor_b64 s[8:9], exec, s[2:3]
	s_cbranch_execz .LBB55_18
; %bb.3:
	v_max_f64 v[8:9], v[10:11], v[10:11]
	v_max_f64 v[12:13], v[16:17], v[16:17]
	s_mov_b32 s2, 0x4ad4b81f
	v_min_f64 v[14:15], v[12:13], v[8:9]
	s_mov_b32 s3, 0x358dee7a
	v_cmp_ngt_f64_e32 vcc, s[2:3], v[14:15]
	s_mov_b32 s2, 0xc57e649a
	v_max_f64 v[8:9], v[12:13], v[8:9]
	s_mov_b32 s3, 0x4a511b0e
	v_cmp_nlt_f64_e64 s[2:3], s[2:3], v[8:9]
	s_and_b64 s[2:3], s[2:3], vcc
                                        ; implicit-def: $vgpr8_vgpr9
                                        ; implicit-def: $vgpr12_vgpr13
	s_and_saveexec_b64 s[10:11], s[2:3]
	s_xor_b64 s[10:11], exec, s[10:11]
	s_cbranch_execz .LBB55_15
; %bb.4:
	v_cmp_le_f64_e32 vcc, 1.0, v[16:17]
                                        ; implicit-def: $vgpr8_vgpr9
                                        ; implicit-def: $vgpr12_vgpr13
	s_and_saveexec_b64 s[2:3], vcc
	s_xor_b64 s[12:13], exec, s[2:3]
	s_cbranch_execz .LBB55_6
; %bb.5:
	v_add_f64 v[8:9], v[16:17], -1.0
	v_add_f64 v[12:13], v[16:17], 1.0
	v_mul_f64 v[12:13], v[8:9], v[12:13]
	v_fmac_f64_e32 v[12:13], v[10:11], v[10:11]
	v_add_f64 v[8:9], v[12:13], 1.0
	v_add_f64 v[10:11], v[8:9], -1.0
	v_add_f64 v[14:15], v[10:11], -v[8:9]
	v_add_f64 v[14:15], v[14:15], 1.0
	v_add_f64 v[10:11], v[12:13], -v[10:11]
	s_mov_b32 s2, 0x55555555
	v_add_f64 v[10:11], v[10:11], v[14:15]
	v_frexp_mant_f64_e32 v[14:15], v[8:9]
	s_mov_b32 s3, 0x3fe55555
	v_frexp_exp_i32_f64_e32 v16, v[8:9]
	v_cmp_gt_f64_e32 vcc, s[2:3], v[14:15]
	s_mov_b32 s2, 0xbf559e2b
	s_mov_b32 s3, 0x3fc3ab76
	v_subbrev_co_u32_e32 v30, vcc, 0, v16, vcc
	v_sub_u32_e32 v14, 0, v30
	v_ldexp_f64 v[8:9], v[8:9], v14
	v_ldexp_f64 v[10:11], v[10:11], v14
	v_add_f64 v[14:15], v[8:9], -1.0
	v_add_f64 v[20:21], v[8:9], 1.0
	v_add_f64 v[16:17], v[14:15], 1.0
	v_add_f64 v[22:23], v[20:21], -1.0
	v_add_f64 v[16:17], v[8:9], -v[16:17]
	v_add_f64 v[8:9], v[8:9], -v[22:23]
	v_add_f64 v[8:9], v[10:11], v[8:9]
	v_add_f64 v[16:17], v[10:11], v[16:17]
	;; [unrolled: 1-line block ×3, first 2 shown]
	v_rcp_f64_e32 v[22:23], v[10:11]
	v_add_f64 v[18:19], v[14:15], v[16:17]
	v_add_f64 v[14:15], v[18:19], -v[14:15]
	v_add_f64 v[14:15], v[16:17], -v[14:15]
	;; [unrolled: 1-line block ×4, first 2 shown]
	v_fma_f64 v[16:17], -v[10:11], v[22:23], 1.0
	v_fmac_f64_e32 v[22:23], v[16:17], v[22:23]
	v_fma_f64 v[16:17], -v[10:11], v[22:23], 1.0
	v_fmac_f64_e32 v[22:23], v[16:17], v[22:23]
	v_mul_f64 v[16:17], v[18:19], v[22:23]
	v_mul_f64 v[20:21], v[10:11], v[16:17]
	v_fma_f64 v[24:25], v[16:17], v[10:11], -v[20:21]
	v_fmac_f64_e32 v[24:25], v[16:17], v[8:9]
	v_add_f64 v[26:27], v[20:21], v[24:25]
	v_add_f64 v[28:29], v[18:19], -v[26:27]
	v_add_f64 v[18:19], v[18:19], -v[28:29]
	;; [unrolled: 1-line block ×4, first 2 shown]
	v_add_f64 v[14:15], v[14:15], v[18:19]
	v_add_f64 v[18:19], v[20:21], -v[24:25]
	v_add_f64 v[14:15], v[18:19], v[14:15]
	v_add_f64 v[18:19], v[28:29], v[14:15]
	v_add_f64 v[20:21], v[28:29], -v[18:19]
	v_add_f64 v[14:15], v[14:15], v[20:21]
	v_mul_f64 v[20:21], v[22:23], v[18:19]
	v_mul_f64 v[24:25], v[10:11], v[20:21]
	v_fma_f64 v[10:11], v[20:21], v[10:11], -v[24:25]
	v_fmac_f64_e32 v[10:11], v[20:21], v[8:9]
	v_add_f64 v[8:9], v[24:25], v[10:11]
	v_add_f64 v[26:27], v[18:19], -v[8:9]
	v_add_f64 v[18:19], v[18:19], -v[26:27]
	;; [unrolled: 1-line block ×4, first 2 shown]
	v_add_f64 v[8:9], v[14:15], v[8:9]
	v_add_f64 v[10:11], v[24:25], -v[10:11]
	v_add_f64 v[8:9], v[10:11], v[8:9]
	v_add_f64 v[10:11], v[16:17], v[20:21]
	;; [unrolled: 1-line block ×3, first 2 shown]
	v_add_f64 v[14:15], v[10:11], -v[16:17]
	v_mul_f64 v[8:9], v[22:23], v[8:9]
	v_add_f64 v[14:15], v[20:21], -v[14:15]
	v_add_f64 v[8:9], v[14:15], v[8:9]
	v_add_f64 v[14:15], v[10:11], v[8:9]
	v_add_f64 v[10:11], v[14:15], -v[10:11]
	v_add_f64 v[8:9], v[8:9], -v[10:11]
	v_mul_f64 v[10:11], v[14:15], v[14:15]
	v_mov_b32_e32 v16, 0x6b47b09a
	v_mov_b32_e32 v17, 0x3fc38538
	v_fmac_f64_e32 v[16:17], s[2:3], v[10:11]
	v_mov_b32_e32 v18, 0xd7f4df2e
	v_mov_b32_e32 v19, 0x3fc7474d
	v_fmac_f64_e32 v[18:19], v[10:11], v[16:17]
	;; [unrolled: 3-line block ×5, first 2 shown]
	v_mov_b32_e32 v18, 0x55555780
	v_mov_b32_e32 v19, 0x3fe55555
	s_mov_b32 s2, 0xfefa39ef
	v_fmac_f64_e32 v[18:19], v[10:11], v[16:17]
	v_cvt_f64_i32_e32 v[16:17], v30
	s_mov_b32 s3, 0x3fe62e42
	v_mul_f64 v[20:21], v[16:17], s[2:3]
	v_fma_f64 v[22:23], v[16:17], s[2:3], -v[20:21]
	s_mov_b32 s2, 0x3b39803f
	s_mov_b32 s3, 0x3c7abc9e
	v_fmac_f64_e32 v[22:23], s[2:3], v[16:17]
	v_add_f64 v[16:17], v[20:21], v[22:23]
	v_add_f64 v[20:21], v[16:17], -v[20:21]
	v_mul_f64 v[10:11], v[14:15], v[10:11]
	v_add_f64 v[20:21], v[22:23], -v[20:21]
	v_ldexp_f64 v[22:23], v[14:15], 1
	v_mul_f64 v[10:11], v[10:11], v[18:19]
	v_add_f64 v[14:15], v[22:23], v[10:11]
	v_add_f64 v[18:19], v[14:15], -v[22:23]
	v_ldexp_f64 v[8:9], v[8:9], 1
	v_add_f64 v[10:11], v[10:11], -v[18:19]
	v_add_f64 v[8:9], v[8:9], v[10:11]
	v_add_f64 v[10:11], v[14:15], v[8:9]
	v_add_f64 v[14:15], v[10:11], -v[14:15]
	v_add_f64 v[8:9], v[8:9], -v[14:15]
	v_add_f64 v[14:15], v[16:17], v[10:11]
	v_add_f64 v[18:19], v[14:15], -v[16:17]
	v_add_f64 v[22:23], v[14:15], -v[18:19]
	v_add_f64 v[16:17], v[16:17], -v[22:23]
	v_add_f64 v[10:11], v[10:11], -v[18:19]
	v_add_f64 v[10:11], v[10:11], v[16:17]
	v_add_f64 v[16:17], v[20:21], v[8:9]
	v_add_f64 v[18:19], v[16:17], -v[20:21]
	v_add_f64 v[10:11], v[16:17], v[10:11]
	v_add_f64 v[22:23], v[16:17], -v[18:19]
	;; [unrolled: 2-line block ×3, first 2 shown]
	v_add_f64 v[8:9], v[8:9], -v[18:19]
	v_add_f64 v[14:15], v[16:17], -v[14:15]
	v_add_f64 v[8:9], v[8:9], v[20:21]
	v_add_f64 v[10:11], v[10:11], -v[14:15]
	v_add_f64 v[8:9], v[8:9], v[10:11]
	s_mov_b32 s2, 0
	v_add_f64 v[8:9], v[16:17], v[8:9]
	s_mov_b32 s3, 0x7ff00000
	v_mul_f64 v[8:9], v[8:9], 0.5
	v_mov_b32_e32 v10, 0x7ff00000
	v_cmp_neq_f64_e32 vcc, s[2:3], v[12:13]
	v_cmp_ngt_f64_e64 s[2:3], -1.0, v[12:13]
	v_max_f64 v[14:15], |v[0:1]|, |v[0:1]|
	v_cndmask_b32_e32 v9, v10, v9, vcc
	v_mov_b32_e32 v10, 0x7ff80000
	v_cndmask_b32_e64 v9, v10, v9, s[2:3]
	v_max_f64 v[10:11], |v[2:3]|, |v[2:3]|
	v_cmp_nge_f64_e64 s[2:3], -1.0, v[12:13]
	v_max_f64 v[16:17], v[14:15], v[10:11]
	v_min_f64 v[10:11], v[14:15], v[10:11]
	s_and_b64 vcc, s[2:3], vcc
	v_div_scale_f64 v[14:15], s[2:3], v[16:17], v[16:17], v[10:11]
	v_rcp_f64_e32 v[18:19], v[14:15]
	v_cndmask_b32_e32 v8, 0, v8, vcc
	v_cmp_neq_f64_e32 vcc, -1.0, v[12:13]
	v_mov_b32_e32 v20, 0xfff00000
	v_fma_f64 v[12:13], -v[14:15], v[18:19], 1.0
	v_fmac_f64_e32 v[18:19], v[18:19], v[12:13]
	v_fma_f64 v[12:13], -v[14:15], v[18:19], 1.0
	v_cndmask_b32_e32 v9, v20, v9, vcc
	v_fmac_f64_e32 v[18:19], v[18:19], v[12:13]
	v_div_scale_f64 v[12:13], vcc, v[10:11], v[16:17], v[10:11]
	v_mul_f64 v[20:21], v[12:13], v[18:19]
	v_fma_f64 v[12:13], -v[14:15], v[20:21], v[12:13]
	s_mov_b32 s2, 0xb5e68a13
	s_nop 0
	v_div_fmas_f64 v[12:13], v[12:13], v[18:19], v[20:21]
	v_div_fixup_f64 v[10:11], v[12:13], v[16:17], v[10:11]
	v_mul_f64 v[12:13], v[10:11], v[10:11]
	v_mov_b32_e32 v14, 0xbd3237f4
	v_mov_b32_e32 v15, 0xbf23e260
	s_mov_b32 s3, 0x3eeba404
	v_fmac_f64_e32 v[14:15], s[2:3], v[12:13]
	v_mov_b32_e32 v16, 0x69efb384
	v_mov_b32_e32 v17, 0x3f4b2bb0
	v_fmac_f64_e32 v[16:17], v[12:13], v[14:15]
	v_mov_b32_e32 v14, 0xaf56de9b
	v_mov_b32_e32 v15, 0xbf67952d
	v_fmac_f64_e32 v[14:15], v[12:13], v[16:17]
	v_mov_b32_e32 v16, 0xa595c56f
	v_mov_b32_e32 v17, 0x3f7d6d43
	v_fmac_f64_e32 v[16:17], v[12:13], v[14:15]
	v_mov_b32_e32 v14, 0xa57d9582
	v_mov_b32_e32 v15, 0xbf8c6ea4
	v_fmac_f64_e32 v[14:15], v[12:13], v[16:17]
	v_mov_b32_e32 v16, 0x5f08b19f
	v_mov_b32_e32 v17, 0x3f967e29
	v_fmac_f64_e32 v[16:17], v[12:13], v[14:15]
	v_mov_b32_e32 v14, 0xfc27006a
	v_mov_b32_e32 v15, 0xbf9e9ae6
	v_fmac_f64_e32 v[14:15], v[12:13], v[16:17]
	v_mov_b32_e32 v16, 0x5711927a
	v_mov_b32_e32 v17, 0x3fa2c15b
	v_fmac_f64_e32 v[16:17], v[12:13], v[14:15]
	v_mov_b32_e32 v14, 0xe82d3ff0
	v_mov_b32_e32 v15, 0xbfa59976
	v_fmac_f64_e32 v[14:15], v[12:13], v[16:17]
	v_mov_b32_e32 v16, 0x6ef28734
	v_mov_b32_e32 v17, 0x3fa82d5d
	v_fmac_f64_e32 v[16:17], v[12:13], v[14:15]
	v_mov_b32_e32 v14, 0x6a214619
	v_mov_b32_e32 v15, 0xbfaae5ce
	v_fmac_f64_e32 v[14:15], v[12:13], v[16:17]
	v_mov_b32_e32 v16, 0x8427b883
	v_mov_b32_e32 v17, 0x3fae1bb4
	v_fmac_f64_e32 v[16:17], v[12:13], v[14:15]
	v_mov_b32_e32 v14, 0x8b207f05
	v_mov_b32_e32 v15, 0xbfb110e4
	v_fmac_f64_e32 v[14:15], v[12:13], v[16:17]
	v_mov_b32_e32 v16, 0x57b87036
	v_mov_b32_e32 v17, 0x3fb3b136
	v_fmac_f64_e32 v[16:17], v[12:13], v[14:15]
	v_mov_b32_e32 v14, 0x19378e4f
	v_mov_b32_e32 v15, 0xbfb745d1
	v_fmac_f64_e32 v[14:15], v[12:13], v[16:17]
	v_mov_b32_e32 v16, 0x17e1913c
	v_mov_b32_e32 v17, 0x3fbc71c7
	v_fmac_f64_e32 v[16:17], v[12:13], v[14:15]
	v_mov_b32_e32 v14, 0x92376b7d
	v_mov_b32_e32 v15, 0xbfc24924
	v_fmac_f64_e32 v[14:15], v[12:13], v[16:17]
	v_mov_b32_e32 v16, 0x999952cc
	v_mov_b32_e32 v17, 0x3fc99999
	v_fmac_f64_e32 v[16:17], v[12:13], v[14:15]
	v_mov_b32_e32 v14, 0x55555523
	v_mov_b32_e32 v15, 0xbfd55555
	v_fmac_f64_e32 v[14:15], v[12:13], v[16:17]
	v_mul_f64 v[12:13], v[12:13], v[14:15]
	s_movk_i32 s14, 0x204
	v_fmac_f64_e32 v[10:11], v[10:11], v[12:13]
	v_cmp_class_f64_e64 s[2:3], v[2:3], s14
	v_cmp_class_f64_e64 s[14:15], v[0:1], s14
	v_mov_b32_e32 v0, 0x54442d18
	v_mov_b32_e32 v12, 0x7f3321d2
	v_cmp_gt_i32_e32 vcc, 0, v1
	v_mov_b32_e32 v13, 0x4002d97c
	s_brev_b32 s17, -2
	v_cndmask_b32_e32 v12, v0, v12, vcc
	v_mov_b32_e32 v0, 0x3fe921fb
	v_cndmask_b32_e32 v0, v0, v13, vcc
	s_mov_b32 s16, 0x54442d18
	v_bfi_b32 v13, s17, v0, v3
	v_ashrrev_i32_e32 v0, 31, v1
	s_mov_b32 s17, 0x3ff921fb
	s_mov_b32 s18, 0x400921fb
	v_and_b32_e32 v14, 0x400921fb, v0
	v_and_b32_e32 v15, 0x54442d18, v0
	v_add_f64 v[0:1], -v[10:11], s[16:17]
	v_cndmask_b32_e64 v1, v11, v1, s[0:1]
	v_cndmask_b32_e64 v0, v10, v0, s[0:1]
	s_mov_b32 s17, s18
	v_add_f64 v[10:11], -v[0:1], s[16:17]
	v_cndmask_b32_e32 v1, v1, v11, vcc
	v_cndmask_b32_e32 v0, v0, v10, vcc
	v_cmp_eq_f64_e32 vcc, 0, v[2:3]
                                        ; implicit-def: $vgpr10_vgpr11
                                        ; implicit-def: $vgpr16_vgpr17
	s_nop 1
	v_cndmask_b32_e32 v0, v0, v15, vcc
	v_cndmask_b32_e32 v1, v1, v14, vcc
	s_and_b64 vcc, s[14:15], s[2:3]
	v_cndmask_b32_e32 v13, v1, v13, vcc
	v_cndmask_b32_e32 v12, v0, v12, vcc
                                        ; implicit-def: $vgpr0_vgpr1
.LBB55_6:
	s_andn2_saveexec_b64 s[12:13], s[12:13]
	s_cbranch_execz .LBB55_14
; %bb.7:
	v_mul_f64 v[14:15], v[10:11], v[10:11]
	s_mov_b32 s2, 0x66666666
	v_fmac_f64_e32 v[14:15], v[16:17], v[16:17]
	s_mov_b32 s3, 0x3fe66666
	v_cmp_ge_f64_e32 vcc, s[2:3], v[14:15]
                                        ; implicit-def: $vgpr8_vgpr9
                                        ; implicit-def: $vgpr12_vgpr13
	s_and_saveexec_b64 s[2:3], vcc
	s_xor_b64 s[2:3], exec, s[2:3]
	s_cbranch_execz .LBB55_9
; %bb.8:
	s_mov_b32 s14, 0x55555555
	v_frexp_mant_f64_e32 v[8:9], v[14:15]
	s_mov_b32 s15, 0x3fe55555
	v_cmp_gt_f64_e32 vcc, s[14:15], v[8:9]
	v_frexp_exp_i32_f64_e32 v10, v[14:15]
	s_mov_b32 s14, 0xbf559e2b
	v_cndmask_b32_e64 v11, 0, 1, vcc
	v_ldexp_f64 v[8:9], v[8:9], v11
	v_subbrev_co_u32_e32 v24, vcc, 0, v10, vcc
	v_add_f64 v[10:11], v[8:9], 1.0
	v_rcp_f64_e32 v[12:13], v[10:11]
	v_add_f64 v[18:19], v[10:11], -1.0
	v_add_f64 v[16:17], v[8:9], -1.0
	v_add_f64 v[8:9], v[8:9], -v[18:19]
	v_fma_f64 v[18:19], -v[10:11], v[12:13], 1.0
	v_fmac_f64_e32 v[12:13], v[18:19], v[12:13]
	v_fma_f64 v[18:19], -v[10:11], v[12:13], 1.0
	v_fmac_f64_e32 v[12:13], v[18:19], v[12:13]
	v_mul_f64 v[18:19], v[16:17], v[12:13]
	v_mul_f64 v[20:21], v[10:11], v[18:19]
	v_fma_f64 v[10:11], v[18:19], v[10:11], -v[20:21]
	v_fmac_f64_e32 v[10:11], v[18:19], v[8:9]
	v_add_f64 v[8:9], v[20:21], v[10:11]
	v_add_f64 v[22:23], v[16:17], -v[8:9]
	v_add_f64 v[20:21], v[8:9], -v[20:21]
	;; [unrolled: 1-line block ×5, first 2 shown]
	v_add_f64 v[8:9], v[10:11], v[8:9]
	v_add_f64 v[8:9], v[22:23], v[8:9]
	v_mul_f64 v[8:9], v[12:13], v[8:9]
	v_add_f64 v[10:11], v[18:19], v[8:9]
	v_add_f64 v[12:13], v[10:11], -v[18:19]
	v_add_f64 v[8:9], v[8:9], -v[12:13]
	v_mul_f64 v[12:13], v[10:11], v[10:11]
	v_mov_b32_e32 v16, 0x6b47b09a
	v_mov_b32_e32 v17, 0x3fc38538
	s_mov_b32 s15, 0x3fc3ab76
	v_fmac_f64_e32 v[16:17], s[14:15], v[12:13]
	v_mov_b32_e32 v18, 0xd7f4df2e
	v_mov_b32_e32 v19, 0x3fc7474d
	v_fmac_f64_e32 v[18:19], v[12:13], v[16:17]
	v_mov_b32_e32 v16, 0x16291751
	v_mov_b32_e32 v17, 0x3fcc71c0
	;; [unrolled: 3-line block ×5, first 2 shown]
	v_fmac_f64_e32 v[18:19], v[12:13], v[16:17]
	v_ldexp_f64 v[16:17], v[10:11], 1
	v_mul_f64 v[10:11], v[10:11], v[12:13]
	v_mul_f64 v[10:11], v[10:11], v[18:19]
	v_add_f64 v[12:13], v[16:17], v[10:11]
	v_add_f64 v[16:17], v[12:13], -v[16:17]
	v_ldexp_f64 v[8:9], v[8:9], 1
	v_add_f64 v[10:11], v[10:11], -v[16:17]
	v_add_f64 v[8:9], v[8:9], v[10:11]
	v_add_f64 v[10:11], v[12:13], v[8:9]
	v_add_f64 v[12:13], v[10:11], -v[12:13]
	s_mov_b32 s14, 0xfefa39ef
	v_add_f64 v[8:9], v[8:9], -v[12:13]
	v_cvt_f64_i32_e32 v[12:13], v24
	s_mov_b32 s15, 0x3fe62e42
	v_mul_f64 v[16:17], v[12:13], s[14:15]
	v_fma_f64 v[18:19], v[12:13], s[14:15], -v[16:17]
	s_mov_b32 s14, 0x3b39803f
	s_mov_b32 s15, 0x3c7abc9e
	v_fmac_f64_e32 v[18:19], s[14:15], v[12:13]
	v_add_f64 v[12:13], v[16:17], v[18:19]
	v_add_f64 v[16:17], v[12:13], -v[16:17]
	v_add_f64 v[16:17], v[18:19], -v[16:17]
	v_add_f64 v[18:19], v[12:13], v[10:11]
	v_add_f64 v[20:21], v[18:19], -v[12:13]
	v_add_f64 v[22:23], v[18:19], -v[20:21]
	;; [unrolled: 1-line block ×4, first 2 shown]
	v_add_f64 v[10:11], v[10:11], v[12:13]
	v_add_f64 v[12:13], v[16:17], v[8:9]
	v_add_f64 v[20:21], v[12:13], -v[16:17]
	v_add_f64 v[22:23], v[12:13], -v[20:21]
	v_add_f64 v[10:11], v[12:13], v[10:11]
	v_add_f64 v[16:17], v[16:17], -v[22:23]
	v_add_f64 v[8:9], v[8:9], -v[20:21]
	v_add_f64 v[12:13], v[18:19], v[10:11]
	v_add_f64 v[8:9], v[8:9], v[16:17]
	v_add_f64 v[16:17], v[12:13], -v[18:19]
	v_add_f64 v[10:11], v[10:11], -v[16:17]
	v_add_f64 v[8:9], v[8:9], v[10:11]
	v_add_f64 v[8:9], v[12:13], v[8:9]
	v_max_f64 v[10:11], |v[2:3]|, |v[2:3]|
	v_max_f64 v[12:13], |v[0:1]|, |v[0:1]|
	v_max_f64 v[16:17], v[12:13], v[10:11]
	v_min_f64 v[10:11], v[12:13], v[10:11]
	v_div_scale_f64 v[12:13], s[14:15], v[16:17], v[16:17], v[10:11]
	v_rcp_f64_e32 v[18:19], v[12:13]
	v_cmp_neq_f64_e32 vcc, 0, v[14:15]
	v_mul_f64 v[8:9], v[8:9], 0.5
	v_mov_b32_e32 v20, 0xfff00000
	v_fma_f64 v[14:15], -v[12:13], v[18:19], 1.0
	v_fmac_f64_e32 v[18:19], v[18:19], v[14:15]
	v_fma_f64 v[14:15], -v[12:13], v[18:19], 1.0
	v_cndmask_b32_e32 v9, v20, v9, vcc
	v_cndmask_b32_e32 v8, 0, v8, vcc
	v_fmac_f64_e32 v[18:19], v[18:19], v[14:15]
	v_div_scale_f64 v[14:15], vcc, v[10:11], v[16:17], v[10:11]
	v_mul_f64 v[20:21], v[14:15], v[18:19]
	v_fma_f64 v[12:13], -v[12:13], v[20:21], v[14:15]
	s_mov_b32 s14, 0xb5e68a13
	s_nop 0
	v_div_fmas_f64 v[12:13], v[12:13], v[18:19], v[20:21]
	v_div_fixup_f64 v[10:11], v[12:13], v[16:17], v[10:11]
	v_mul_f64 v[12:13], v[10:11], v[10:11]
	v_mov_b32_e32 v14, 0xbd3237f4
	v_mov_b32_e32 v15, 0xbf23e260
	s_mov_b32 s15, 0x3eeba404
	v_fmac_f64_e32 v[14:15], s[14:15], v[12:13]
	v_mov_b32_e32 v16, 0x69efb384
	v_mov_b32_e32 v17, 0x3f4b2bb0
	v_fmac_f64_e32 v[16:17], v[12:13], v[14:15]
	v_mov_b32_e32 v14, 0xaf56de9b
	v_mov_b32_e32 v15, 0xbf67952d
	;; [unrolled: 3-line block ×18, first 2 shown]
	v_fmac_f64_e32 v[14:15], v[12:13], v[16:17]
	v_mul_f64 v[12:13], v[12:13], v[14:15]
	s_movk_i32 s16, 0x204
	v_fmac_f64_e32 v[10:11], v[10:11], v[12:13]
	v_cmp_class_f64_e64 s[14:15], v[2:3], s16
	v_cmp_class_f64_e64 s[16:17], v[0:1], s16
	v_mov_b32_e32 v0, 0x54442d18
	v_mov_b32_e32 v12, 0x7f3321d2
	v_cmp_gt_i32_e32 vcc, 0, v1
	v_mov_b32_e32 v13, 0x4002d97c
	s_brev_b32 s19, -2
	v_cndmask_b32_e32 v12, v0, v12, vcc
	v_mov_b32_e32 v0, 0x3fe921fb
	v_cndmask_b32_e32 v0, v0, v13, vcc
	s_mov_b32 s18, 0x54442d18
	v_bfi_b32 v13, s19, v0, v3
	v_ashrrev_i32_e32 v0, 31, v1
	s_mov_b32 s19, 0x3ff921fb
	s_mov_b32 s20, 0x400921fb
	v_and_b32_e32 v14, 0x400921fb, v0
	v_and_b32_e32 v15, 0x54442d18, v0
	v_add_f64 v[0:1], -v[10:11], s[18:19]
	v_cndmask_b32_e64 v1, v11, v1, s[0:1]
	v_cndmask_b32_e64 v0, v10, v0, s[0:1]
	s_mov_b32 s19, s20
	v_add_f64 v[10:11], -v[0:1], s[18:19]
	v_cndmask_b32_e32 v1, v1, v11, vcc
	v_cndmask_b32_e32 v0, v0, v10, vcc
	v_cmp_eq_f64_e32 vcc, 0, v[2:3]
                                        ; implicit-def: $vgpr16_vgpr17
                                        ; implicit-def: $vgpr10_vgpr11
	s_nop 1
	v_cndmask_b32_e32 v0, v0, v15, vcc
	v_cndmask_b32_e32 v1, v1, v14, vcc
	s_and_b64 vcc, s[16:17], s[14:15]
	v_cndmask_b32_e32 v13, v1, v13, vcc
	v_cndmask_b32_e32 v12, v0, v12, vcc
                                        ; implicit-def: $vgpr0_vgpr1
.LBB55_9:
	s_andn2_saveexec_b64 s[14:15], s[2:3]
	s_cbranch_execz .LBB55_13
; %bb.10:
	v_and_b32_e32 v13, 0x7ffffff8, v17
	v_mov_b32_e32 v12, 0
	v_add_f64 v[8:9], v[16:17], -v[12:13]
	v_and_b32_e32 v25, -8, v9
	v_mov_b32_e32 v24, v12
	v_and_b32_e32 v15, 0x7ffffff8, v11
	v_mov_b32_e32 v14, v12
	v_add_f64 v[28:29], v[8:9], -v[24:25]
	v_add_f64 v[8:9], v[10:11], -v[14:15]
	v_and_b32_e32 v27, -8, v9
	v_mov_b32_e32 v26, v12
	v_add_f64 v[18:19], v[12:13], v[12:13]
	v_add_f64 v[32:33], v[14:15], v[14:15]
	v_add_f64 v[30:31], v[8:9], -v[26:27]
	v_mul_f64 v[8:9], v[12:13], v[12:13]
	v_mul_f64 v[10:11], v[14:15], v[14:15]
	;; [unrolled: 1-line block ×6, first 2 shown]
	v_add_f64 v[24:25], v[24:25], v[24:25]
	v_add_f64 v[26:27], v[26:27], v[26:27]
	v_mul_f64 v[20:21], v[18:19], v[28:29]
	v_mul_f64 v[18:19], v[32:33], v[30:31]
	;; [unrolled: 1-line block ×6, first 2 shown]
	s_mov_b64 s[16:17], 0
.LBB55_11:                              ; =>This Inner Loop Header: Depth=1
	v_cmp_nlt_f64_e32 vcc, v[8:9], v[10:11]
	s_nop 1
	v_cndmask_b32_e32 v33, v9, v11, vcc
	v_cndmask_b32_e32 v32, v8, v10, vcc
	v_cmp_nlt_f64_e64 s[2:3], v[32:33], v[16:17]
	v_cndmask_b32_e32 v9, v11, v9, vcc
	v_cndmask_b32_e32 v8, v10, v8, vcc
	v_cndmask_b32_e64 v35, v33, v17, s[2:3]
	v_cndmask_b32_e64 v34, v32, v16, s[2:3]
	s_and_b64 s[18:19], vcc, s[2:3]
	v_cmp_nlt_f64_e32 vcc, v[34:35], v[14:15]
	v_cndmask_b32_e64 v11, v17, v33, s[2:3]
	v_cndmask_b32_e64 v10, v16, v32, s[2:3]
	v_cndmask_b32_e32 v33, v35, v15, vcc
	v_cndmask_b32_e32 v32, v34, v14, vcc
	v_cmp_nlt_f64_e64 s[2:3], v[32:33], v[22:23]
	v_cndmask_b32_e32 v17, v15, v35, vcc
	v_cndmask_b32_e32 v16, v14, v34, vcc
	v_cndmask_b32_e64 v35, v33, v23, s[2:3]
	v_cndmask_b32_e64 v34, v32, v22, s[2:3]
	s_and_b64 s[20:21], vcc, s[2:3]
	v_cmp_nlt_f64_e32 vcc, v[34:35], v[12:13]
	v_cndmask_b32_e64 v15, v23, v33, s[2:3]
	v_cndmask_b32_e64 v14, v22, v32, s[2:3]
	v_cndmask_b32_e32 v33, v35, v13, vcc
	v_cndmask_b32_e32 v32, v34, v12, vcc
	v_cmp_nlt_f64_e64 s[2:3], v[32:33], v[20:21]
	v_cndmask_b32_e32 v23, v13, v35, vcc
	v_cndmask_b32_e32 v22, v12, v34, vcc
	v_cndmask_b32_e64 v35, v33, v21, s[2:3]
	v_cndmask_b32_e64 v34, v32, v20, s[2:3]
	v_cndmask_b32_e64 v13, v21, v33, s[2:3]
	v_cndmask_b32_e64 v12, v20, v32, s[2:3]
	s_and_b64 s[2:3], vcc, s[2:3]
	v_cmp_nlt_f64_e32 vcc, v[34:35], v[18:19]
	s_and_b64 s[2:3], s[2:3], vcc
	s_nop 0
	v_cndmask_b32_e32 v33, v35, v19, vcc
	v_cndmask_b32_e32 v32, v34, v18, vcc
	v_cndmask_b32_e32 v21, v19, v35, vcc
	v_cndmask_b32_e32 v20, v18, v34, vcc
	v_cmp_nlt_f64_e32 vcc, v[32:33], v[24:25]
	s_and_b64 s[2:3], s[2:3], vcc
	s_nop 0
	v_cndmask_b32_e32 v35, v33, v25, vcc
	v_cndmask_b32_e32 v34, v32, v24, vcc
	v_cndmask_b32_e32 v19, v25, v33, vcc
	v_cndmask_b32_e32 v18, v24, v32, vcc
	;; [unrolled: 7-line block ×4, first 2 shown]
	v_cmp_nlt_f64_e32 vcc, v[34:35], v[30:31]
	s_and_b64 s[2:3], s[2:3], vcc
	s_and_b64 s[2:3], s[2:3], s[20:21]
	s_and_b64 s[2:3], s[2:3], s[18:19]
	v_cndmask_b32_e32 v33, v35, v31, vcc
	v_cndmask_b32_e32 v32, v34, v30, vcc
	s_and_b64 s[2:3], exec, s[2:3]
	v_cndmask_b32_e32 v29, v31, v35, vcc
	v_cndmask_b32_e32 v28, v30, v34, vcc
	s_or_b64 s[16:17], s[2:3], s[16:17]
	v_mov_b64_e32 v[30:31], v[32:33]
	s_andn2_b64 exec, exec, s[16:17]
	s_cbranch_execnz .LBB55_11
; %bb.12:
	s_or_b64 exec, exec, s[16:17]
	v_add_f64 v[8:9], v[8:9], -1.0
	v_add_f64 v[8:9], v[8:9], v[10:11]
	v_add_f64 v[8:9], v[8:9], v[16:17]
	;; [unrolled: 1-line block ×11, first 2 shown]
	v_add_f64 v[8:9], v[10:11], 1.0
	v_add_f64 v[12:13], v[8:9], -1.0
	v_add_f64 v[14:15], v[12:13], -v[8:9]
	v_add_f64 v[14:15], v[14:15], 1.0
	v_add_f64 v[12:13], v[10:11], -v[12:13]
	s_mov_b32 s2, 0x55555555
	v_add_f64 v[12:13], v[12:13], v[14:15]
	v_frexp_mant_f64_e32 v[14:15], v[8:9]
	s_mov_b32 s3, 0x3fe55555
	v_frexp_exp_i32_f64_e32 v16, v[8:9]
	v_cmp_gt_f64_e32 vcc, s[2:3], v[14:15]
	s_mov_b32 s2, 0xbf559e2b
	s_mov_b32 s3, 0x3fc3ab76
	v_subbrev_co_u32_e32 v30, vcc, 0, v16, vcc
	v_sub_u32_e32 v14, 0, v30
	v_ldexp_f64 v[8:9], v[8:9], v14
	v_ldexp_f64 v[12:13], v[12:13], v14
	v_add_f64 v[14:15], v[8:9], -1.0
	v_add_f64 v[20:21], v[8:9], 1.0
	v_add_f64 v[16:17], v[14:15], 1.0
	v_add_f64 v[22:23], v[20:21], -1.0
	v_add_f64 v[16:17], v[8:9], -v[16:17]
	v_add_f64 v[8:9], v[8:9], -v[22:23]
	v_add_f64 v[8:9], v[12:13], v[8:9]
	v_add_f64 v[16:17], v[12:13], v[16:17]
	;; [unrolled: 1-line block ×3, first 2 shown]
	v_rcp_f64_e32 v[22:23], v[12:13]
	v_add_f64 v[18:19], v[14:15], v[16:17]
	v_add_f64 v[14:15], v[18:19], -v[14:15]
	v_add_f64 v[14:15], v[16:17], -v[14:15]
	;; [unrolled: 1-line block ×4, first 2 shown]
	v_fma_f64 v[16:17], -v[12:13], v[22:23], 1.0
	v_fmac_f64_e32 v[22:23], v[16:17], v[22:23]
	v_fma_f64 v[16:17], -v[12:13], v[22:23], 1.0
	v_fmac_f64_e32 v[22:23], v[16:17], v[22:23]
	v_mul_f64 v[16:17], v[18:19], v[22:23]
	v_mul_f64 v[20:21], v[12:13], v[16:17]
	v_fma_f64 v[24:25], v[16:17], v[12:13], -v[20:21]
	v_fmac_f64_e32 v[24:25], v[16:17], v[8:9]
	v_add_f64 v[26:27], v[20:21], v[24:25]
	v_add_f64 v[28:29], v[18:19], -v[26:27]
	v_add_f64 v[18:19], v[18:19], -v[28:29]
	;; [unrolled: 1-line block ×4, first 2 shown]
	v_add_f64 v[14:15], v[14:15], v[18:19]
	v_add_f64 v[18:19], v[20:21], -v[24:25]
	v_add_f64 v[14:15], v[18:19], v[14:15]
	v_add_f64 v[18:19], v[28:29], v[14:15]
	v_add_f64 v[20:21], v[28:29], -v[18:19]
	v_add_f64 v[14:15], v[14:15], v[20:21]
	v_mul_f64 v[20:21], v[22:23], v[18:19]
	v_mul_f64 v[24:25], v[12:13], v[20:21]
	v_fma_f64 v[12:13], v[20:21], v[12:13], -v[24:25]
	v_fmac_f64_e32 v[12:13], v[20:21], v[8:9]
	v_add_f64 v[8:9], v[24:25], v[12:13]
	v_add_f64 v[26:27], v[18:19], -v[8:9]
	v_add_f64 v[18:19], v[18:19], -v[26:27]
	;; [unrolled: 1-line block ×4, first 2 shown]
	v_add_f64 v[8:9], v[14:15], v[8:9]
	v_add_f64 v[12:13], v[24:25], -v[12:13]
	v_add_f64 v[8:9], v[12:13], v[8:9]
	v_add_f64 v[12:13], v[16:17], v[20:21]
	;; [unrolled: 1-line block ×3, first 2 shown]
	v_add_f64 v[14:15], v[12:13], -v[16:17]
	v_mul_f64 v[8:9], v[22:23], v[8:9]
	v_add_f64 v[14:15], v[20:21], -v[14:15]
	v_add_f64 v[8:9], v[14:15], v[8:9]
	v_add_f64 v[14:15], v[12:13], v[8:9]
	v_add_f64 v[12:13], v[14:15], -v[12:13]
	v_add_f64 v[8:9], v[8:9], -v[12:13]
	v_mul_f64 v[12:13], v[14:15], v[14:15]
	v_mov_b32_e32 v16, 0x6b47b09a
	v_mov_b32_e32 v17, 0x3fc38538
	v_fmac_f64_e32 v[16:17], s[2:3], v[12:13]
	v_mov_b32_e32 v18, 0xd7f4df2e
	v_mov_b32_e32 v19, 0x3fc7474d
	v_fmac_f64_e32 v[18:19], v[12:13], v[16:17]
	;; [unrolled: 3-line block ×5, first 2 shown]
	v_mov_b32_e32 v18, 0x55555780
	v_mov_b32_e32 v19, 0x3fe55555
	s_mov_b32 s2, 0xfefa39ef
	v_fmac_f64_e32 v[18:19], v[12:13], v[16:17]
	v_cvt_f64_i32_e32 v[16:17], v30
	s_mov_b32 s3, 0x3fe62e42
	v_mul_f64 v[20:21], v[16:17], s[2:3]
	v_fma_f64 v[22:23], v[16:17], s[2:3], -v[20:21]
	s_mov_b32 s2, 0x3b39803f
	s_mov_b32 s3, 0x3c7abc9e
	v_fmac_f64_e32 v[22:23], s[2:3], v[16:17]
	v_add_f64 v[16:17], v[20:21], v[22:23]
	v_add_f64 v[20:21], v[16:17], -v[20:21]
	v_mul_f64 v[12:13], v[14:15], v[12:13]
	v_add_f64 v[20:21], v[22:23], -v[20:21]
	v_ldexp_f64 v[22:23], v[14:15], 1
	v_mul_f64 v[12:13], v[12:13], v[18:19]
	v_add_f64 v[14:15], v[22:23], v[12:13]
	v_add_f64 v[18:19], v[14:15], -v[22:23]
	v_ldexp_f64 v[8:9], v[8:9], 1
	v_add_f64 v[12:13], v[12:13], -v[18:19]
	v_add_f64 v[8:9], v[8:9], v[12:13]
	v_add_f64 v[12:13], v[14:15], v[8:9]
	v_add_f64 v[14:15], v[12:13], -v[14:15]
	v_add_f64 v[8:9], v[8:9], -v[14:15]
	v_add_f64 v[14:15], v[16:17], v[12:13]
	v_add_f64 v[18:19], v[14:15], -v[16:17]
	v_add_f64 v[22:23], v[14:15], -v[18:19]
	;; [unrolled: 1-line block ×4, first 2 shown]
	v_add_f64 v[12:13], v[12:13], v[16:17]
	v_add_f64 v[16:17], v[20:21], v[8:9]
	v_add_f64 v[18:19], v[16:17], -v[20:21]
	v_add_f64 v[12:13], v[16:17], v[12:13]
	v_add_f64 v[22:23], v[16:17], -v[18:19]
	;; [unrolled: 2-line block ×3, first 2 shown]
	v_add_f64 v[8:9], v[8:9], -v[18:19]
	v_add_f64 v[14:15], v[16:17], -v[14:15]
	v_add_f64 v[8:9], v[8:9], v[20:21]
	v_add_f64 v[12:13], v[12:13], -v[14:15]
	v_add_f64 v[8:9], v[8:9], v[12:13]
	s_mov_b32 s2, 0
	v_add_f64 v[8:9], v[16:17], v[8:9]
	s_mov_b32 s3, 0x7ff00000
	v_mul_f64 v[8:9], v[8:9], 0.5
	v_mov_b32_e32 v12, 0x7ff00000
	v_cmp_neq_f64_e32 vcc, s[2:3], v[10:11]
	v_cmp_ngt_f64_e64 s[2:3], -1.0, v[10:11]
	v_max_f64 v[14:15], |v[0:1]|, |v[0:1]|
	v_cndmask_b32_e32 v9, v12, v9, vcc
	v_mov_b32_e32 v12, 0x7ff80000
	v_cndmask_b32_e64 v9, v12, v9, s[2:3]
	v_max_f64 v[12:13], |v[2:3]|, |v[2:3]|
	v_cmp_nge_f64_e64 s[2:3], -1.0, v[10:11]
	v_max_f64 v[16:17], v[14:15], v[12:13]
	v_min_f64 v[12:13], v[14:15], v[12:13]
	s_and_b64 vcc, s[2:3], vcc
	v_div_scale_f64 v[14:15], s[2:3], v[16:17], v[16:17], v[12:13]
	v_rcp_f64_e32 v[18:19], v[14:15]
	v_cndmask_b32_e32 v8, 0, v8, vcc
	v_cmp_neq_f64_e32 vcc, -1.0, v[10:11]
	v_mov_b32_e32 v20, 0xfff00000
	v_fma_f64 v[10:11], -v[14:15], v[18:19], 1.0
	v_fmac_f64_e32 v[18:19], v[18:19], v[10:11]
	v_fma_f64 v[10:11], -v[14:15], v[18:19], 1.0
	v_cndmask_b32_e32 v9, v20, v9, vcc
	v_fmac_f64_e32 v[18:19], v[18:19], v[10:11]
	v_div_scale_f64 v[10:11], vcc, v[12:13], v[16:17], v[12:13]
	v_mul_f64 v[20:21], v[10:11], v[18:19]
	v_fma_f64 v[10:11], -v[14:15], v[20:21], v[10:11]
	s_mov_b32 s2, 0xb5e68a13
	s_nop 0
	v_div_fmas_f64 v[10:11], v[10:11], v[18:19], v[20:21]
	v_div_fixup_f64 v[10:11], v[10:11], v[16:17], v[12:13]
	v_mul_f64 v[12:13], v[10:11], v[10:11]
	v_mov_b32_e32 v14, 0xbd3237f4
	v_mov_b32_e32 v15, 0xbf23e260
	s_mov_b32 s3, 0x3eeba404
	v_fmac_f64_e32 v[14:15], s[2:3], v[12:13]
	v_mov_b32_e32 v16, 0x69efb384
	v_mov_b32_e32 v17, 0x3f4b2bb0
	v_fmac_f64_e32 v[16:17], v[12:13], v[14:15]
	v_mov_b32_e32 v14, 0xaf56de9b
	v_mov_b32_e32 v15, 0xbf67952d
	;; [unrolled: 3-line block ×18, first 2 shown]
	v_fmac_f64_e32 v[14:15], v[12:13], v[16:17]
	v_mul_f64 v[12:13], v[12:13], v[14:15]
	s_movk_i32 s16, 0x204
	v_fmac_f64_e32 v[10:11], v[10:11], v[12:13]
	v_cmp_class_f64_e64 s[2:3], v[2:3], s16
	v_cmp_class_f64_e64 s[16:17], v[0:1], s16
	v_mov_b32_e32 v0, 0x54442d18
	v_mov_b32_e32 v12, 0x7f3321d2
	v_cmp_gt_i32_e32 vcc, 0, v1
	v_mov_b32_e32 v13, 0x4002d97c
	s_brev_b32 s19, -2
	v_cndmask_b32_e32 v12, v0, v12, vcc
	v_mov_b32_e32 v0, 0x3fe921fb
	v_cndmask_b32_e32 v0, v0, v13, vcc
	s_mov_b32 s18, 0x54442d18
	v_bfi_b32 v13, s19, v0, v3
	v_ashrrev_i32_e32 v0, 31, v1
	s_mov_b32 s19, 0x3ff921fb
	s_mov_b32 s20, 0x400921fb
	v_and_b32_e32 v14, 0x400921fb, v0
	v_and_b32_e32 v15, 0x54442d18, v0
	v_add_f64 v[0:1], -v[10:11], s[18:19]
	v_cndmask_b32_e64 v1, v11, v1, s[0:1]
	v_cndmask_b32_e64 v0, v10, v0, s[0:1]
	s_mov_b32 s19, s20
	v_add_f64 v[10:11], -v[0:1], s[18:19]
	v_cndmask_b32_e32 v1, v1, v11, vcc
	v_cndmask_b32_e32 v0, v0, v10, vcc
	v_cmp_eq_f64_e32 vcc, 0, v[2:3]
	s_nop 1
	v_cndmask_b32_e32 v0, v0, v15, vcc
	v_cndmask_b32_e32 v1, v1, v14, vcc
	s_and_b64 vcc, s[16:17], s[2:3]
	v_cndmask_b32_e32 v13, v1, v13, vcc
	v_cndmask_b32_e32 v12, v0, v12, vcc
.LBB55_13:
	s_or_b64 exec, exec, s[14:15]
.LBB55_14:
	s_or_b64 exec, exec, s[12:13]
                                        ; implicit-def: $vgpr0_vgpr1
.LBB55_15:
	s_andn2_saveexec_b64 s[2:3], s[10:11]
	s_cbranch_execz .LBB55_17
; %bb.16:
	v_max_f64 v[10:11], |v[2:3]|, |v[2:3]|
	v_max_f64 v[12:13], |v[0:1]|, |v[0:1]|
	v_max_f64 v[14:15], v[12:13], v[10:11]
	v_frexp_exp_i32_f64_e32 v22, v[14:15]
	v_sub_u32_e32 v16, 0, v22
	v_ldexp_f64 v[8:9], |v[0:1]|, v16
	v_ldexp_f64 v[16:17], |v[2:3]|, v16
	v_mul_f64 v[16:17], v[16:17], v[16:17]
	v_fmac_f64_e32 v[16:17], v[8:9], v[8:9]
	v_rsq_f64_e32 v[8:9], v[16:17]
	v_cmp_eq_f64_e32 vcc, 0, v[16:17]
	s_movk_i32 s16, 0x204
	v_cmp_class_f64_e64 s[10:11], v[0:1], s16
	v_mul_f64 v[18:19], v[16:17], v[8:9]
	v_mul_f64 v[8:9], v[8:9], 0.5
	v_fma_f64 v[20:21], -v[8:9], v[18:19], 0.5
	v_fmac_f64_e32 v[18:19], v[18:19], v[20:21]
	v_fmac_f64_e32 v[8:9], v[8:9], v[20:21]
	v_fma_f64 v[20:21], -v[18:19], v[18:19], v[16:17]
	v_fmac_f64_e32 v[18:19], v[20:21], v[8:9]
	v_cndmask_b32_e32 v9, v19, v17, vcc
	v_cndmask_b32_e32 v8, v18, v16, vcc
	v_cmp_class_f64_e64 s[12:13], v[2:3], s16
	v_ldexp_f64 v[8:9], v[8:9], v22
	v_mov_b32_e32 v0, 0x7ff00000
	s_or_b64 vcc, s[10:11], s[12:13]
	v_cndmask_b32_e32 v17, v9, v0, vcc
	v_cndmask_b32_e64 v16, v8, 0, vcc
	s_mov_b32 s14, 0x55555555
	v_frexp_mant_f64_e32 v[8:9], v[16:17]
	s_mov_b32 s15, 0x3fe55555
	v_cmp_gt_f64_e32 vcc, s[14:15], v[8:9]
	s_mov_b32 s14, 0xbf559e2b
	s_mov_b32 s15, 0x3fc3ab76
	v_cndmask_b32_e64 v18, 0, 1, vcc
	v_ldexp_f64 v[8:9], v[8:9], v18
	v_add_f64 v[18:19], v[8:9], 1.0
	v_rcp_f64_e32 v[20:21], v[18:19]
	v_add_f64 v[24:25], v[18:19], -1.0
	v_add_f64 v[22:23], v[8:9], -1.0
	v_add_f64 v[8:9], v[8:9], -v[24:25]
	v_fma_f64 v[24:25], -v[18:19], v[20:21], 1.0
	v_fmac_f64_e32 v[20:21], v[24:25], v[20:21]
	v_fma_f64 v[24:25], -v[18:19], v[20:21], 1.0
	v_fmac_f64_e32 v[20:21], v[24:25], v[20:21]
	v_mul_f64 v[24:25], v[22:23], v[20:21]
	v_mul_f64 v[26:27], v[18:19], v[24:25]
	v_fma_f64 v[18:19], v[24:25], v[18:19], -v[26:27]
	v_fmac_f64_e32 v[18:19], v[24:25], v[8:9]
	v_add_f64 v[8:9], v[26:27], v[18:19]
	v_add_f64 v[28:29], v[22:23], -v[8:9]
	v_add_f64 v[26:27], v[8:9], -v[26:27]
	;; [unrolled: 1-line block ×5, first 2 shown]
	v_add_f64 v[8:9], v[18:19], v[8:9]
	v_add_f64 v[8:9], v[28:29], v[8:9]
	v_mul_f64 v[8:9], v[20:21], v[8:9]
	v_add_f64 v[18:19], v[24:25], v[8:9]
	v_add_f64 v[20:21], v[18:19], -v[24:25]
	v_add_f64 v[8:9], v[8:9], -v[20:21]
	v_mul_f64 v[20:21], v[18:19], v[18:19]
	v_mov_b32_e32 v22, 0x6b47b09a
	v_mov_b32_e32 v23, 0x3fc38538
	v_fmac_f64_e32 v[22:23], s[14:15], v[20:21]
	v_mov_b32_e32 v24, 0xd7f4df2e
	v_mov_b32_e32 v25, 0x3fc7474d
	v_fmac_f64_e32 v[24:25], v[20:21], v[22:23]
	;; [unrolled: 3-line block ×6, first 2 shown]
	v_ldexp_f64 v[22:23], v[18:19], 1
	v_mul_f64 v[18:19], v[18:19], v[20:21]
	v_mul_f64 v[18:19], v[18:19], v[24:25]
	v_add_f64 v[20:21], v[22:23], v[18:19]
	v_add_f64 v[22:23], v[20:21], -v[22:23]
	v_ldexp_f64 v[8:9], v[8:9], 1
	v_add_f64 v[18:19], v[18:19], -v[22:23]
	v_add_f64 v[8:9], v[8:9], v[18:19]
	v_frexp_exp_i32_f64_e32 v0, v[16:17]
	v_add_f64 v[18:19], v[20:21], v[8:9]
	v_subbrev_co_u32_e32 v0, vcc, 0, v0, vcc
	v_add_f64 v[20:21], v[18:19], -v[20:21]
	s_mov_b32 s14, 0xfefa39ef
	v_add_f64 v[8:9], v[8:9], -v[20:21]
	v_cvt_f64_i32_e32 v[20:21], v0
	s_mov_b32 s15, 0x3fe62e42
	v_mul_f64 v[22:23], v[20:21], s[14:15]
	v_fma_f64 v[24:25], v[20:21], s[14:15], -v[22:23]
	s_mov_b32 s14, 0x3b39803f
	s_mov_b32 s15, 0x3c7abc9e
	v_fmac_f64_e32 v[24:25], s[14:15], v[20:21]
	v_add_f64 v[20:21], v[22:23], v[24:25]
	v_add_f64 v[22:23], v[20:21], -v[22:23]
	v_add_f64 v[22:23], v[24:25], -v[22:23]
	v_add_f64 v[24:25], v[20:21], v[18:19]
	v_add_f64 v[26:27], v[24:25], -v[20:21]
	v_add_f64 v[28:29], v[24:25], -v[26:27]
	;; [unrolled: 1-line block ×4, first 2 shown]
	v_add_f64 v[18:19], v[18:19], v[20:21]
	v_add_f64 v[20:21], v[22:23], v[8:9]
	v_add_f64 v[26:27], v[20:21], -v[22:23]
	v_add_f64 v[28:29], v[20:21], -v[26:27]
	v_add_f64 v[18:19], v[20:21], v[18:19]
	v_add_f64 v[22:23], v[22:23], -v[28:29]
	v_add_f64 v[8:9], v[8:9], -v[26:27]
	v_add_f64 v[20:21], v[24:25], v[18:19]
	v_add_f64 v[8:9], v[8:9], v[22:23]
	v_add_f64 v[22:23], v[20:21], -v[24:25]
	v_min_f64 v[10:11], v[12:13], v[10:11]
	v_add_f64 v[18:19], v[18:19], -v[22:23]
	v_div_scale_f64 v[12:13], s[14:15], v[14:15], v[14:15], v[10:11]
	v_add_f64 v[8:9], v[8:9], v[18:19]
	v_rcp_f64_e32 v[18:19], v[12:13]
	v_add_f64 v[8:9], v[20:21], v[8:9]
	v_cmp_class_f64_e64 vcc, v[16:17], s16
	s_mov_b32 s14, 0xb5e68a13
	s_mov_b32 s15, 0x3eeba404
	v_cndmask_b32_e32 v0, v8, v16, vcc
	v_cndmask_b32_e32 v8, v9, v17, vcc
	v_mov_b32_e32 v9, 0x7ff80000
	v_cmp_ngt_f64_e32 vcc, 0, v[16:17]
	s_mov_b32 s16, 0x400921fb
	s_nop 0
	v_cndmask_b32_e32 v9, v9, v8, vcc
	v_cmp_nge_f64_e32 vcc, 0, v[16:17]
	s_nop 1
	v_cndmask_b32_e32 v8, 0, v0, vcc
	v_cmp_neq_f64_e32 vcc, 0, v[16:17]
	v_fma_f64 v[16:17], -v[12:13], v[18:19], 1.0
	v_fmac_f64_e32 v[18:19], v[18:19], v[16:17]
	v_mov_b32_e32 v0, 0xfff00000
	v_fma_f64 v[16:17], -v[12:13], v[18:19], 1.0
	v_cndmask_b32_e32 v9, v0, v9, vcc
	v_fmac_f64_e32 v[18:19], v[18:19], v[16:17]
	v_div_scale_f64 v[16:17], vcc, v[10:11], v[14:15], v[10:11]
	v_mul_f64 v[20:21], v[16:17], v[18:19]
	v_fma_f64 v[12:13], -v[12:13], v[20:21], v[16:17]
	v_mov_b32_e32 v16, 0x69efb384
	s_nop 0
	v_div_fmas_f64 v[12:13], v[12:13], v[18:19], v[20:21]
	v_div_fixup_f64 v[10:11], v[12:13], v[14:15], v[10:11]
	v_mul_f64 v[12:13], v[10:11], v[10:11]
	v_mov_b32_e32 v14, 0xbd3237f4
	v_mov_b32_e32 v15, 0xbf23e260
	v_fmac_f64_e32 v[14:15], s[14:15], v[12:13]
	v_mov_b32_e32 v17, 0x3f4b2bb0
	v_fmac_f64_e32 v[16:17], v[12:13], v[14:15]
	v_mov_b32_e32 v14, 0xaf56de9b
	v_mov_b32_e32 v15, 0xbf67952d
	v_fmac_f64_e32 v[14:15], v[12:13], v[16:17]
	v_mov_b32_e32 v16, 0xa595c56f
	;; [unrolled: 3-line block ×17, first 2 shown]
	v_mov_b32_e32 v15, 0xbfd55555
	v_fmac_f64_e32 v[14:15], v[12:13], v[16:17]
	v_mul_f64 v[12:13], v[12:13], v[14:15]
	v_fmac_f64_e32 v[10:11], v[10:11], v[12:13]
	v_mov_b32_e32 v0, 0x54442d18
	v_mov_b32_e32 v12, 0x7f3321d2
	v_cmp_gt_i32_e32 vcc, 0, v1
	v_mov_b32_e32 v13, 0x4002d97c
	s_brev_b32 s15, -2
	v_cndmask_b32_e32 v12, v0, v12, vcc
	v_mov_b32_e32 v0, 0x3fe921fb
	v_cndmask_b32_e32 v0, v0, v13, vcc
	s_mov_b32 s14, 0x54442d18
	v_bfi_b32 v13, s15, v0, v3
	v_ashrrev_i32_e32 v0, 31, v1
	s_mov_b32 s15, 0x3ff921fb
	v_and_b32_e32 v14, 0x400921fb, v0
	v_and_b32_e32 v15, 0x54442d18, v0
	v_add_f64 v[0:1], -v[10:11], s[14:15]
	v_cndmask_b32_e64 v1, v11, v1, s[0:1]
	v_cndmask_b32_e64 v0, v10, v0, s[0:1]
	s_mov_b32 s15, s16
	v_add_f64 v[10:11], -v[0:1], s[14:15]
	v_cndmask_b32_e32 v1, v1, v11, vcc
	v_cndmask_b32_e32 v0, v0, v10, vcc
	v_cmp_eq_f64_e32 vcc, 0, v[2:3]
	s_nop 1
	v_cndmask_b32_e32 v0, v0, v15, vcc
	v_cndmask_b32_e32 v1, v1, v14, vcc
	s_and_b64 vcc, s[10:11], s[12:13]
	v_cndmask_b32_e32 v13, v1, v13, vcc
	v_cndmask_b32_e32 v12, v0, v12, vcc
.LBB55_17:
	s_or_b64 exec, exec, s[2:3]
                                        ; implicit-def: $vgpr10_vgpr11
                                        ; implicit-def: $vgpr0_vgpr1
.LBB55_18:
	s_andn2_saveexec_b64 s[2:3], s[8:9]
	s_cbranch_execz .LBB55_24
; %bb.19:
	s_mov_b32 s8, 0x6a3f9475
	s_mov_b32 s9, 0x20ca2fe7
	v_cmp_ngt_f64_e32 vcc, s[8:9], v[10:11]
                                        ; implicit-def: $vgpr8_vgpr9
                                        ; implicit-def: $vgpr12_vgpr13
	s_and_saveexec_b64 s[8:9], vcc
	s_xor_b64 s[8:9], exec, s[8:9]
	s_cbranch_execz .LBB55_21
; %bb.20:
	v_mul_f64 v[8:9], v[10:11], v[10:11]
	v_add_f64 v[10:11], v[8:9], 1.0
	v_add_f64 v[12:13], v[10:11], -1.0
	v_add_f64 v[14:15], v[12:13], -v[10:11]
	v_add_f64 v[14:15], v[14:15], 1.0
	v_add_f64 v[12:13], v[8:9], -v[12:13]
	s_mov_b32 s10, 0x55555555
	v_add_f64 v[12:13], v[12:13], v[14:15]
	v_frexp_mant_f64_e32 v[14:15], v[10:11]
	s_mov_b32 s11, 0x3fe55555
	v_frexp_exp_i32_f64_e32 v16, v[10:11]
	v_cmp_gt_f64_e32 vcc, s[10:11], v[14:15]
	s_mov_b32 s10, 0xbf559e2b
	s_mov_b32 s11, 0x3fc3ab76
	v_subbrev_co_u32_e32 v30, vcc, 0, v16, vcc
	v_sub_u32_e32 v14, 0, v30
	v_ldexp_f64 v[10:11], v[10:11], v14
	v_ldexp_f64 v[12:13], v[12:13], v14
	v_add_f64 v[14:15], v[10:11], -1.0
	v_add_f64 v[20:21], v[10:11], 1.0
	v_add_f64 v[16:17], v[14:15], 1.0
	v_add_f64 v[22:23], v[20:21], -1.0
	v_add_f64 v[16:17], v[10:11], -v[16:17]
	v_add_f64 v[10:11], v[10:11], -v[22:23]
	v_add_f64 v[10:11], v[12:13], v[10:11]
	v_add_f64 v[16:17], v[12:13], v[16:17]
	;; [unrolled: 1-line block ×3, first 2 shown]
	v_rcp_f64_e32 v[22:23], v[12:13]
	v_add_f64 v[18:19], v[14:15], v[16:17]
	v_add_f64 v[14:15], v[14:15], -v[18:19]
	v_add_f64 v[14:15], v[16:17], v[14:15]
	v_add_f64 v[16:17], v[20:21], -v[12:13]
	v_add_f64 v[10:11], v[10:11], v[16:17]
	v_fma_f64 v[16:17], -v[12:13], v[22:23], 1.0
	v_fmac_f64_e32 v[22:23], v[16:17], v[22:23]
	v_fma_f64 v[16:17], -v[12:13], v[22:23], 1.0
	v_fmac_f64_e32 v[22:23], v[16:17], v[22:23]
	v_mul_f64 v[16:17], v[18:19], v[22:23]
	v_mul_f64 v[20:21], v[12:13], v[16:17]
	v_fma_f64 v[24:25], v[16:17], v[12:13], -v[20:21]
	v_fmac_f64_e32 v[24:25], v[16:17], v[10:11]
	v_add_f64 v[26:27], v[20:21], v[24:25]
	v_add_f64 v[28:29], v[18:19], -v[26:27]
	v_add_f64 v[18:19], v[18:19], -v[28:29]
	;; [unrolled: 1-line block ×4, first 2 shown]
	v_add_f64 v[14:15], v[14:15], v[18:19]
	v_add_f64 v[18:19], v[20:21], -v[24:25]
	v_add_f64 v[14:15], v[18:19], v[14:15]
	v_add_f64 v[18:19], v[28:29], v[14:15]
	v_add_f64 v[20:21], v[28:29], -v[18:19]
	v_add_f64 v[14:15], v[14:15], v[20:21]
	v_mul_f64 v[20:21], v[22:23], v[18:19]
	v_mul_f64 v[24:25], v[12:13], v[20:21]
	v_fma_f64 v[12:13], v[20:21], v[12:13], -v[24:25]
	v_fmac_f64_e32 v[12:13], v[20:21], v[10:11]
	v_add_f64 v[10:11], v[24:25], v[12:13]
	v_add_f64 v[26:27], v[18:19], -v[10:11]
	v_add_f64 v[18:19], v[18:19], -v[26:27]
	;; [unrolled: 1-line block ×4, first 2 shown]
	v_add_f64 v[10:11], v[14:15], v[10:11]
	v_add_f64 v[12:13], v[24:25], -v[12:13]
	v_add_f64 v[10:11], v[12:13], v[10:11]
	v_add_f64 v[12:13], v[16:17], v[20:21]
	;; [unrolled: 1-line block ×3, first 2 shown]
	v_add_f64 v[14:15], v[12:13], -v[16:17]
	v_mul_f64 v[10:11], v[22:23], v[10:11]
	v_add_f64 v[14:15], v[20:21], -v[14:15]
	v_add_f64 v[10:11], v[14:15], v[10:11]
	v_add_f64 v[14:15], v[12:13], v[10:11]
	v_add_f64 v[12:13], v[14:15], -v[12:13]
	v_add_f64 v[10:11], v[10:11], -v[12:13]
	v_mul_f64 v[12:13], v[14:15], v[14:15]
	v_mov_b32_e32 v16, 0x6b47b09a
	v_mov_b32_e32 v17, 0x3fc38538
	v_fmac_f64_e32 v[16:17], s[10:11], v[12:13]
	v_mov_b32_e32 v18, 0xd7f4df2e
	v_mov_b32_e32 v19, 0x3fc7474d
	v_fmac_f64_e32 v[18:19], v[12:13], v[16:17]
	;; [unrolled: 3-line block ×5, first 2 shown]
	v_mov_b32_e32 v18, 0x55555780
	v_mov_b32_e32 v19, 0x3fe55555
	s_mov_b32 s10, 0xfefa39ef
	v_fmac_f64_e32 v[18:19], v[12:13], v[16:17]
	v_cvt_f64_i32_e32 v[16:17], v30
	s_mov_b32 s11, 0x3fe62e42
	v_mul_f64 v[20:21], v[16:17], s[10:11]
	v_fma_f64 v[22:23], v[16:17], s[10:11], -v[20:21]
	s_mov_b32 s10, 0x3b39803f
	s_mov_b32 s11, 0x3c7abc9e
	v_fmac_f64_e32 v[22:23], s[10:11], v[16:17]
	v_add_f64 v[16:17], v[20:21], v[22:23]
	v_add_f64 v[20:21], v[16:17], -v[20:21]
	v_mul_f64 v[12:13], v[14:15], v[12:13]
	v_add_f64 v[20:21], v[22:23], -v[20:21]
	v_ldexp_f64 v[22:23], v[14:15], 1
	v_mul_f64 v[12:13], v[12:13], v[18:19]
	v_add_f64 v[14:15], v[22:23], v[12:13]
	v_add_f64 v[18:19], v[14:15], -v[22:23]
	v_ldexp_f64 v[10:11], v[10:11], 1
	v_add_f64 v[12:13], v[12:13], -v[18:19]
	v_add_f64 v[10:11], v[10:11], v[12:13]
	v_add_f64 v[12:13], v[14:15], v[10:11]
	v_add_f64 v[14:15], v[12:13], -v[14:15]
	v_add_f64 v[10:11], v[10:11], -v[14:15]
	v_add_f64 v[14:15], v[16:17], v[12:13]
	v_add_f64 v[18:19], v[14:15], -v[16:17]
	v_add_f64 v[22:23], v[14:15], -v[18:19]
	;; [unrolled: 1-line block ×4, first 2 shown]
	v_add_f64 v[12:13], v[12:13], v[16:17]
	v_add_f64 v[16:17], v[20:21], v[10:11]
	v_add_f64 v[18:19], v[16:17], -v[20:21]
	v_add_f64 v[12:13], v[16:17], v[12:13]
	v_add_f64 v[22:23], v[16:17], -v[18:19]
	;; [unrolled: 2-line block ×3, first 2 shown]
	v_add_f64 v[10:11], v[10:11], -v[18:19]
	v_add_f64 v[14:15], v[16:17], -v[14:15]
	v_add_f64 v[10:11], v[10:11], v[20:21]
	v_add_f64 v[12:13], v[12:13], -v[14:15]
	v_add_f64 v[10:11], v[10:11], v[12:13]
	v_max_f64 v[12:13], |v[2:3]|, |v[2:3]|
	v_max_f64 v[14:15], |v[0:1]|, |v[0:1]|
	v_add_f64 v[10:11], v[16:17], v[10:11]
	v_max_f64 v[16:17], v[14:15], v[12:13]
	v_min_f64 v[12:13], v[14:15], v[12:13]
	v_div_scale_f64 v[14:15], s[12:13], v[16:17], v[16:17], v[12:13]
	v_rcp_f64_e32 v[18:19], v[14:15]
	s_mov_b32 s10, 0
	s_mov_b32 s11, 0x7ff00000
	v_mul_f64 v[10:11], v[10:11], 0.5
	v_mov_b32_e32 v20, 0x7ff00000
	v_cmp_neq_f64_e32 vcc, s[10:11], v[8:9]
	s_mov_b32 s10, 0xb5e68a13
	s_mov_b32 s11, 0x3eeba404
	v_cndmask_b32_e32 v9, v20, v11, vcc
	v_cndmask_b32_e32 v8, 0, v10, vcc
	v_fma_f64 v[10:11], -v[14:15], v[18:19], 1.0
	v_fmac_f64_e32 v[18:19], v[18:19], v[10:11]
	v_fma_f64 v[10:11], -v[14:15], v[18:19], 1.0
	v_fmac_f64_e32 v[18:19], v[18:19], v[10:11]
	v_div_scale_f64 v[10:11], vcc, v[12:13], v[16:17], v[12:13]
	v_mul_f64 v[20:21], v[10:11], v[18:19]
	v_fma_f64 v[10:11], -v[14:15], v[20:21], v[10:11]
	v_mov_b32_e32 v14, 0xbd3237f4
	s_nop 0
	v_div_fmas_f64 v[10:11], v[10:11], v[18:19], v[20:21]
	v_div_fixup_f64 v[10:11], v[10:11], v[16:17], v[12:13]
	v_mul_f64 v[12:13], v[10:11], v[10:11]
	v_mov_b32_e32 v15, 0xbf23e260
	v_fmac_f64_e32 v[14:15], s[10:11], v[12:13]
	v_mov_b32_e32 v16, 0x69efb384
	v_mov_b32_e32 v17, 0x3f4b2bb0
	v_fmac_f64_e32 v[16:17], v[12:13], v[14:15]
	v_mov_b32_e32 v14, 0xaf56de9b
	;; [unrolled: 3-line block ×18, first 2 shown]
	v_mov_b32_e32 v15, 0xbfd55555
	v_fmac_f64_e32 v[14:15], v[12:13], v[16:17]
	v_mul_f64 v[12:13], v[12:13], v[14:15]
	s_movk_i32 s12, 0x204
	v_fmac_f64_e32 v[10:11], v[10:11], v[12:13]
	v_cmp_class_f64_e64 s[10:11], v[2:3], s12
	v_cmp_class_f64_e64 s[12:13], v[0:1], s12
	v_mov_b32_e32 v0, 0x54442d18
	v_mov_b32_e32 v12, 0x7f3321d2
	v_cmp_gt_i32_e32 vcc, 0, v1
	v_mov_b32_e32 v13, 0x4002d97c
	s_brev_b32 s15, -2
	v_cndmask_b32_e32 v12, v0, v12, vcc
	v_mov_b32_e32 v0, 0x3fe921fb
	v_cndmask_b32_e32 v0, v0, v13, vcc
	s_mov_b32 s14, 0x54442d18
	v_bfi_b32 v13, s15, v0, v3
	v_ashrrev_i32_e32 v0, 31, v1
	s_mov_b32 s15, 0x3ff921fb
	s_mov_b32 s16, 0x400921fb
	v_and_b32_e32 v14, 0x400921fb, v0
	v_and_b32_e32 v15, 0x54442d18, v0
	v_add_f64 v[0:1], -v[10:11], s[14:15]
	v_cndmask_b32_e64 v1, v11, v1, s[0:1]
	v_cndmask_b32_e64 v0, v10, v0, s[0:1]
	s_mov_b32 s15, s16
	v_add_f64 v[10:11], -v[0:1], s[14:15]
	v_cndmask_b32_e32 v1, v1, v11, vcc
	v_cndmask_b32_e32 v0, v0, v10, vcc
	v_cmp_eq_f64_e32 vcc, 0, v[2:3]
                                        ; implicit-def: $vgpr10_vgpr11
	s_nop 1
	v_cndmask_b32_e32 v0, v0, v15, vcc
	v_cndmask_b32_e32 v1, v1, v14, vcc
	s_and_b64 vcc, s[12:13], s[10:11]
	v_cndmask_b32_e32 v13, v1, v13, vcc
	v_cndmask_b32_e32 v12, v0, v12, vcc
                                        ; implicit-def: $vgpr0_vgpr1
.LBB55_21:
	s_andn2_saveexec_b64 s[8:9], s[8:9]
	s_cbranch_execz .LBB55_23
; %bb.22:
	v_max_f64 v[8:9], |v[2:3]|, |v[2:3]|
	v_max_f64 v[12:13], |v[0:1]|, |v[0:1]|
	v_max_f64 v[14:15], v[12:13], v[8:9]
	v_min_f64 v[12:13], v[12:13], v[8:9]
	v_div_scale_f64 v[16:17], s[10:11], v[14:15], v[14:15], v[12:13]
	v_rcp_f64_e32 v[18:19], v[16:17]
	v_mul_f64 v[8:9], v[10:11], 0.5
	v_mul_f64 v[8:9], v[10:11], v[8:9]
	s_mov_b32 s10, 0xb5e68a13
	v_fma_f64 v[10:11], -v[16:17], v[18:19], 1.0
	v_fmac_f64_e32 v[18:19], v[18:19], v[10:11]
	v_fma_f64 v[10:11], -v[16:17], v[18:19], 1.0
	v_fmac_f64_e32 v[18:19], v[18:19], v[10:11]
	v_div_scale_f64 v[10:11], vcc, v[12:13], v[14:15], v[12:13]
	v_mul_f64 v[20:21], v[10:11], v[18:19]
	v_fma_f64 v[10:11], -v[16:17], v[20:21], v[10:11]
	s_mov_b32 s11, 0x3eeba404
	s_nop 0
	v_div_fmas_f64 v[10:11], v[10:11], v[18:19], v[20:21]
	v_div_fixup_f64 v[10:11], v[10:11], v[14:15], v[12:13]
	v_mul_f64 v[12:13], v[10:11], v[10:11]
	v_mov_b32_e32 v14, 0xbd3237f4
	v_mov_b32_e32 v15, 0xbf23e260
	v_fmac_f64_e32 v[14:15], s[10:11], v[12:13]
	v_mov_b32_e32 v16, 0x69efb384
	v_mov_b32_e32 v17, 0x3f4b2bb0
	v_fmac_f64_e32 v[16:17], v[12:13], v[14:15]
	v_mov_b32_e32 v14, 0xaf56de9b
	v_mov_b32_e32 v15, 0xbf67952d
	v_fmac_f64_e32 v[14:15], v[12:13], v[16:17]
	v_mov_b32_e32 v16, 0xa595c56f
	v_mov_b32_e32 v17, 0x3f7d6d43
	v_fmac_f64_e32 v[16:17], v[12:13], v[14:15]
	v_mov_b32_e32 v14, 0xa57d9582
	v_mov_b32_e32 v15, 0xbf8c6ea4
	v_fmac_f64_e32 v[14:15], v[12:13], v[16:17]
	v_mov_b32_e32 v16, 0x5f08b19f
	v_mov_b32_e32 v17, 0x3f967e29
	v_fmac_f64_e32 v[16:17], v[12:13], v[14:15]
	v_mov_b32_e32 v14, 0xfc27006a
	v_mov_b32_e32 v15, 0xbf9e9ae6
	v_fmac_f64_e32 v[14:15], v[12:13], v[16:17]
	v_mov_b32_e32 v16, 0x5711927a
	v_mov_b32_e32 v17, 0x3fa2c15b
	v_fmac_f64_e32 v[16:17], v[12:13], v[14:15]
	v_mov_b32_e32 v14, 0xe82d3ff0
	v_mov_b32_e32 v15, 0xbfa59976
	v_fmac_f64_e32 v[14:15], v[12:13], v[16:17]
	v_mov_b32_e32 v16, 0x6ef28734
	v_mov_b32_e32 v17, 0x3fa82d5d
	v_fmac_f64_e32 v[16:17], v[12:13], v[14:15]
	v_mov_b32_e32 v14, 0x6a214619
	v_mov_b32_e32 v15, 0xbfaae5ce
	v_fmac_f64_e32 v[14:15], v[12:13], v[16:17]
	v_mov_b32_e32 v16, 0x8427b883
	v_mov_b32_e32 v17, 0x3fae1bb4
	v_fmac_f64_e32 v[16:17], v[12:13], v[14:15]
	v_mov_b32_e32 v14, 0x8b207f05
	v_mov_b32_e32 v15, 0xbfb110e4
	v_fmac_f64_e32 v[14:15], v[12:13], v[16:17]
	v_mov_b32_e32 v16, 0x57b87036
	v_mov_b32_e32 v17, 0x3fb3b136
	v_fmac_f64_e32 v[16:17], v[12:13], v[14:15]
	v_mov_b32_e32 v14, 0x19378e4f
	v_mov_b32_e32 v15, 0xbfb745d1
	v_fmac_f64_e32 v[14:15], v[12:13], v[16:17]
	v_mov_b32_e32 v16, 0x17e1913c
	v_mov_b32_e32 v17, 0x3fbc71c7
	v_fmac_f64_e32 v[16:17], v[12:13], v[14:15]
	v_mov_b32_e32 v14, 0x92376b7d
	v_mov_b32_e32 v15, 0xbfc24924
	v_fmac_f64_e32 v[14:15], v[12:13], v[16:17]
	v_mov_b32_e32 v16, 0x999952cc
	v_mov_b32_e32 v17, 0x3fc99999
	v_fmac_f64_e32 v[16:17], v[12:13], v[14:15]
	v_mov_b32_e32 v14, 0x55555523
	v_mov_b32_e32 v15, 0xbfd55555
	v_fmac_f64_e32 v[14:15], v[12:13], v[16:17]
	v_mul_f64 v[12:13], v[12:13], v[14:15]
	s_movk_i32 s12, 0x204
	v_fmac_f64_e32 v[10:11], v[10:11], v[12:13]
	v_cmp_class_f64_e64 s[10:11], v[2:3], s12
	v_cmp_class_f64_e64 s[12:13], v[0:1], s12
	v_mov_b32_e32 v0, 0x54442d18
	v_mov_b32_e32 v12, 0x7f3321d2
	v_cmp_gt_i32_e32 vcc, 0, v1
	v_mov_b32_e32 v13, 0x4002d97c
	s_brev_b32 s15, -2
	v_cndmask_b32_e32 v12, v0, v12, vcc
	v_mov_b32_e32 v0, 0x3fe921fb
	v_cndmask_b32_e32 v0, v0, v13, vcc
	s_mov_b32 s14, 0x54442d18
	v_bfi_b32 v13, s15, v0, v3
	v_ashrrev_i32_e32 v0, 31, v1
	s_mov_b32 s15, 0x3ff921fb
	s_mov_b32 s16, 0x400921fb
	v_and_b32_e32 v14, 0x400921fb, v0
	v_and_b32_e32 v15, 0x54442d18, v0
	v_add_f64 v[0:1], -v[10:11], s[14:15]
	v_cndmask_b32_e64 v1, v11, v1, s[0:1]
	v_cndmask_b32_e64 v0, v10, v0, s[0:1]
	s_mov_b32 s15, s16
	v_add_f64 v[10:11], -v[0:1], s[14:15]
	v_cndmask_b32_e32 v1, v1, v11, vcc
	v_cndmask_b32_e32 v0, v0, v10, vcc
	v_cmp_eq_f64_e32 vcc, 0, v[2:3]
	s_nop 1
	v_cndmask_b32_e32 v0, v0, v15, vcc
	v_cndmask_b32_e32 v1, v1, v14, vcc
	s_and_b64 vcc, s[12:13], s[10:11]
	v_cndmask_b32_e32 v13, v1, v13, vcc
	v_cndmask_b32_e32 v12, v0, v12, vcc
.LBB55_23:
	s_or_b64 exec, exec, s[8:9]
.LBB55_24:
	s_or_b64 exec, exec, s[2:3]
                                        ; implicit-def: $vgpr0_vgpr1
.LBB55_25:
	s_andn2_saveexec_b64 s[2:3], s[6:7]
	s_cbranch_execz .LBB55_27
; %bb.26:
	s_mov_b32 s6, 0x8b145769
	s_mov_b32 s7, 0x4005bf0a
	v_div_scale_f64 v[8:9], s[8:9], s[6:7], s[6:7], v[0:1]
	v_rcp_f64_e32 v[10:11], v[8:9]
	v_mov_b32_e32 v24, 0x7ff80000
	s_mov_b32 s12, 0x400921fb
	v_fma_f64 v[12:13], -v[8:9], v[10:11], 1.0
	v_fmac_f64_e32 v[10:11], v[10:11], v[12:13]
	v_fma_f64 v[12:13], -v[8:9], v[10:11], 1.0
	v_fmac_f64_e32 v[10:11], v[10:11], v[12:13]
	v_div_scale_f64 v[12:13], vcc, v[0:1], s[6:7], v[0:1]
	v_mul_f64 v[14:15], v[12:13], v[10:11]
	v_fma_f64 v[8:9], -v[8:9], v[14:15], v[12:13]
	v_div_scale_f64 v[12:13], s[8:9], s[6:7], s[6:7], v[2:3]
	v_rcp_f64_e32 v[16:17], v[12:13]
	v_div_fmas_f64 v[8:9], v[8:9], v[10:11], v[14:15]
	v_div_fixup_f64 v[8:9], v[8:9], s[6:7], v[0:1]
	v_fma_f64 v[10:11], -v[12:13], v[16:17], 1.0
	v_fmac_f64_e32 v[16:17], v[16:17], v[10:11]
	v_fma_f64 v[10:11], -v[12:13], v[16:17], 1.0
	v_fmac_f64_e32 v[16:17], v[16:17], v[10:11]
	v_div_scale_f64 v[10:11], vcc, v[2:3], s[6:7], v[2:3]
	v_mul_f64 v[14:15], v[10:11], v[16:17]
	v_fma_f64 v[10:11], -v[12:13], v[14:15], v[10:11]
	s_nop 1
	v_div_fmas_f64 v[10:11], v[10:11], v[16:17], v[14:15]
	v_div_fixup_f64 v[10:11], v[10:11], s[6:7], v[2:3]
	v_max_f64 v[12:13], |v[8:9]|, |v[10:11]|
	v_frexp_exp_i32_f64_e32 v20, v[12:13]
	v_sub_u32_e32 v14, 0, v20
	v_ldexp_f64 v[12:13], |v[8:9]|, v14
	v_ldexp_f64 v[14:15], |v[10:11]|, v14
	v_mul_f64 v[14:15], v[14:15], v[14:15]
	v_fmac_f64_e32 v[14:15], v[12:13], v[12:13]
	v_rsq_f64_e32 v[12:13], v[14:15]
	v_cmp_eq_f64_e32 vcc, 0, v[14:15]
	s_movk_i32 s6, 0x204
	v_cmp_class_f64_e64 s[8:9], v[8:9], s6
	v_mul_f64 v[16:17], v[14:15], v[12:13]
	v_mul_f64 v[12:13], v[12:13], 0.5
	v_fma_f64 v[18:19], -v[12:13], v[16:17], 0.5
	v_fmac_f64_e32 v[16:17], v[16:17], v[18:19]
	v_fmac_f64_e32 v[12:13], v[12:13], v[18:19]
	v_fma_f64 v[18:19], -v[16:17], v[16:17], v[14:15]
	v_fmac_f64_e32 v[16:17], v[18:19], v[12:13]
	v_cndmask_b32_e32 v13, v17, v15, vcc
	v_cndmask_b32_e32 v12, v16, v14, vcc
	v_ldexp_f64 v[12:13], v[12:13], v20
	v_cmp_o_f64_e32 vcc, v[8:9], v[10:11]
	v_cmp_class_f64_e64 s[10:11], v[10:11], s6
	v_mov_b32_e32 v8, 0x7ff00000
	v_cndmask_b32_e32 v12, 0, v12, vcc
	v_cndmask_b32_e32 v13, v24, v13, vcc
	s_or_b64 vcc, s[8:9], s[10:11]
	v_cndmask_b32_e32 v11, v13, v8, vcc
	v_cndmask_b32_e64 v10, v12, 0, vcc
	s_mov_b32 s8, 0x55555555
	v_frexp_mant_f64_e32 v[8:9], v[10:11]
	s_mov_b32 s9, 0x3fe55555
	v_cmp_gt_f64_e32 vcc, s[8:9], v[8:9]
	v_frexp_exp_i32_f64_e32 v12, v[10:11]
	s_mov_b32 s8, 0xbf559e2b
	v_cndmask_b32_e64 v13, 0, 1, vcc
	v_ldexp_f64 v[8:9], v[8:9], v13
	v_subbrev_co_u32_e32 v25, vcc, 0, v12, vcc
	v_add_f64 v[12:13], v[8:9], 1.0
	v_rcp_f64_e32 v[14:15], v[12:13]
	v_add_f64 v[18:19], v[12:13], -1.0
	v_add_f64 v[16:17], v[8:9], -1.0
	v_add_f64 v[8:9], v[8:9], -v[18:19]
	v_fma_f64 v[18:19], -v[12:13], v[14:15], 1.0
	v_fmac_f64_e32 v[14:15], v[18:19], v[14:15]
	v_fma_f64 v[18:19], -v[12:13], v[14:15], 1.0
	v_fmac_f64_e32 v[14:15], v[18:19], v[14:15]
	v_mul_f64 v[18:19], v[16:17], v[14:15]
	v_mul_f64 v[20:21], v[12:13], v[18:19]
	v_fma_f64 v[12:13], v[18:19], v[12:13], -v[20:21]
	v_fmac_f64_e32 v[12:13], v[18:19], v[8:9]
	v_add_f64 v[8:9], v[20:21], v[12:13]
	v_add_f64 v[22:23], v[16:17], -v[8:9]
	v_add_f64 v[20:21], v[8:9], -v[20:21]
	;; [unrolled: 1-line block ×5, first 2 shown]
	v_add_f64 v[8:9], v[12:13], v[8:9]
	v_add_f64 v[8:9], v[22:23], v[8:9]
	v_mul_f64 v[8:9], v[14:15], v[8:9]
	v_add_f64 v[12:13], v[18:19], v[8:9]
	v_add_f64 v[14:15], v[12:13], -v[18:19]
	v_add_f64 v[8:9], v[8:9], -v[14:15]
	v_mul_f64 v[14:15], v[12:13], v[12:13]
	v_mov_b32_e32 v16, 0x6b47b09a
	v_mov_b32_e32 v17, 0x3fc38538
	s_mov_b32 s9, 0x3fc3ab76
	v_fmac_f64_e32 v[16:17], s[8:9], v[14:15]
	v_mov_b32_e32 v18, 0xd7f4df2e
	v_mov_b32_e32 v19, 0x3fc7474d
	v_fmac_f64_e32 v[18:19], v[14:15], v[16:17]
	v_mov_b32_e32 v16, 0x16291751
	v_mov_b32_e32 v17, 0x3fcc71c0
	;; [unrolled: 3-line block ×5, first 2 shown]
	v_fmac_f64_e32 v[18:19], v[14:15], v[16:17]
	v_ldexp_f64 v[16:17], v[12:13], 1
	v_mul_f64 v[12:13], v[12:13], v[14:15]
	v_mul_f64 v[12:13], v[12:13], v[18:19]
	v_add_f64 v[14:15], v[16:17], v[12:13]
	v_add_f64 v[16:17], v[14:15], -v[16:17]
	v_ldexp_f64 v[8:9], v[8:9], 1
	v_add_f64 v[12:13], v[12:13], -v[16:17]
	v_add_f64 v[8:9], v[8:9], v[12:13]
	v_add_f64 v[12:13], v[14:15], v[8:9]
	v_add_f64 v[14:15], v[12:13], -v[14:15]
	s_mov_b32 s8, 0xfefa39ef
	v_add_f64 v[8:9], v[8:9], -v[14:15]
	v_cvt_f64_i32_e32 v[14:15], v25
	s_mov_b32 s9, 0x3fe62e42
	v_mul_f64 v[16:17], v[14:15], s[8:9]
	v_fma_f64 v[18:19], v[14:15], s[8:9], -v[16:17]
	s_mov_b32 s8, 0x3b39803f
	s_mov_b32 s9, 0x3c7abc9e
	v_fmac_f64_e32 v[18:19], s[8:9], v[14:15]
	v_add_f64 v[14:15], v[16:17], v[18:19]
	v_add_f64 v[16:17], v[14:15], -v[16:17]
	v_add_f64 v[16:17], v[18:19], -v[16:17]
	v_add_f64 v[18:19], v[14:15], v[12:13]
	v_add_f64 v[20:21], v[18:19], -v[14:15]
	v_add_f64 v[22:23], v[18:19], -v[20:21]
	;; [unrolled: 1-line block ×4, first 2 shown]
	v_add_f64 v[12:13], v[12:13], v[14:15]
	v_add_f64 v[14:15], v[16:17], v[8:9]
	v_add_f64 v[20:21], v[14:15], -v[16:17]
	v_add_f64 v[22:23], v[14:15], -v[20:21]
	v_add_f64 v[12:13], v[14:15], v[12:13]
	v_add_f64 v[16:17], v[16:17], -v[22:23]
	v_add_f64 v[8:9], v[8:9], -v[20:21]
	v_add_f64 v[14:15], v[18:19], v[12:13]
	v_add_f64 v[8:9], v[8:9], v[16:17]
	v_add_f64 v[16:17], v[14:15], -v[18:19]
	v_add_f64 v[12:13], v[12:13], -v[16:17]
	v_add_f64 v[8:9], v[8:9], v[12:13]
	v_add_f64 v[8:9], v[14:15], v[8:9]
	v_max_f64 v[12:13], |v[2:3]|, |v[2:3]|
	v_max_f64 v[14:15], |v[0:1]|, |v[0:1]|
	v_max_f64 v[16:17], v[14:15], v[12:13]
	v_min_f64 v[12:13], v[14:15], v[12:13]
	v_div_scale_f64 v[14:15], s[8:9], v[16:17], v[16:17], v[12:13]
	v_cmp_class_f64_e64 vcc, v[10:11], s6
	v_rcp_f64_e32 v[18:19], v[14:15]
	v_mov_b32_e32 v20, 0xfff00000
	v_cndmask_b32_e32 v9, v9, v11, vcc
	v_cndmask_b32_e32 v8, v8, v10, vcc
	v_add_f64 v[8:9], v[8:9], 1.0
	v_cmp_ngt_f64_e32 vcc, 0, v[10:11]
	s_mov_b32 s8, 0xb5e68a13
	s_mov_b32 s9, 0x3eeba404
	v_cndmask_b32_e32 v9, v24, v9, vcc
	v_cmp_nge_f64_e32 vcc, 0, v[10:11]
	s_brev_b32 s11, -2
	s_mov_b32 s10, 0x54442d18
	v_cndmask_b32_e32 v8, 0, v8, vcc
	v_cmp_neq_f64_e32 vcc, 0, v[10:11]
	v_fma_f64 v[10:11], -v[14:15], v[18:19], 1.0
	v_fmac_f64_e32 v[18:19], v[18:19], v[10:11]
	v_fma_f64 v[10:11], -v[14:15], v[18:19], 1.0
	v_cndmask_b32_e32 v9, v20, v9, vcc
	v_fmac_f64_e32 v[18:19], v[18:19], v[10:11]
	v_div_scale_f64 v[10:11], vcc, v[12:13], v[16:17], v[12:13]
	v_mul_f64 v[20:21], v[10:11], v[18:19]
	v_fma_f64 v[10:11], -v[14:15], v[20:21], v[10:11]
	v_mov_b32_e32 v14, 0xbd3237f4
	s_nop 0
	v_div_fmas_f64 v[10:11], v[10:11], v[18:19], v[20:21]
	v_div_fixup_f64 v[10:11], v[10:11], v[16:17], v[12:13]
	v_mul_f64 v[12:13], v[10:11], v[10:11]
	v_mov_b32_e32 v15, 0xbf23e260
	v_fmac_f64_e32 v[14:15], s[8:9], v[12:13]
	v_mov_b32_e32 v16, 0x69efb384
	v_mov_b32_e32 v17, 0x3f4b2bb0
	v_fmac_f64_e32 v[16:17], v[12:13], v[14:15]
	v_mov_b32_e32 v14, 0xaf56de9b
	;; [unrolled: 3-line block ×18, first 2 shown]
	v_mov_b32_e32 v15, 0xbfd55555
	v_fmac_f64_e32 v[14:15], v[12:13], v[16:17]
	v_mul_f64 v[12:13], v[12:13], v[14:15]
	v_fmac_f64_e32 v[10:11], v[10:11], v[12:13]
	v_cmp_class_f64_e64 s[8:9], v[2:3], s6
	v_cmp_class_f64_e64 s[6:7], v[0:1], s6
	v_mov_b32_e32 v0, 0x54442d18
	v_mov_b32_e32 v12, 0x7f3321d2
	v_cmp_gt_i32_e32 vcc, 0, v1
	v_mov_b32_e32 v13, 0x4002d97c
	s_nop 0
	v_cndmask_b32_e32 v12, v0, v12, vcc
	v_mov_b32_e32 v0, 0x3fe921fb
	v_cndmask_b32_e32 v0, v0, v13, vcc
	v_bfi_b32 v13, s11, v0, v3
	v_ashrrev_i32_e32 v0, 31, v1
	s_mov_b32 s11, 0x3ff921fb
	v_and_b32_e32 v14, 0x400921fb, v0
	v_and_b32_e32 v15, 0x54442d18, v0
	v_add_f64 v[0:1], -v[10:11], s[10:11]
	v_cndmask_b32_e64 v1, v11, v1, s[0:1]
	v_cndmask_b32_e64 v0, v10, v0, s[0:1]
	s_mov_b32 s11, s12
	v_add_f64 v[10:11], -v[0:1], s[10:11]
	v_cndmask_b32_e32 v1, v1, v11, vcc
	v_cndmask_b32_e32 v0, v0, v10, vcc
	v_cmp_eq_f64_e32 vcc, 0, v[2:3]
	s_nop 1
	v_cndmask_b32_e32 v0, v0, v15, vcc
	v_cndmask_b32_e32 v1, v1, v14, vcc
	s_and_b64 vcc, s[6:7], s[8:9]
	v_cndmask_b32_e32 v13, v1, v13, vcc
	v_cndmask_b32_e32 v12, v0, v12, vcc
.LBB55_27:
	s_or_b64 exec, exec, s[2:3]
                                        ; implicit-def: $vgpr0_vgpr1
.LBB55_28:
	s_andn2_saveexec_b64 s[0:1], s[4:5]
	s_cbranch_execz .LBB55_34
; %bb.29:
	s_mov_b32 s2, 0
	s_brev_b32 s3, 4
	v_cmp_nlt_f64_e64 s[4:5], |v[0:1]|, s[2:3]
	v_cmp_nlt_f64_e64 s[2:3], |v[2:3]|, s[2:3]
	s_or_b64 s[2:3], s[4:5], s[2:3]
                                        ; implicit-def: $vgpr10_vgpr11
	s_and_saveexec_b64 s[4:5], s[2:3]
	s_xor_b64 s[2:3], exec, s[4:5]
; %bb.30:
	v_mul_f64 v[10:11], v[2:3], v[2:3]
	v_fmac_f64_e32 v[10:11], v[0:1], v[0:1]
                                        ; implicit-def: $vgpr0_vgpr1
; %bb.31:
	s_andn2_saveexec_b64 s[2:3], s[2:3]
; %bb.32:
	v_mul_f64 v[8:9], v[2:3], 4.0
	v_mul_f64 v[0:1], v[0:1], 4.0
	v_mul_f64 v[8:9], v[8:9], v[8:9]
	v_fmac_f64_e32 v[8:9], v[0:1], v[0:1]
	v_ldexp_f64 v[10:11], v[8:9], -4
; %bb.33:
	s_or_b64 exec, exec, s[2:3]
	s_mov_b32 s2, 0x55555555
	v_frexp_mant_f64_e32 v[0:1], v[10:11]
	s_mov_b32 s3, 0x3fe55555
	v_cmp_gt_f64_e32 vcc, s[2:3], v[0:1]
	s_mov_b32 s2, 0xbf559e2b
	s_mov_b32 s3, 0x3fc3ab76
	v_cndmask_b32_e64 v8, 0, 1, vcc
	v_ldexp_f64 v[0:1], v[0:1], v8
	v_add_f64 v[8:9], v[0:1], 1.0
	v_rcp_f64_e32 v[12:13], v[8:9]
	v_add_f64 v[16:17], v[8:9], -1.0
	v_add_f64 v[14:15], v[0:1], -1.0
	v_add_f64 v[0:1], v[0:1], -v[16:17]
	v_fma_f64 v[16:17], -v[8:9], v[12:13], 1.0
	v_fmac_f64_e32 v[12:13], v[16:17], v[12:13]
	v_fma_f64 v[16:17], -v[8:9], v[12:13], 1.0
	v_fmac_f64_e32 v[12:13], v[16:17], v[12:13]
	v_mul_f64 v[16:17], v[14:15], v[12:13]
	v_mul_f64 v[18:19], v[8:9], v[16:17]
	v_fma_f64 v[8:9], v[16:17], v[8:9], -v[18:19]
	v_fmac_f64_e32 v[8:9], v[16:17], v[0:1]
	v_add_f64 v[0:1], v[18:19], v[8:9]
	v_add_f64 v[20:21], v[14:15], -v[0:1]
	v_add_f64 v[18:19], v[0:1], -v[18:19]
	;; [unrolled: 1-line block ×5, first 2 shown]
	v_add_f64 v[0:1], v[8:9], v[0:1]
	v_add_f64 v[0:1], v[20:21], v[0:1]
	v_mul_f64 v[0:1], v[12:13], v[0:1]
	v_add_f64 v[8:9], v[16:17], v[0:1]
	v_add_f64 v[12:13], v[8:9], -v[16:17]
	v_add_f64 v[0:1], v[0:1], -v[12:13]
	v_mul_f64 v[12:13], v[8:9], v[8:9]
	v_mov_b32_e32 v14, 0x6b47b09a
	v_mov_b32_e32 v15, 0x3fc38538
	v_fmac_f64_e32 v[14:15], s[2:3], v[12:13]
	v_mov_b32_e32 v16, 0xd7f4df2e
	v_mov_b32_e32 v17, 0x3fc7474d
	v_fmac_f64_e32 v[16:17], v[12:13], v[14:15]
	;; [unrolled: 3-line block ×6, first 2 shown]
	v_ldexp_f64 v[14:15], v[8:9], 1
	v_mul_f64 v[8:9], v[8:9], v[12:13]
	v_mul_f64 v[8:9], v[8:9], v[16:17]
	v_add_f64 v[12:13], v[14:15], v[8:9]
	v_add_f64 v[14:15], v[12:13], -v[14:15]
	v_ldexp_f64 v[0:1], v[0:1], 1
	v_add_f64 v[8:9], v[8:9], -v[14:15]
	v_add_f64 v[0:1], v[0:1], v[8:9]
	v_frexp_exp_i32_f64_e32 v2, v[10:11]
	v_add_f64 v[8:9], v[12:13], v[0:1]
	v_subbrev_co_u32_e32 v2, vcc, 0, v2, vcc
	v_add_f64 v[12:13], v[8:9], -v[12:13]
	s_mov_b32 s2, 0xfefa39ef
	v_add_f64 v[0:1], v[0:1], -v[12:13]
	v_cvt_f64_i32_e32 v[12:13], v2
	s_mov_b32 s3, 0x3fe62e42
	v_mul_f64 v[14:15], v[12:13], s[2:3]
	v_fma_f64 v[16:17], v[12:13], s[2:3], -v[14:15]
	s_mov_b32 s2, 0x3b39803f
	s_mov_b32 s3, 0x3c7abc9e
	v_fmac_f64_e32 v[16:17], s[2:3], v[12:13]
	v_add_f64 v[12:13], v[14:15], v[16:17]
	v_add_f64 v[14:15], v[12:13], -v[14:15]
	v_add_f64 v[14:15], v[16:17], -v[14:15]
	v_add_f64 v[16:17], v[12:13], v[8:9]
	v_add_f64 v[18:19], v[16:17], -v[12:13]
	v_add_f64 v[20:21], v[16:17], -v[18:19]
	;; [unrolled: 1-line block ×4, first 2 shown]
	v_add_f64 v[8:9], v[8:9], v[12:13]
	v_add_f64 v[12:13], v[14:15], v[0:1]
	v_add_f64 v[18:19], v[12:13], -v[14:15]
	v_add_f64 v[20:21], v[12:13], -v[18:19]
	v_add_f64 v[8:9], v[12:13], v[8:9]
	v_add_f64 v[14:15], v[14:15], -v[20:21]
	v_add_f64 v[0:1], v[0:1], -v[18:19]
	v_add_f64 v[12:13], v[16:17], v[8:9]
	v_add_f64 v[0:1], v[0:1], v[14:15]
	v_add_f64 v[14:15], v[12:13], -v[16:17]
	v_add_f64 v[8:9], v[8:9], -v[14:15]
	v_add_f64 v[0:1], v[0:1], v[8:9]
	s_movk_i32 s2, 0x204
	v_add_f64 v[0:1], v[12:13], v[0:1]
	v_cmp_class_f64_e64 vcc, v[10:11], s2
	v_mov_b32_e32 v2, 0x7ff80000
	v_mov_b32_e32 v12, 0
	v_cndmask_b32_e32 v0, v0, v10, vcc
	v_cndmask_b32_e32 v1, v1, v11, vcc
	v_cmp_ngt_f64_e32 vcc, 0, v[10:11]
	v_mov_b32_e32 v13, 0x7ff80000
	s_nop 0
	v_cndmask_b32_e32 v1, v2, v1, vcc
	v_cmp_nge_f64_e32 vcc, 0, v[10:11]
	s_nop 1
	v_cndmask_b32_e32 v8, 0, v0, vcc
	v_mov_b32_e32 v0, 0xfff00000
	v_cmp_neq_f64_e32 vcc, 0, v[10:11]
	s_nop 1
	v_cndmask_b32_e32 v9, v0, v1, vcc
.LBB55_34:
	s_or_b64 exec, exec, s[0:1]
	s_brev_b32 s0, -2
	v_bfi_b32 v13, s0, v13, v3
	v_mul_f64 v[2:3], v[6:7], v[8:9]
	v_mul_f64 v[0:1], v[6:7], v[12:13]
	v_fmac_f64_e32 v[2:3], v[4:5], v[12:13]
	v_fma_f64 v[10:11], v[4:5], v[8:9], -v[0:1]
	v_and_b32_e32 v5, 0x7fffffff, v3
	v_or_b32_e32 v0, v5, v2
	v_cmp_ne_u32_e32 vcc, 0, v0
                                        ; implicit-def: $vgpr0_vgpr1
	s_and_saveexec_b64 s[0:1], vcc
	s_xor_b64 s[4:5], exec, s[0:1]
	s_cbranch_execz .LBB55_40
; %bb.35:
	v_and_b32_e32 v4, 0x7fffffff, v11
	v_or_b32_e32 v0, v4, v10
	v_cmp_ne_u32_e32 vcc, 0, v0
                                        ; implicit-def: $vgpr0_vgpr1
	s_and_saveexec_b64 s[0:1], vcc
	s_xor_b64 s[6:7], exec, s[0:1]
	s_cbranch_execz .LBB55_67
; %bb.36:
	s_mov_b32 s0, 0x7ff00000
	v_cmp_gt_u32_e32 vcc, s0, v5
                                        ; implicit-def: $vgpr0_vgpr1
	s_and_saveexec_b64 s[0:1], vcc
	s_xor_b64 s[8:9], exec, s[0:1]
	s_cbranch_execz .LBB55_60
; %bb.37:
	v_add_u32_e32 v0, 0xbf79d1be, v11
	s_mov_b32 s0, 0x108aa2
	v_cmp_lt_u32_e32 vcc, s0, v0
                                        ; implicit-def: $vgpr0_vgpr1
	s_and_saveexec_b64 s[0:1], vcc
	s_xor_b64 s[2:3], exec, s[0:1]
	s_cbranch_execz .LBB55_49
; %bb.38:
	s_mov_b32 s0, 0
	s_mov_b32 s1, 0x41d00000
	v_cmp_nlt_f64_e64 s[10:11], |v[2:3]|, s[0:1]
                                        ; implicit-def: $vgpr12
                                        ; implicit-def: $vgpr0_vgpr1
                                        ; implicit-def: $vgpr4_vgpr5
	s_and_saveexec_b64 s[0:1], s[10:11]
	s_xor_b64 s[12:13], exec, s[0:1]
	s_cbranch_execz .LBB55_42
; %bb.39:
	s_mov_b32 s0, 0
	s_mov_b32 s1, 0x7b000000
	s_movk_i32 s14, 0xff80
	v_and_b32_e32 v8, 0x7fffffff, v3
	v_ldexp_f64 v[6:7], |v[2:3]|, s14
	v_cmp_ge_f64_e64 vcc, |v[2:3]|, s[0:1]
	v_trig_preop_f64 v[0:1], |v[2:3]|, 0
	v_trig_preop_f64 v[4:5], |v[2:3]|, 1
	v_cndmask_b32_e32 v7, v8, v7, vcc
	v_cndmask_b32_e32 v6, v2, v6, vcc
	v_mul_f64 v[12:13], v[0:1], v[6:7]
	v_mul_f64 v[8:9], v[4:5], v[6:7]
	v_fma_f64 v[0:1], v[0:1], v[6:7], -v[12:13]
	v_add_f64 v[14:15], v[8:9], v[0:1]
	v_add_f64 v[22:23], v[14:15], -v[8:9]
	v_add_f64 v[0:1], v[0:1], -v[22:23]
	;; [unrolled: 1-line block ×4, first 2 shown]
	v_fma_f64 v[4:5], v[4:5], v[6:7], -v[8:9]
	v_trig_preop_f64 v[8:9], |v[2:3]|, 2
	v_add_f64 v[0:1], v[0:1], v[22:23]
	v_mul_f64 v[22:23], v[8:9], v[6:7]
	v_add_f64 v[24:25], v[22:23], v[4:5]
	v_add_f64 v[16:17], v[12:13], v[14:15]
	;; [unrolled: 1-line block ×3, first 2 shown]
	v_ldexp_f64 v[18:19], v[16:17], -2
	v_add_f64 v[12:13], v[16:17], -v[12:13]
	v_add_f64 v[16:17], v[26:27], -v[24:25]
	;; [unrolled: 1-line block ×5, first 2 shown]
	v_add_f64 v[0:1], v[0:1], v[16:17]
	v_add_f64 v[16:17], v[24:25], -v[22:23]
	v_add_f64 v[4:5], v[4:5], -v[16:17]
	;; [unrolled: 1-line block ×4, first 2 shown]
	v_add_f64 v[4:5], v[4:5], v[16:17]
	s_mov_b32 s0, 0
	v_fract_f64_e32 v[20:21], v[18:19]
	v_add_f64 v[0:1], v[4:5], v[0:1]
	v_fma_f64 v[4:5], v[8:9], v[6:7], -v[22:23]
	s_mov_b32 s1, 0x7ff00000
	v_add_f64 v[12:13], v[14:15], -v[12:13]
	v_add_f64 v[0:1], v[4:5], v[0:1]
	v_ldexp_f64 v[4:5], v[20:21], 2
	v_cmp_neq_f64_e64 vcc, |v[18:19]|, s[0:1]
	v_add_f64 v[14:15], v[12:13], v[26:27]
	v_mov_b32_e32 v8, 0x40100000
	v_cndmask_b32_e32 v5, 0, v5, vcc
	v_cndmask_b32_e32 v4, 0, v4, vcc
	v_add_f64 v[6:7], v[14:15], v[4:5]
	v_cmp_gt_f64_e32 vcc, 0, v[6:7]
	v_mov_b32_e32 v6, 0
	v_add_f64 v[12:13], v[14:15], -v[12:13]
	v_cndmask_b32_e32 v7, 0, v8, vcc
	v_add_f64 v[4:5], v[4:5], v[6:7]
	v_add_f64 v[8:9], v[14:15], v[4:5]
	v_cvt_i32_f64_e32 v7, v[8:9]
	v_cvt_f64_i32_e32 v[8:9], v7
	v_add_f64 v[4:5], v[4:5], -v[8:9]
	v_add_f64 v[8:9], v[14:15], v[4:5]
	v_add_f64 v[12:13], v[26:27], -v[12:13]
	v_add_f64 v[4:5], v[8:9], -v[4:5]
	v_add_f64 v[0:1], v[12:13], v[0:1]
	v_add_f64 v[4:5], v[14:15], -v[4:5]
	v_add_f64 v[0:1], v[0:1], v[4:5]
	v_cmp_le_f64_e32 vcc, 0.5, v[8:9]
	v_mov_b32_e32 v4, 0x3ff00000
	s_mov_b32 s14, 0x33145c07
	v_addc_co_u32_e64 v12, s[0:1], 0, v7, vcc
	v_cndmask_b32_e32 v7, 0, v4, vcc
	v_add_f64 v[4:5], v[8:9], -v[6:7]
	v_add_f64 v[6:7], v[4:5], v[0:1]
	s_mov_b32 s0, 0x54442d18
	v_add_f64 v[4:5], v[6:7], -v[4:5]
	s_mov_b32 s1, 0x3ff921fb
	v_add_f64 v[0:1], v[0:1], -v[4:5]
	v_mul_f64 v[4:5], v[6:7], s[0:1]
	v_fma_f64 v[8:9], v[6:7], s[0:1], -v[4:5]
	s_mov_b32 s15, 0x3c91a626
	v_fmac_f64_e32 v[8:9], s[14:15], v[6:7]
	v_fmac_f64_e32 v[8:9], s[0:1], v[0:1]
	v_add_f64 v[0:1], v[4:5], v[8:9]
	v_add_f64 v[4:5], v[0:1], -v[4:5]
	v_add_f64 v[4:5], v[8:9], -v[4:5]
	s_andn2_saveexec_b64 s[0:1], s[12:13]
	s_cbranch_execz .LBB55_44
	s_branch .LBB55_43
.LBB55_40:
	s_andn2_saveexec_b64 s[2:3], s[4:5]
	s_cbranch_execz .LBB55_78
.LBB55_41:
	s_mov_b32 s0, 0x652b82fe
	s_mov_b32 s1, 0x3ff71547
	v_mul_f64 v[0:1], v[10:11], s[0:1]
	s_mov_b32 s0, 0xfefa39ef
	v_rndne_f64_e32 v[0:1], v[0:1]
	s_mov_b32 s1, 0xbfe62e42
	v_fma_f64 v[4:5], s[0:1], v[0:1], v[10:11]
	s_mov_b32 s0, 0x3b39803f
	s_mov_b32 s1, 0xbc7abc9e
	v_fmac_f64_e32 v[4:5], s[0:1], v[0:1]
	s_mov_b32 s0, 0x6a5dcb37
	v_mov_b32_e32 v6, 0xfca7ab0c
	v_mov_b32_e32 v7, 0x3e928af3
	s_mov_b32 s1, 0x3e5ade15
	v_fmac_f64_e32 v[6:7], s[0:1], v[4:5]
	v_mov_b32_e32 v8, 0x623fde64
	v_mov_b32_e32 v9, 0x3ec71dee
	v_fmac_f64_e32 v[8:9], v[4:5], v[6:7]
	v_mov_b32_e32 v6, 0x7c89e6b0
	v_mov_b32_e32 v7, 0x3efa0199
	;; [unrolled: 3-line block ×8, first 2 shown]
	s_mov_b32 s0, 0
	v_fmac_f64_e32 v[6:7], v[4:5], v[8:9]
	s_mov_b32 s1, 0x40900000
	v_fma_f64 v[6:7], v[4:5], v[6:7], 1.0
	v_cmp_nlt_f64_e32 vcc, s[0:1], v[10:11]
	s_mov_b32 s0, 0
	v_fma_f64 v[4:5], v[4:5], v[6:7], 1.0
	v_cvt_i32_f64_e32 v0, v[0:1]
	s_mov_b32 s1, 0xc090cc00
	v_ldexp_f64 v[0:1], v[4:5], v0
	v_mov_b32_e32 v4, 0x7ff00000
	v_cmp_ngt_f64_e64 s[0:1], s[0:1], v[10:11]
	v_cndmask_b32_e32 v1, v4, v1, vcc
	s_and_b64 vcc, s[0:1], vcc
	v_cndmask_b32_e64 v1, 0, v1, s[0:1]
	v_cndmask_b32_e32 v0, 0, v0, vcc
	s_or_b64 exec, exec, s[2:3]
	s_setpc_b64 s[30:31]
.LBB55_42:
	s_andn2_saveexec_b64 s[0:1], s[12:13]
	s_cbranch_execz .LBB55_44
.LBB55_43:
	s_mov_b32 s12, 0x6dc9c883
	s_mov_b32 s13, 0x3fe45f30
	v_mul_f64 v[0:1], |v[2:3]|, s[12:13]
	s_mov_b32 s12, 0x54442d18
	v_rndne_f64_e32 v[6:7], v[0:1]
	s_mov_b32 s13, 0xbff921fb
	v_fma_f64 v[0:1], v[6:7], s[12:13], |v[2:3]|
	s_mov_b32 s13, 0xbc91a626
	s_mov_b32 s12, 0x33145c00
	v_mul_f64 v[8:9], v[6:7], s[12:13]
	v_add_f64 v[14:15], v[0:1], v[8:9]
	v_fma_f64 v[4:5], s[12:13], v[6:7], v[0:1]
	s_mov_b32 s13, 0x3c91a626
	v_add_f64 v[0:1], v[0:1], -v[14:15]
	v_fma_f64 v[12:13], s[12:13], v[6:7], v[8:9]
	v_add_f64 v[0:1], v[0:1], v[8:9]
	v_add_f64 v[8:9], v[14:15], -v[4:5]
	v_add_f64 v[0:1], v[8:9], v[0:1]
	s_mov_b32 s12, 0x252049c0
	v_add_f64 v[8:9], v[0:1], -v[12:13]
	s_mov_b32 s13, 0xb97b839a
	v_fmac_f64_e32 v[8:9], s[12:13], v[6:7]
	v_add_f64 v[0:1], v[4:5], v[8:9]
	v_add_f64 v[4:5], v[0:1], -v[4:5]
	v_add_f64 v[4:5], v[8:9], -v[4:5]
	v_cvt_i32_f64_e32 v12, v[6:7]
.LBB55_44:
	s_or_b64 exec, exec, s[0:1]
                                        ; implicit-def: $vgpr13
                                        ; implicit-def: $vgpr6_vgpr7
                                        ; implicit-def: $vgpr8_vgpr9
	s_and_saveexec_b64 s[0:1], s[10:11]
	s_xor_b64 s[10:11], exec, s[0:1]
	s_cbranch_execz .LBB55_46
; %bb.45:
	s_mov_b32 s0, 0
	s_mov_b32 s1, 0x7b000000
	s_movk_i32 s12, 0xff80
	v_and_b32_e32 v13, 0x7fffffff, v3
	v_ldexp_f64 v[14:15], |v[2:3]|, s12
	v_cmp_ge_f64_e64 vcc, |v[2:3]|, s[0:1]
	v_trig_preop_f64 v[6:7], |v[2:3]|, 0
	v_trig_preop_f64 v[8:9], |v[2:3]|, 1
	v_cndmask_b32_e32 v15, v13, v15, vcc
	v_cndmask_b32_e32 v14, v2, v14, vcc
	v_mul_f64 v[18:19], v[6:7], v[14:15]
	v_mul_f64 v[16:17], v[8:9], v[14:15]
	v_fma_f64 v[6:7], v[6:7], v[14:15], -v[18:19]
	v_add_f64 v[20:21], v[16:17], v[6:7]
	v_add_f64 v[28:29], v[20:21], -v[16:17]
	v_add_f64 v[6:7], v[6:7], -v[28:29]
	;; [unrolled: 1-line block ×4, first 2 shown]
	v_fma_f64 v[8:9], v[8:9], v[14:15], -v[16:17]
	v_trig_preop_f64 v[16:17], |v[2:3]|, 2
	v_add_f64 v[6:7], v[6:7], v[28:29]
	v_mul_f64 v[28:29], v[16:17], v[14:15]
	v_add_f64 v[30:31], v[28:29], v[8:9]
	v_add_f64 v[22:23], v[18:19], v[20:21]
	;; [unrolled: 1-line block ×3, first 2 shown]
	v_ldexp_f64 v[24:25], v[22:23], -2
	v_add_f64 v[18:19], v[22:23], -v[18:19]
	v_add_f64 v[22:23], v[32:33], -v[30:31]
	;; [unrolled: 1-line block ×5, first 2 shown]
	v_add_f64 v[6:7], v[6:7], v[22:23]
	v_add_f64 v[22:23], v[30:31], -v[28:29]
	v_add_f64 v[8:9], v[8:9], -v[22:23]
	;; [unrolled: 1-line block ×4, first 2 shown]
	v_add_f64 v[8:9], v[8:9], v[22:23]
	s_mov_b32 s0, 0
	v_fract_f64_e32 v[26:27], v[24:25]
	v_add_f64 v[6:7], v[8:9], v[6:7]
	v_fma_f64 v[8:9], v[16:17], v[14:15], -v[28:29]
	s_mov_b32 s1, 0x7ff00000
	v_add_f64 v[18:19], v[20:21], -v[18:19]
	v_add_f64 v[6:7], v[8:9], v[6:7]
	v_ldexp_f64 v[8:9], v[26:27], 2
	v_cmp_neq_f64_e64 vcc, |v[24:25]|, s[0:1]
	v_add_f64 v[20:21], v[18:19], v[32:33]
	v_mov_b32_e32 v13, 0x40100000
	v_cndmask_b32_e32 v9, 0, v9, vcc
	v_cndmask_b32_e32 v8, 0, v8, vcc
	v_add_f64 v[14:15], v[20:21], v[8:9]
	v_cmp_gt_f64_e32 vcc, 0, v[14:15]
	v_mov_b32_e32 v14, 0
	v_add_f64 v[18:19], v[20:21], -v[18:19]
	v_cndmask_b32_e32 v15, 0, v13, vcc
	v_add_f64 v[8:9], v[8:9], v[14:15]
	v_add_f64 v[16:17], v[20:21], v[8:9]
	v_cvt_i32_f64_e32 v13, v[16:17]
	v_cvt_f64_i32_e32 v[16:17], v13
	v_add_f64 v[8:9], v[8:9], -v[16:17]
	v_add_f64 v[16:17], v[20:21], v[8:9]
	v_add_f64 v[18:19], v[32:33], -v[18:19]
	v_add_f64 v[8:9], v[16:17], -v[8:9]
	v_add_f64 v[6:7], v[18:19], v[6:7]
	v_add_f64 v[8:9], v[20:21], -v[8:9]
	v_add_f64 v[6:7], v[6:7], v[8:9]
	v_cmp_le_f64_e32 vcc, 0.5, v[16:17]
	v_mov_b32_e32 v8, 0x3ff00000
	s_mov_b32 s12, 0x33145c07
	v_cndmask_b32_e32 v15, 0, v8, vcc
	v_addc_co_u32_e64 v13, s[0:1], 0, v13, vcc
	v_add_f64 v[8:9], v[16:17], -v[14:15]
	v_add_f64 v[14:15], v[8:9], v[6:7]
	s_mov_b32 s0, 0x54442d18
	v_add_f64 v[8:9], v[14:15], -v[8:9]
	s_mov_b32 s1, 0x3ff921fb
	v_add_f64 v[6:7], v[6:7], -v[8:9]
	v_mul_f64 v[8:9], v[14:15], s[0:1]
	v_fma_f64 v[16:17], v[14:15], s[0:1], -v[8:9]
	s_mov_b32 s13, 0x3c91a626
	v_fmac_f64_e32 v[16:17], s[12:13], v[14:15]
	v_fmac_f64_e32 v[16:17], s[0:1], v[6:7]
	v_add_f64 v[6:7], v[8:9], v[16:17]
	v_add_f64 v[8:9], v[6:7], -v[8:9]
	v_add_f64 v[8:9], v[16:17], -v[8:9]
	s_andn2_saveexec_b64 s[0:1], s[10:11]
	s_cbranch_execnz .LBB55_47
	s_branch .LBB55_48
.LBB55_46:
	s_andn2_saveexec_b64 s[0:1], s[10:11]
	s_cbranch_execz .LBB55_48
.LBB55_47:
	s_mov_b32 s10, 0x6dc9c883
	s_mov_b32 s11, 0x3fe45f30
	v_mul_f64 v[6:7], |v[2:3]|, s[10:11]
	s_mov_b32 s10, 0x54442d18
	v_rndne_f64_e32 v[14:15], v[6:7]
	s_mov_b32 s11, 0xbff921fb
	v_fma_f64 v[6:7], v[14:15], s[10:11], |v[2:3]|
	s_mov_b32 s11, 0xbc91a626
	s_mov_b32 s10, 0x33145c00
	v_mul_f64 v[16:17], v[14:15], s[10:11]
	v_add_f64 v[20:21], v[6:7], v[16:17]
	v_fma_f64 v[8:9], s[10:11], v[14:15], v[6:7]
	s_mov_b32 s11, 0x3c91a626
	v_add_f64 v[6:7], v[6:7], -v[20:21]
	v_fma_f64 v[18:19], s[10:11], v[14:15], v[16:17]
	v_add_f64 v[6:7], v[6:7], v[16:17]
	v_add_f64 v[16:17], v[20:21], -v[8:9]
	v_add_f64 v[6:7], v[16:17], v[6:7]
	s_mov_b32 s10, 0x252049c0
	v_add_f64 v[16:17], v[6:7], -v[18:19]
	s_mov_b32 s11, 0xb97b839a
	v_fmac_f64_e32 v[16:17], s[10:11], v[14:15]
	v_add_f64 v[6:7], v[8:9], v[16:17]
	v_add_f64 v[8:9], v[6:7], -v[8:9]
	v_add_f64 v[8:9], v[16:17], -v[8:9]
	v_cvt_i32_f64_e32 v13, v[14:15]
.LBB55_48:
	s_or_b64 exec, exec, s[0:1]
	s_mov_b32 s0, 0x652b82fe
	s_mov_b32 s1, 0x3ff71547
	v_mul_f64 v[14:15], v[10:11], s[0:1]
	s_mov_b32 s0, 0xfefa39ef
	v_rndne_f64_e32 v[14:15], v[14:15]
	s_mov_b32 s1, 0xbfe62e42
	v_fma_f64 v[16:17], s[0:1], v[14:15], v[10:11]
	s_mov_b32 s0, 0x3b39803f
	s_mov_b32 s1, 0xbc7abc9e
	v_fmac_f64_e32 v[16:17], s[0:1], v[14:15]
	s_mov_b32 s0, 0x6a5dcb37
	v_mov_b32_e32 v18, 0xfca7ab0c
	v_mov_b32_e32 v19, 0x3e928af3
	s_mov_b32 s1, 0x3e5ade15
	v_fmac_f64_e32 v[18:19], s[0:1], v[16:17]
	v_mov_b32_e32 v20, 0x623fde64
	v_mov_b32_e32 v21, 0x3ec71dee
	v_fmac_f64_e32 v[20:21], v[16:17], v[18:19]
	v_mov_b32_e32 v18, 0x7c89e6b0
	v_mov_b32_e32 v19, 0x3efa0199
	;; [unrolled: 3-line block ×8, first 2 shown]
	v_fmac_f64_e32 v[18:19], v[16:17], v[20:21]
	s_mov_b32 s0, 0
	v_fma_f64 v[18:19], v[16:17], v[18:19], 1.0
	s_mov_b32 s1, 0x40900000
	v_fma_f64 v[16:17], v[16:17], v[18:19], 1.0
	v_cvt_i32_f64_e32 v14, v[14:15]
	v_cmp_nlt_f64_e32 vcc, s[0:1], v[10:11]
	s_mov_b32 s0, 0
	v_ldexp_f64 v[14:15], v[16:17], v14
	v_mov_b32_e32 v16, 0x7ff00000
	s_mov_b32 s1, 0xc090cc00
	v_cndmask_b32_e32 v15, v16, v15, vcc
	v_cmp_ngt_f64_e64 s[0:1], s[0:1], v[10:11]
	s_and_b64 vcc, s[0:1], vcc
	s_mov_b32 s14, 0x46cc5e42
	v_cndmask_b32_e64 v11, 0, v15, s[0:1]
	s_mov_b32 s0, 0x9037ab78
	s_mov_b32 s1, 0x3e21eeb6
	v_cndmask_b32_e32 v10, 0, v14, vcc
	v_mul_f64 v[14:15], v[0:1], v[0:1]
	s_mov_b32 s15, 0xbda907db
	v_mov_b64_e32 v[22:23], s[0:1]
	s_mov_b32 s0, 0xa17f65f6
	v_mul_f64 v[16:17], v[14:15], 0.5
	v_fma_f64 v[24:25], s[14:15], v[14:15], v[22:23]
	s_mov_b32 s1, 0xbe927e4f
	s_mov_b32 s16, 0x19f4ec90
	v_add_f64 v[18:19], -v[16:17], 1.0
	v_fma_f64 v[24:25], v[14:15], v[24:25], s[0:1]
	s_mov_b32 s17, 0x3efa01a0
	s_mov_b32 s18, 0x16c16967
	;; [unrolled: 1-line block ×3, first 2 shown]
	v_add_f64 v[20:21], -v[18:19], 1.0
	v_fma_f64 v[24:25], v[14:15], v[24:25], s[16:17]
	s_mov_b32 s19, 0xbf56c16c
	s_mov_b32 s13, 0x3fa55555
	v_add_f64 v[16:17], v[20:21], -v[16:17]
	v_fma_f64 v[24:25], v[14:15], v[24:25], s[18:19]
	v_mul_f64 v[20:21], v[14:15], v[14:15]
	v_fma_f64 v[24:25], v[14:15], v[24:25], s[12:13]
	v_fma_f64 v[16:17], v[0:1], -v[4:5], v[16:17]
	s_mov_b32 s20, 0xb42fdfa7
	v_fmac_f64_e32 v[16:17], v[20:21], v[24:25]
	s_mov_b32 s21, 0xbe5ae600
	s_mov_b32 s22, 0xf9a43bb8
	v_add_f64 v[16:17], v[18:19], v[16:17]
	s_mov_b32 s23, 0x3de5e0b2
	v_mov_b64_e32 v[18:19], s[20:21]
	s_mov_b32 s20, 0x796cde01
	v_fma_f64 v[20:21], s[22:23], v[14:15], v[18:19]
	s_mov_b32 s21, 0x3ec71de3
	s_mov_b32 s24, 0x19e83e5c
	;; [unrolled: 1-line block ×3, first 2 shown]
	v_fma_f64 v[20:21], v[14:15], v[20:21], s[20:21]
	s_mov_b32 s25, 0xbf2a01a0
	s_mov_b32 s11, 0x3f811111
	v_fma_f64 v[20:21], v[14:15], v[20:21], s[24:25]
	v_fma_f64 v[20:21], v[14:15], v[20:21], s[10:11]
	v_mul_f64 v[24:25], v[0:1], -v[14:15]
	v_mul_f64 v[26:27], v[4:5], 0.5
	v_fmac_f64_e32 v[26:27], v[24:25], v[20:21]
	v_fma_f64 v[4:5], v[14:15], v[26:27], -v[4:5]
	s_mov_b32 s27, 0xbfc55555
	s_mov_b32 s26, s12
	v_fmac_f64_e32 v[4:5], s[26:27], v[24:25]
	v_add_f64 v[0:1], v[0:1], -v[4:5]
	v_and_b32_e32 v4, 1, v12
	v_xor_b32_e32 v1, 0x80000000, v1
	v_cmp_eq_u32_e32 vcc, 0, v4
	s_brev_b32 s28, 1
	v_lshlrev_b32_e32 v4, 30, v12
	v_cndmask_b32_e32 v1, v1, v17, vcc
	v_bitop3_b32 v1, v1, v4, s28 bitop3:0x78
	v_mul_f64 v[4:5], v[6:7], v[6:7]
	v_mul_f64 v[14:15], v[4:5], 0.5
	v_fmac_f64_e32 v[22:23], s[14:15], v[4:5]
	v_cndmask_b32_e32 v0, v0, v16, vcc
	v_add_f64 v[16:17], -v[14:15], 1.0
	v_fma_f64 v[22:23], v[4:5], v[22:23], s[0:1]
	v_add_f64 v[20:21], -v[16:17], 1.0
	v_fma_f64 v[22:23], v[4:5], v[22:23], s[16:17]
	v_add_f64 v[14:15], v[20:21], -v[14:15]
	v_fma_f64 v[22:23], v[4:5], v[22:23], s[18:19]
	v_mul_f64 v[20:21], v[4:5], v[4:5]
	v_fma_f64 v[22:23], v[4:5], v[22:23], s[12:13]
	v_fma_f64 v[14:15], v[6:7], -v[8:9], v[14:15]
	v_fmac_f64_e32 v[14:15], v[20:21], v[22:23]
	v_fmac_f64_e32 v[18:19], s[22:23], v[4:5]
	v_add_f64 v[14:15], v[16:17], v[14:15]
	v_fma_f64 v[16:17], v[4:5], v[18:19], s[20:21]
	v_fma_f64 v[16:17], v[4:5], v[16:17], s[24:25]
	;; [unrolled: 1-line block ×3, first 2 shown]
	v_mul_f64 v[18:19], v[6:7], -v[4:5]
	v_mul_f64 v[20:21], v[8:9], 0.5
	v_fmac_f64_e32 v[20:21], v[18:19], v[16:17]
	s_movk_i32 s29, 0x1f8
	v_fma_f64 v[4:5], v[4:5], v[20:21], -v[8:9]
	v_cmp_class_f64_e64 vcc, v[2:3], s29
	v_fmac_f64_e32 v[4:5], s[26:27], v[18:19]
	v_and_b32_e32 v2, 1, v13
	v_add_f64 v[4:5], v[6:7], -v[4:5]
	v_cmp_eq_u32_e64 s[0:1], 0, v2
	v_mov_b32_e32 v12, 0x7ff80000
	v_cndmask_b32_e32 v0, 0, v0, vcc
	v_cndmask_b32_e64 v2, v14, v4, s[0:1]
	v_cndmask_b32_e64 v4, v15, v5, s[0:1]
	v_lshlrev_b32_e32 v5, 30, v13
	v_xor_b32_e32 v3, v5, v3
	v_bitop3_b32 v3, v4, v3, s28 bitop3:0x78
	v_cndmask_b32_e32 v1, v12, v1, vcc
	v_cndmask_b32_e32 v2, 0, v2, vcc
	;; [unrolled: 1-line block ×3, first 2 shown]
	v_mul_f64 v[0:1], v[10:11], v[0:1]
	v_mul_f64 v[2:3], v[10:11], v[2:3]
                                        ; implicit-def: $vgpr10_vgpr11
.LBB55_49:
	s_andn2_saveexec_b64 s[10:11], s[2:3]
	s_cbranch_execz .LBB55_52
; %bb.50:
	s_mov_b32 s0, 0
	s_mov_b32 s1, 0x41d00000
	v_cmp_nlt_f64_e64 s[2:3], |v[2:3]|, s[0:1]
                                        ; implicit-def: $vgpr12
                                        ; implicit-def: $vgpr0_vgpr1
                                        ; implicit-def: $vgpr4_vgpr5
	s_and_saveexec_b64 s[0:1], s[2:3]
	s_xor_b64 s[12:13], exec, s[0:1]
	s_cbranch_execz .LBB55_53
; %bb.51:
	s_mov_b32 s0, 0
	s_mov_b32 s1, 0x7b000000
	s_movk_i32 s14, 0xff80
	v_and_b32_e32 v8, 0x7fffffff, v3
	v_ldexp_f64 v[6:7], |v[2:3]|, s14
	v_cmp_ge_f64_e64 vcc, |v[2:3]|, s[0:1]
	v_trig_preop_f64 v[0:1], |v[2:3]|, 0
	v_trig_preop_f64 v[4:5], |v[2:3]|, 1
	v_cndmask_b32_e32 v7, v8, v7, vcc
	v_cndmask_b32_e32 v6, v2, v6, vcc
	v_mul_f64 v[12:13], v[0:1], v[6:7]
	v_mul_f64 v[8:9], v[4:5], v[6:7]
	v_fma_f64 v[0:1], v[0:1], v[6:7], -v[12:13]
	v_add_f64 v[14:15], v[8:9], v[0:1]
	v_add_f64 v[22:23], v[14:15], -v[8:9]
	v_add_f64 v[0:1], v[0:1], -v[22:23]
	;; [unrolled: 1-line block ×4, first 2 shown]
	v_fma_f64 v[4:5], v[4:5], v[6:7], -v[8:9]
	v_trig_preop_f64 v[8:9], |v[2:3]|, 2
	v_add_f64 v[0:1], v[0:1], v[22:23]
	v_mul_f64 v[22:23], v[8:9], v[6:7]
	v_add_f64 v[24:25], v[22:23], v[4:5]
	v_add_f64 v[16:17], v[12:13], v[14:15]
	v_add_f64 v[26:27], v[24:25], v[0:1]
	v_ldexp_f64 v[18:19], v[16:17], -2
	v_add_f64 v[12:13], v[16:17], -v[12:13]
	v_add_f64 v[16:17], v[26:27], -v[24:25]
	;; [unrolled: 1-line block ×5, first 2 shown]
	v_add_f64 v[0:1], v[0:1], v[16:17]
	v_add_f64 v[16:17], v[24:25], -v[22:23]
	v_add_f64 v[4:5], v[4:5], -v[16:17]
	;; [unrolled: 1-line block ×4, first 2 shown]
	v_add_f64 v[4:5], v[4:5], v[16:17]
	s_mov_b32 s0, 0
	v_fract_f64_e32 v[20:21], v[18:19]
	v_add_f64 v[0:1], v[4:5], v[0:1]
	v_fma_f64 v[4:5], v[8:9], v[6:7], -v[22:23]
	s_mov_b32 s1, 0x7ff00000
	v_add_f64 v[12:13], v[14:15], -v[12:13]
	v_add_f64 v[0:1], v[4:5], v[0:1]
	v_ldexp_f64 v[4:5], v[20:21], 2
	v_cmp_neq_f64_e64 vcc, |v[18:19]|, s[0:1]
	v_add_f64 v[14:15], v[12:13], v[26:27]
	v_mov_b32_e32 v8, 0x40100000
	v_cndmask_b32_e32 v5, 0, v5, vcc
	v_cndmask_b32_e32 v4, 0, v4, vcc
	v_add_f64 v[6:7], v[14:15], v[4:5]
	v_cmp_gt_f64_e32 vcc, 0, v[6:7]
	v_mov_b32_e32 v6, 0
	v_add_f64 v[12:13], v[14:15], -v[12:13]
	v_cndmask_b32_e32 v7, 0, v8, vcc
	v_add_f64 v[4:5], v[4:5], v[6:7]
	v_add_f64 v[8:9], v[14:15], v[4:5]
	v_cvt_i32_f64_e32 v7, v[8:9]
	v_cvt_f64_i32_e32 v[8:9], v7
	v_add_f64 v[4:5], v[4:5], -v[8:9]
	v_add_f64 v[8:9], v[14:15], v[4:5]
	v_add_f64 v[12:13], v[26:27], -v[12:13]
	v_add_f64 v[4:5], v[8:9], -v[4:5]
	v_add_f64 v[0:1], v[12:13], v[0:1]
	v_add_f64 v[4:5], v[14:15], -v[4:5]
	v_add_f64 v[0:1], v[0:1], v[4:5]
	v_cmp_le_f64_e32 vcc, 0.5, v[8:9]
	v_mov_b32_e32 v4, 0x3ff00000
	s_mov_b32 s14, 0x33145c07
	v_addc_co_u32_e64 v12, s[0:1], 0, v7, vcc
	v_cndmask_b32_e32 v7, 0, v4, vcc
	v_add_f64 v[4:5], v[8:9], -v[6:7]
	v_add_f64 v[6:7], v[4:5], v[0:1]
	s_mov_b32 s0, 0x54442d18
	v_add_f64 v[4:5], v[6:7], -v[4:5]
	s_mov_b32 s1, 0x3ff921fb
	v_add_f64 v[0:1], v[0:1], -v[4:5]
	v_mul_f64 v[4:5], v[6:7], s[0:1]
	v_fma_f64 v[8:9], v[6:7], s[0:1], -v[4:5]
	s_mov_b32 s15, 0x3c91a626
	v_fmac_f64_e32 v[8:9], s[14:15], v[6:7]
	v_fmac_f64_e32 v[8:9], s[0:1], v[0:1]
	v_add_f64 v[0:1], v[4:5], v[8:9]
	v_add_f64 v[4:5], v[0:1], -v[4:5]
	v_add_f64 v[4:5], v[8:9], -v[4:5]
	s_andn2_saveexec_b64 s[0:1], s[12:13]
	s_cbranch_execz .LBB55_55
	s_branch .LBB55_54
.LBB55_52:
	s_or_b64 exec, exec, s[10:11]
                                        ; implicit-def: $vgpr10_vgpr11
                                        ; implicit-def: $vgpr4
	s_andn2_saveexec_b64 s[2:3], s[8:9]
	s_cbranch_execnz .LBB55_61
	s_branch .LBB55_66
.LBB55_53:
	s_andn2_saveexec_b64 s[0:1], s[12:13]
	s_cbranch_execz .LBB55_55
.LBB55_54:
	s_mov_b32 s12, 0x6dc9c883
	s_mov_b32 s13, 0x3fe45f30
	v_mul_f64 v[0:1], |v[2:3]|, s[12:13]
	s_mov_b32 s12, 0x54442d18
	v_rndne_f64_e32 v[6:7], v[0:1]
	s_mov_b32 s13, 0xbff921fb
	v_fma_f64 v[0:1], v[6:7], s[12:13], |v[2:3]|
	s_mov_b32 s13, 0xbc91a626
	s_mov_b32 s12, 0x33145c00
	v_mul_f64 v[8:9], v[6:7], s[12:13]
	v_add_f64 v[14:15], v[0:1], v[8:9]
	v_fma_f64 v[4:5], s[12:13], v[6:7], v[0:1]
	s_mov_b32 s13, 0x3c91a626
	v_add_f64 v[0:1], v[0:1], -v[14:15]
	v_fma_f64 v[12:13], s[12:13], v[6:7], v[8:9]
	v_add_f64 v[0:1], v[0:1], v[8:9]
	v_add_f64 v[8:9], v[14:15], -v[4:5]
	v_add_f64 v[0:1], v[8:9], v[0:1]
	s_mov_b32 s12, 0x252049c0
	v_add_f64 v[8:9], v[0:1], -v[12:13]
	s_mov_b32 s13, 0xb97b839a
	v_fmac_f64_e32 v[8:9], s[12:13], v[6:7]
	v_add_f64 v[0:1], v[4:5], v[8:9]
	v_add_f64 v[4:5], v[0:1], -v[4:5]
	v_add_f64 v[4:5], v[8:9], -v[4:5]
	v_cvt_i32_f64_e32 v12, v[6:7]
.LBB55_55:
	s_or_b64 exec, exec, s[0:1]
                                        ; implicit-def: $vgpr13
                                        ; implicit-def: $vgpr6_vgpr7
                                        ; implicit-def: $vgpr8_vgpr9
	s_and_saveexec_b64 s[0:1], s[2:3]
	s_xor_b64 s[2:3], exec, s[0:1]
	s_cbranch_execz .LBB55_57
; %bb.56:
	s_mov_b32 s0, 0
	s_mov_b32 s1, 0x7b000000
	s_movk_i32 s12, 0xff80
	v_and_b32_e32 v13, 0x7fffffff, v3
	v_ldexp_f64 v[14:15], |v[2:3]|, s12
	v_cmp_ge_f64_e64 vcc, |v[2:3]|, s[0:1]
	v_trig_preop_f64 v[6:7], |v[2:3]|, 0
	v_trig_preop_f64 v[8:9], |v[2:3]|, 1
	v_cndmask_b32_e32 v15, v13, v15, vcc
	v_cndmask_b32_e32 v14, v2, v14, vcc
	v_mul_f64 v[18:19], v[6:7], v[14:15]
	v_mul_f64 v[16:17], v[8:9], v[14:15]
	v_fma_f64 v[6:7], v[6:7], v[14:15], -v[18:19]
	v_add_f64 v[20:21], v[16:17], v[6:7]
	v_add_f64 v[28:29], v[20:21], -v[16:17]
	v_add_f64 v[6:7], v[6:7], -v[28:29]
	;; [unrolled: 1-line block ×4, first 2 shown]
	v_fma_f64 v[8:9], v[8:9], v[14:15], -v[16:17]
	v_trig_preop_f64 v[16:17], |v[2:3]|, 2
	v_add_f64 v[6:7], v[6:7], v[28:29]
	v_mul_f64 v[28:29], v[16:17], v[14:15]
	v_add_f64 v[30:31], v[28:29], v[8:9]
	v_add_f64 v[22:23], v[18:19], v[20:21]
	;; [unrolled: 1-line block ×3, first 2 shown]
	v_ldexp_f64 v[24:25], v[22:23], -2
	v_add_f64 v[18:19], v[22:23], -v[18:19]
	v_add_f64 v[22:23], v[32:33], -v[30:31]
	;; [unrolled: 1-line block ×5, first 2 shown]
	v_add_f64 v[6:7], v[6:7], v[22:23]
	v_add_f64 v[22:23], v[30:31], -v[28:29]
	v_add_f64 v[8:9], v[8:9], -v[22:23]
	;; [unrolled: 1-line block ×4, first 2 shown]
	v_add_f64 v[8:9], v[8:9], v[22:23]
	s_mov_b32 s0, 0
	v_fract_f64_e32 v[26:27], v[24:25]
	v_add_f64 v[6:7], v[8:9], v[6:7]
	v_fma_f64 v[8:9], v[16:17], v[14:15], -v[28:29]
	s_mov_b32 s1, 0x7ff00000
	v_add_f64 v[18:19], v[20:21], -v[18:19]
	v_add_f64 v[6:7], v[8:9], v[6:7]
	v_ldexp_f64 v[8:9], v[26:27], 2
	v_cmp_neq_f64_e64 vcc, |v[24:25]|, s[0:1]
	v_add_f64 v[20:21], v[18:19], v[32:33]
	v_mov_b32_e32 v13, 0x40100000
	v_cndmask_b32_e32 v9, 0, v9, vcc
	v_cndmask_b32_e32 v8, 0, v8, vcc
	v_add_f64 v[14:15], v[20:21], v[8:9]
	v_cmp_gt_f64_e32 vcc, 0, v[14:15]
	v_mov_b32_e32 v14, 0
	v_add_f64 v[18:19], v[20:21], -v[18:19]
	v_cndmask_b32_e32 v15, 0, v13, vcc
	v_add_f64 v[8:9], v[8:9], v[14:15]
	v_add_f64 v[16:17], v[20:21], v[8:9]
	v_cvt_i32_f64_e32 v13, v[16:17]
	v_cvt_f64_i32_e32 v[16:17], v13
	v_add_f64 v[8:9], v[8:9], -v[16:17]
	v_add_f64 v[16:17], v[20:21], v[8:9]
	v_add_f64 v[18:19], v[32:33], -v[18:19]
	v_add_f64 v[8:9], v[16:17], -v[8:9]
	v_add_f64 v[6:7], v[18:19], v[6:7]
	v_add_f64 v[8:9], v[20:21], -v[8:9]
	v_add_f64 v[6:7], v[6:7], v[8:9]
	v_cmp_le_f64_e32 vcc, 0.5, v[16:17]
	v_mov_b32_e32 v8, 0x3ff00000
	s_mov_b32 s12, 0x33145c07
	v_cndmask_b32_e32 v15, 0, v8, vcc
	v_addc_co_u32_e64 v13, s[0:1], 0, v13, vcc
	v_add_f64 v[8:9], v[16:17], -v[14:15]
	v_add_f64 v[14:15], v[8:9], v[6:7]
	s_mov_b32 s0, 0x54442d18
	v_add_f64 v[8:9], v[14:15], -v[8:9]
	s_mov_b32 s1, 0x3ff921fb
	v_add_f64 v[6:7], v[6:7], -v[8:9]
	v_mul_f64 v[8:9], v[14:15], s[0:1]
	v_fma_f64 v[16:17], v[14:15], s[0:1], -v[8:9]
	s_mov_b32 s13, 0x3c91a626
	v_fmac_f64_e32 v[16:17], s[12:13], v[14:15]
	v_fmac_f64_e32 v[16:17], s[0:1], v[6:7]
	v_add_f64 v[6:7], v[8:9], v[16:17]
	v_add_f64 v[8:9], v[6:7], -v[8:9]
	v_add_f64 v[8:9], v[16:17], -v[8:9]
	s_andn2_saveexec_b64 s[0:1], s[2:3]
	s_cbranch_execnz .LBB55_58
	s_branch .LBB55_59
.LBB55_57:
	s_andn2_saveexec_b64 s[0:1], s[2:3]
	s_cbranch_execz .LBB55_59
.LBB55_58:
	s_mov_b32 s2, 0x6dc9c883
	s_mov_b32 s3, 0x3fe45f30
	v_mul_f64 v[6:7], |v[2:3]|, s[2:3]
	s_mov_b32 s2, 0x54442d18
	v_rndne_f64_e32 v[14:15], v[6:7]
	s_mov_b32 s3, 0xbff921fb
	v_fma_f64 v[6:7], v[14:15], s[2:3], |v[2:3]|
	s_mov_b32 s3, 0xbc91a626
	s_mov_b32 s2, 0x33145c00
	v_mul_f64 v[16:17], v[14:15], s[2:3]
	v_add_f64 v[20:21], v[6:7], v[16:17]
	v_fma_f64 v[8:9], s[2:3], v[14:15], v[6:7]
	s_mov_b32 s3, 0x3c91a626
	v_add_f64 v[6:7], v[6:7], -v[20:21]
	v_fma_f64 v[18:19], s[2:3], v[14:15], v[16:17]
	v_add_f64 v[6:7], v[6:7], v[16:17]
	v_add_f64 v[16:17], v[20:21], -v[8:9]
	v_add_f64 v[6:7], v[16:17], v[6:7]
	s_mov_b32 s2, 0x252049c0
	v_add_f64 v[16:17], v[6:7], -v[18:19]
	s_mov_b32 s3, 0xb97b839a
	v_fmac_f64_e32 v[16:17], s[2:3], v[14:15]
	v_add_f64 v[6:7], v[8:9], v[16:17]
	v_add_f64 v[8:9], v[6:7], -v[8:9]
	v_add_f64 v[8:9], v[16:17], -v[8:9]
	v_cvt_i32_f64_e32 v13, v[14:15]
.LBB55_59:
	s_or_b64 exec, exec, s[0:1]
	s_mov_b32 s0, 0x9037ab78
	s_mov_b32 s1, 0x3e21eeb6
	;; [unrolled: 1-line block ×3, first 2 shown]
	v_mul_f64 v[14:15], v[0:1], v[0:1]
	s_mov_b32 s13, 0xbda907db
	v_mov_b64_e32 v[22:23], s[0:1]
	s_mov_b32 s14, 0xa17f65f6
	v_mul_f64 v[16:17], v[14:15], 0.5
	v_fma_f64 v[24:25], s[12:13], v[14:15], v[22:23]
	s_mov_b32 s15, 0xbe927e4f
	s_mov_b32 s16, 0x19f4ec90
	v_add_f64 v[18:19], -v[16:17], 1.0
	v_fma_f64 v[24:25], v[14:15], v[24:25], s[14:15]
	s_mov_b32 s17, 0x3efa01a0
	s_mov_b32 s18, 0x16c16967
	v_fma_f64 v[24:25], v[14:15], v[24:25], s[16:17]
	s_mov_b32 s19, 0xbf56c16c
	s_mov_b32 s20, 0x55555555
	v_add_f64 v[26:27], -v[18:19], 1.0
	v_fma_f64 v[24:25], v[14:15], v[24:25], s[18:19]
	s_mov_b32 s21, 0x3fa55555
	v_add_f64 v[16:17], v[26:27], -v[16:17]
	s_mov_b32 s0, 0xb42fdfa7
	v_mul_f64 v[20:21], v[14:15], v[14:15]
	v_fma_f64 v[24:25], v[14:15], v[24:25], s[20:21]
	v_fma_f64 v[16:17], v[0:1], -v[4:5], v[16:17]
	s_mov_b32 s1, 0xbe5ae600
	s_mov_b32 s22, 0xf9a43bb8
	v_fmac_f64_e32 v[16:17], v[20:21], v[24:25]
	s_mov_b32 s23, 0x3de5e0b2
	v_mov_b64_e32 v[20:21], s[0:1]
	s_mov_b32 s24, 0x796cde01
	v_fma_f64 v[24:25], s[22:23], v[14:15], v[20:21]
	s_mov_b32 s25, 0x3ec71de3
	s_mov_b32 s26, 0x19e83e5c
	v_fma_f64 v[24:25], v[14:15], v[24:25], s[24:25]
	s_mov_b32 s27, 0xbf2a01a0
	;; [unrolled: 3-line block ×3, first 2 shown]
	v_add_f64 v[16:17], v[18:19], v[16:17]
	v_mul_f64 v[18:19], v[0:1], -v[14:15]
	v_fma_f64 v[24:25], v[14:15], v[24:25], s[28:29]
	v_mul_f64 v[26:27], v[4:5], 0.5
	v_fmac_f64_e32 v[26:27], v[18:19], v[24:25]
	v_fma_f64 v[4:5], v[14:15], v[26:27], -v[4:5]
	s_mov_b32 s41, 0xbfc55555
	s_mov_b32 s40, s20
	v_fmac_f64_e32 v[4:5], s[40:41], v[18:19]
	v_and_b32_e32 v28, 1, v12
	v_add_f64 v[0:1], v[0:1], -v[4:5]
	v_xor_b32_e32 v1, 0x80000000, v1
	v_cmp_eq_u32_e32 vcc, 0, v28
	s_mov_b32 s0, 0x19ba0da4
	s_brev_b32 s42, 1
	v_cndmask_b32_e32 v1, v1, v17, vcc
	v_lshlrev_b32_e32 v4, 30, v12
	s_mov_b32 s1, 0xc0937be3
	v_bitop3_b32 v1, v1, v4, s42 bitop3:0x78
	v_add_f64 v[4:5], v[10:11], s[0:1]
	s_mov_b32 s0, 0x652b82fe
	s_mov_b32 s1, 0x3ff71547
	v_mul_f64 v[10:11], v[4:5], s[0:1]
	s_mov_b32 s0, 0xfefa39ef
	v_rndne_f64_e32 v[10:11], v[10:11]
	s_mov_b32 s1, 0xbfe62e42
	v_fma_f64 v[14:15], s[0:1], v[10:11], v[4:5]
	s_mov_b32 s0, 0x3b39803f
	s_mov_b32 s1, 0xbc7abc9e
	v_fmac_f64_e32 v[14:15], s[0:1], v[10:11]
	s_mov_b32 s0, 0x6a5dcb37
	v_cndmask_b32_e32 v0, v0, v16, vcc
	v_mov_b32_e32 v16, 0xfca7ab0c
	v_mov_b32_e32 v17, 0x3e928af3
	s_mov_b32 s1, 0x3e5ade15
	v_fmac_f64_e32 v[16:17], s[0:1], v[14:15]
	v_mov_b32_e32 v18, 0x623fde64
	v_mov_b32_e32 v19, 0x3ec71dee
	v_fmac_f64_e32 v[18:19], v[14:15], v[16:17]
	v_mov_b32_e32 v16, 0x7c89e6b0
	v_mov_b32_e32 v17, 0x3efa0199
	;; [unrolled: 3-line block ×8, first 2 shown]
	v_fmac_f64_e32 v[16:17], v[14:15], v[18:19]
	s_movk_i32 s2, 0x1f8
	v_fma_f64 v[16:17], v[14:15], v[16:17], 1.0
	s_mov_b32 s0, 0
	v_cmp_class_f64_e64 vcc, v[2:3], s2
	v_fma_f64 v[14:15], v[14:15], v[16:17], 1.0
	v_cvt_i32_f64_e32 v2, v[10:11]
	s_mov_b32 s1, 0x40900000
	s_mov_b32 s2, 0
	v_ldexp_f64 v[10:11], v[14:15], v2
	v_mov_b32_e32 v2, 0x7ff00000
	v_cmp_nlt_f64_e64 s[0:1], s[0:1], v[4:5]
	s_mov_b32 s3, 0xc090cc00
	v_mul_f64 v[16:17], v[6:7], v[6:7]
	v_cndmask_b32_e64 v2, v2, v11, s[0:1]
	v_cmp_ngt_f64_e64 s[2:3], s[2:3], v[4:5]
	v_mul_f64 v[18:19], v[16:17], 0.5
	v_fmac_f64_e32 v[22:23], s[12:13], v[16:17]
	v_cndmask_b32_e64 v2, 0, v2, s[2:3]
	v_add_f64 v[24:25], -v[18:19], 1.0
	v_fma_f64 v[22:23], v[16:17], v[22:23], s[14:15]
	v_and_b32_e32 v5, 0xfffff, v2
	v_lshrrev_b32_e32 v2, 20, v2
	v_add_f64 v[26:27], -v[24:25], 1.0
	v_fma_f64 v[22:23], v[16:17], v[22:23], s[16:17]
	s_and_b64 s[0:1], s[2:3], s[0:1]
	v_add_u32_e32 v2, 0xffffff09, v2
	v_add_f64 v[18:19], v[26:27], -v[18:19]
	v_fma_f64 v[22:23], v[16:17], v[22:23], s[18:19]
	v_fmac_f64_e32 v[20:21], s[22:23], v[16:17]
	v_cndmask_b32_e64 v4, 0, v10, s[0:1]
	v_lshrrev_b16_e32 v10, 15, v2
	v_mul_f64 v[26:27], v[16:17], v[16:17]
	v_fma_f64 v[22:23], v[16:17], v[22:23], s[20:21]
	v_fma_f64 v[18:19], v[6:7], -v[8:9], v[18:19]
	v_fma_f64 v[20:21], v[16:17], v[20:21], s[24:25]
	v_add_u16_e32 v10, v2, v10
	v_fmac_f64_e32 v[18:19], v[26:27], v[22:23]
	v_fma_f64 v[20:21], v[16:17], v[20:21], s[26:27]
	v_ashrrev_i16_e32 v10, 1, v10
	v_add_f64 v[18:19], v[24:25], v[18:19]
	v_fma_f64 v[20:21], v[16:17], v[20:21], s[28:29]
	v_mul_f64 v[22:23], v[6:7], -v[16:17]
	v_mul_f64 v[24:25], v[8:9], 0.5
	v_bfe_i32 v14, v10, 0, 16
	v_fmac_f64_e32 v[24:25], v[22:23], v[20:21]
	v_mov_b32_e32 v15, 0x3ff00000
	v_sub_u32_e32 v2, v2, v14
	v_fma_f64 v[8:9], v[16:17], v[24:25], -v[8:9]
	v_lshl_add_u32 v11, v14, 20, v15
	v_lshl_add_u32 v15, v2, 20, v15
	v_fmac_f64_e32 v[8:9], s[40:41], v[22:23]
	v_and_b32_e32 v2, 1, v13
	v_add_f64 v[6:7], v[6:7], -v[8:9]
	v_cmp_eq_u32_e64 s[0:1], 0, v2
	v_mov_b32_e32 v12, 0x7ff80000
	v_cndmask_b32_e32 v0, 0, v0, vcc
	v_cndmask_b32_e64 v2, v18, v6, s[0:1]
	v_cndmask_b32_e64 v6, v19, v7, s[0:1]
	v_lshlrev_b32_e32 v7, 30, v13
	v_xor_b32_e32 v3, v7, v3
	v_bitop3_b32 v3, v6, v3, s42 bitop3:0x78
	v_cndmask_b32_e32 v1, v12, v1, vcc
	v_or_b32_e32 v5, 0x7fe00000, v5
	v_cndmask_b32_e32 v2, 0, v2, vcc
	v_cndmask_b32_e32 v3, v12, v3, vcc
	v_mul_f64 v[0:1], v[4:5], v[0:1]
	v_mov_b32_e32 v10, 0
	v_mul_f64 v[2:3], v[4:5], v[2:3]
	v_mul_f64 v[0:1], v[0:1], v[10:11]
	v_mov_b32_e32 v14, v10
	v_mul_f64 v[2:3], v[2:3], v[10:11]
	v_mul_f64 v[0:1], v[0:1], v[14:15]
	;; [unrolled: 1-line block ×3, first 2 shown]
	s_or_b64 exec, exec, s[10:11]
                                        ; implicit-def: $vgpr10_vgpr11
                                        ; implicit-def: $vgpr4
.LBB55_60:
	s_andn2_saveexec_b64 s[2:3], s[8:9]
	s_cbranch_execz .LBB55_66
.LBB55_61:
	s_mov_b32 s0, 0x7ff00000
	v_cmp_ne_u32_e32 vcc, 0, v10
	v_cmp_ne_u32_e64 s[0:1], s0, v4
	s_or_b64 s[0:1], vcc, s[0:1]
	v_add_f64 v[2:3], v[2:3], -v[2:3]
	s_and_saveexec_b64 s[8:9], s[0:1]
	s_xor_b64 s[0:1], exec, s[8:9]
; %bb.62:
                                        ; implicit-def: $vgpr10_vgpr11
; %bb.63:
	s_or_saveexec_b64 s[0:1], s[0:1]
	v_mov_b64_e32 v[0:1], v[2:3]
	s_xor_b64 exec, exec, s[0:1]
; %bb.64:
	v_cmp_lt_i64_e32 vcc, -1, v[10:11]
	s_nop 1
	v_cndmask_b32_e32 v1, 0, v11, vcc
	v_cndmask_b32_e32 v0, 0, v10, vcc
	;; [unrolled: 1-line block ×4, first 2 shown]
; %bb.65:
	s_or_b64 exec, exec, s[0:1]
.LBB55_66:
	s_or_b64 exec, exec, s[2:3]
.LBB55_67:
	s_andn2_saveexec_b64 s[2:3], s[6:7]
	s_cbranch_execz .LBB55_77
; %bb.68:
	s_mov_b32 s0, 0
	s_mov_b32 s1, 0x41d00000
	v_cmp_nlt_f64_e64 s[6:7], |v[2:3]|, s[0:1]
	v_trig_preop_f64 v[10:11], |v[2:3]|, 0
	v_trig_preop_f64 v[8:9], |v[2:3]|, 1
	;; [unrolled: 1-line block ×3, first 2 shown]
                                        ; implicit-def: $vgpr16
                                        ; implicit-def: $vgpr0_vgpr1
                                        ; implicit-def: $vgpr4_vgpr5
	s_and_saveexec_b64 s[0:1], s[6:7]
	s_xor_b64 s[8:9], exec, s[0:1]
	s_cbranch_execz .LBB55_70
; %bb.69:
	s_mov_b32 s0, 0
	s_mov_b32 s1, 0x7b000000
	s_movk_i32 s10, 0xff80
	v_and_b32_e32 v4, 0x7fffffff, v3
	v_ldexp_f64 v[0:1], |v[2:3]|, s10
	v_cmp_ge_f64_e64 vcc, |v[2:3]|, s[0:1]
	s_mov_b32 s0, 0
	s_mov_b32 s1, 0x7ff00000
	v_cndmask_b32_e32 v1, v4, v1, vcc
	v_cndmask_b32_e32 v0, v2, v0, vcc
	v_mul_f64 v[12:13], v[10:11], v[0:1]
	v_mul_f64 v[4:5], v[8:9], v[0:1]
	v_fma_f64 v[14:15], v[10:11], v[0:1], -v[12:13]
	v_add_f64 v[16:17], v[4:5], v[14:15]
	v_add_f64 v[24:25], v[16:17], -v[4:5]
	v_add_f64 v[14:15], v[14:15], -v[24:25]
	;; [unrolled: 1-line block ×4, first 2 shown]
	v_add_f64 v[14:15], v[14:15], v[24:25]
	v_fma_f64 v[4:5], v[8:9], v[0:1], -v[4:5]
	v_mul_f64 v[24:25], v[6:7], v[0:1]
	v_add_f64 v[26:27], v[24:25], v[4:5]
	v_add_f64 v[18:19], v[12:13], v[16:17]
	;; [unrolled: 1-line block ×3, first 2 shown]
	v_ldexp_f64 v[20:21], v[18:19], -2
	v_add_f64 v[12:13], v[18:19], -v[12:13]
	v_add_f64 v[18:19], v[28:29], -v[26:27]
	v_add_f64 v[14:15], v[14:15], -v[18:19]
	v_add_f64 v[18:19], v[28:29], -v[18:19]
	v_add_f64 v[18:19], v[26:27], -v[18:19]
	v_add_f64 v[14:15], v[14:15], v[18:19]
	v_add_f64 v[18:19], v[26:27], -v[24:25]
	v_add_f64 v[4:5], v[4:5], -v[18:19]
	;; [unrolled: 1-line block ×5, first 2 shown]
	v_add_f64 v[4:5], v[4:5], v[18:19]
	v_fract_f64_e32 v[22:23], v[20:21]
	v_add_f64 v[16:17], v[12:13], v[28:29]
	v_add_f64 v[4:5], v[4:5], v[14:15]
	v_fma_f64 v[0:1], v[6:7], v[0:1], -v[24:25]
	v_add_f64 v[12:13], v[16:17], -v[12:13]
	v_add_f64 v[0:1], v[0:1], v[4:5]
	v_ldexp_f64 v[4:5], v[22:23], 2
	v_cmp_neq_f64_e64 vcc, |v[20:21]|, s[0:1]
	v_add_f64 v[12:13], v[28:29], -v[12:13]
	v_add_f64 v[0:1], v[12:13], v[0:1]
	v_cndmask_b32_e32 v5, 0, v5, vcc
	v_cndmask_b32_e32 v4, 0, v4, vcc
	v_add_f64 v[12:13], v[16:17], v[4:5]
	v_mov_b32_e32 v14, 0x40100000
	v_cmp_gt_f64_e32 vcc, 0, v[12:13]
	v_mov_b32_e32 v12, 0
	s_mov_b32 s10, 0x33145c07
	v_cndmask_b32_e32 v13, 0, v14, vcc
	v_add_f64 v[4:5], v[4:5], v[12:13]
	v_add_f64 v[14:15], v[16:17], v[4:5]
	v_cvt_i32_f64_e32 v13, v[14:15]
	v_cvt_f64_i32_e32 v[14:15], v13
	v_add_f64 v[4:5], v[4:5], -v[14:15]
	v_add_f64 v[14:15], v[16:17], v[4:5]
	v_add_f64 v[4:5], v[14:15], -v[4:5]
	v_add_f64 v[4:5], v[16:17], -v[4:5]
	v_add_f64 v[0:1], v[0:1], v[4:5]
	v_cmp_le_f64_e32 vcc, 0.5, v[14:15]
	v_mov_b32_e32 v4, 0x3ff00000
	s_mov_b32 s11, 0x3c91a626
	v_addc_co_u32_e64 v16, s[0:1], 0, v13, vcc
	v_cndmask_b32_e32 v13, 0, v4, vcc
	v_add_f64 v[4:5], v[14:15], -v[12:13]
	v_add_f64 v[12:13], v[4:5], v[0:1]
	s_mov_b32 s0, 0x54442d18
	v_add_f64 v[4:5], v[12:13], -v[4:5]
	s_mov_b32 s1, 0x3ff921fb
	v_add_f64 v[0:1], v[0:1], -v[4:5]
	v_mul_f64 v[4:5], v[12:13], s[0:1]
	v_fma_f64 v[14:15], v[12:13], s[0:1], -v[4:5]
	v_fmac_f64_e32 v[14:15], s[10:11], v[12:13]
	v_fmac_f64_e32 v[14:15], s[0:1], v[0:1]
	v_add_f64 v[0:1], v[4:5], v[14:15]
	v_add_f64 v[4:5], v[0:1], -v[4:5]
	v_add_f64 v[4:5], v[14:15], -v[4:5]
	s_andn2_saveexec_b64 s[0:1], s[8:9]
	s_cbranch_execz .LBB55_72
	s_branch .LBB55_71
.LBB55_70:
	s_andn2_saveexec_b64 s[0:1], s[8:9]
	s_cbranch_execz .LBB55_72
.LBB55_71:
	s_mov_b32 s8, 0x6dc9c883
	s_mov_b32 s9, 0x3fe45f30
	v_mul_f64 v[0:1], |v[2:3]|, s[8:9]
	s_mov_b32 s8, 0x54442d18
	v_rndne_f64_e32 v[12:13], v[0:1]
	s_mov_b32 s9, 0xbff921fb
	v_fma_f64 v[0:1], v[12:13], s[8:9], |v[2:3]|
	s_mov_b32 s9, 0xbc91a626
	s_mov_b32 s8, 0x33145c00
	v_mul_f64 v[14:15], v[12:13], s[8:9]
	v_add_f64 v[18:19], v[0:1], v[14:15]
	v_fma_f64 v[4:5], s[8:9], v[12:13], v[0:1]
	s_mov_b32 s9, 0x3c91a626
	v_add_f64 v[0:1], v[0:1], -v[18:19]
	v_fma_f64 v[16:17], s[8:9], v[12:13], v[14:15]
	v_add_f64 v[0:1], v[0:1], v[14:15]
	v_add_f64 v[14:15], v[18:19], -v[4:5]
	v_add_f64 v[0:1], v[14:15], v[0:1]
	s_mov_b32 s8, 0x252049c0
	v_add_f64 v[14:15], v[0:1], -v[16:17]
	s_mov_b32 s9, 0xb97b839a
	v_fmac_f64_e32 v[14:15], s[8:9], v[12:13]
	v_add_f64 v[0:1], v[4:5], v[14:15]
	v_add_f64 v[4:5], v[0:1], -v[4:5]
	v_add_f64 v[4:5], v[14:15], -v[4:5]
	v_cvt_i32_f64_e32 v16, v[12:13]
.LBB55_72:
	s_or_b64 exec, exec, s[0:1]
                                        ; implicit-def: $vgpr17
                                        ; implicit-def: $vgpr12_vgpr13
                                        ; implicit-def: $vgpr14_vgpr15
	s_and_saveexec_b64 s[0:1], s[6:7]
	s_xor_b64 s[6:7], exec, s[0:1]
	s_cbranch_execz .LBB55_74
; %bb.73:
	s_mov_b32 s0, 0
	s_mov_b32 s1, 0x7b000000
	s_movk_i32 s8, 0xff80
	v_and_b32_e32 v14, 0x7fffffff, v3
	v_ldexp_f64 v[12:13], |v[2:3]|, s8
	v_cmp_ge_f64_e64 vcc, |v[2:3]|, s[0:1]
	s_mov_b32 s0, 0
	s_mov_b32 s1, 0x7ff00000
	v_cndmask_b32_e32 v13, v14, v13, vcc
	v_cndmask_b32_e32 v12, v2, v12, vcc
	v_mul_f64 v[18:19], v[10:11], v[12:13]
	v_mul_f64 v[14:15], v[8:9], v[12:13]
	v_fma_f64 v[10:11], v[10:11], v[12:13], -v[18:19]
	v_add_f64 v[20:21], v[14:15], v[10:11]
	v_add_f64 v[28:29], v[20:21], -v[14:15]
	v_add_f64 v[10:11], v[10:11], -v[28:29]
	;; [unrolled: 1-line block ×4, first 2 shown]
	v_fma_f64 v[8:9], v[8:9], v[12:13], -v[14:15]
	v_mul_f64 v[14:15], v[6:7], v[12:13]
	v_add_f64 v[10:11], v[10:11], v[28:29]
	v_add_f64 v[28:29], v[14:15], v[8:9]
	;; [unrolled: 1-line block ×4, first 2 shown]
	v_ldexp_f64 v[24:25], v[22:23], -2
	v_add_f64 v[18:19], v[22:23], -v[18:19]
	v_add_f64 v[22:23], v[30:31], -v[28:29]
	v_add_f64 v[10:11], v[10:11], -v[22:23]
	v_add_f64 v[22:23], v[30:31], -v[22:23]
	v_add_f64 v[22:23], v[28:29], -v[22:23]
	v_add_f64 v[10:11], v[10:11], v[22:23]
	v_add_f64 v[22:23], v[28:29], -v[14:15]
	v_add_f64 v[8:9], v[8:9], -v[22:23]
	;; [unrolled: 1-line block ×4, first 2 shown]
	v_add_f64 v[8:9], v[8:9], v[22:23]
	v_fract_f64_e32 v[26:27], v[24:25]
	v_add_f64 v[8:9], v[8:9], v[10:11]
	v_fma_f64 v[6:7], v[6:7], v[12:13], -v[14:15]
	v_add_f64 v[18:19], v[20:21], -v[18:19]
	v_add_f64 v[6:7], v[6:7], v[8:9]
	v_ldexp_f64 v[8:9], v[26:27], 2
	v_cmp_neq_f64_e64 vcc, |v[24:25]|, s[0:1]
	v_add_f64 v[20:21], v[18:19], v[30:31]
	v_mov_b32_e32 v12, 0x40100000
	v_cndmask_b32_e32 v9, 0, v9, vcc
	v_cndmask_b32_e32 v8, 0, v8, vcc
	v_add_f64 v[10:11], v[20:21], v[8:9]
	v_cmp_gt_f64_e32 vcc, 0, v[10:11]
	v_mov_b32_e32 v10, 0
	v_add_f64 v[18:19], v[20:21], -v[18:19]
	v_cndmask_b32_e32 v11, 0, v12, vcc
	v_add_f64 v[8:9], v[8:9], v[10:11]
	v_add_f64 v[12:13], v[20:21], v[8:9]
	v_cvt_i32_f64_e32 v11, v[12:13]
	v_cvt_f64_i32_e32 v[12:13], v11
	v_add_f64 v[8:9], v[8:9], -v[12:13]
	v_add_f64 v[12:13], v[20:21], v[8:9]
	v_add_f64 v[18:19], v[30:31], -v[18:19]
	v_add_f64 v[8:9], v[12:13], -v[8:9]
	v_add_f64 v[6:7], v[18:19], v[6:7]
	v_add_f64 v[8:9], v[20:21], -v[8:9]
	v_add_f64 v[6:7], v[6:7], v[8:9]
	v_cmp_le_f64_e32 vcc, 0.5, v[12:13]
	v_mov_b32_e32 v8, 0x3ff00000
	s_mov_b32 s8, 0x33145c07
	v_addc_co_u32_e64 v17, s[0:1], 0, v11, vcc
	v_cndmask_b32_e32 v11, 0, v8, vcc
	v_add_f64 v[8:9], v[12:13], -v[10:11]
	v_add_f64 v[10:11], v[8:9], v[6:7]
	s_mov_b32 s0, 0x54442d18
	v_add_f64 v[8:9], v[10:11], -v[8:9]
	s_mov_b32 s1, 0x3ff921fb
	v_add_f64 v[6:7], v[6:7], -v[8:9]
	v_mul_f64 v[8:9], v[10:11], s[0:1]
	v_fma_f64 v[14:15], v[10:11], s[0:1], -v[8:9]
	s_mov_b32 s9, 0x3c91a626
	v_fmac_f64_e32 v[14:15], s[8:9], v[10:11]
	v_fmac_f64_e32 v[14:15], s[0:1], v[6:7]
	v_add_f64 v[12:13], v[8:9], v[14:15]
	v_add_f64 v[6:7], v[12:13], -v[8:9]
	v_add_f64 v[14:15], v[14:15], -v[6:7]
	s_andn2_saveexec_b64 s[0:1], s[6:7]
	s_cbranch_execnz .LBB55_75
	s_branch .LBB55_76
.LBB55_74:
	s_andn2_saveexec_b64 s[0:1], s[6:7]
	s_cbranch_execz .LBB55_76
.LBB55_75:
	s_mov_b32 s6, 0x6dc9c883
	s_mov_b32 s7, 0x3fe45f30
	v_mul_f64 v[6:7], |v[2:3]|, s[6:7]
	s_mov_b32 s6, 0x54442d18
	v_rndne_f64_e32 v[6:7], v[6:7]
	s_mov_b32 s7, 0xbff921fb
	v_fma_f64 v[8:9], v[6:7], s[6:7], |v[2:3]|
	s_mov_b32 s7, 0xbc91a626
	s_mov_b32 s6, 0x33145c00
	v_mul_f64 v[12:13], v[6:7], s[6:7]
	v_add_f64 v[18:19], v[8:9], v[12:13]
	v_fma_f64 v[10:11], s[6:7], v[6:7], v[8:9]
	s_mov_b32 s7, 0x3c91a626
	v_add_f64 v[8:9], v[8:9], -v[18:19]
	v_fma_f64 v[14:15], s[6:7], v[6:7], v[12:13]
	v_add_f64 v[8:9], v[8:9], v[12:13]
	v_add_f64 v[12:13], v[18:19], -v[10:11]
	v_add_f64 v[8:9], v[12:13], v[8:9]
	s_mov_b32 s6, 0x252049c0
	v_add_f64 v[8:9], v[8:9], -v[14:15]
	s_mov_b32 s7, 0xb97b839a
	v_fmac_f64_e32 v[8:9], s[6:7], v[6:7]
	v_add_f64 v[12:13], v[10:11], v[8:9]
	v_add_f64 v[10:11], v[12:13], -v[10:11]
	v_add_f64 v[14:15], v[8:9], -v[10:11]
	v_cvt_i32_f64_e32 v17, v[6:7]
.LBB55_76:
	s_or_b64 exec, exec, s[0:1]
	s_mov_b32 s6, 0x9037ab78
	s_mov_b32 s7, 0x3e21eeb6
	;; [unrolled: 1-line block ×3, first 2 shown]
	v_mul_f64 v[6:7], v[0:1], v[0:1]
	s_mov_b32 s1, 0xbda907db
	v_mov_b64_e32 v[20:21], s[6:7]
	s_mov_b32 s6, 0xa17f65f6
	v_mul_f64 v[8:9], v[6:7], 0.5
	v_fma_f64 v[22:23], s[0:1], v[6:7], v[20:21]
	s_mov_b32 s7, 0xbe927e4f
	s_mov_b32 s8, 0x19f4ec90
	v_add_f64 v[10:11], -v[8:9], 1.0
	v_fma_f64 v[22:23], v[6:7], v[22:23], s[6:7]
	s_mov_b32 s9, 0x3efa01a0
	s_mov_b32 s10, 0x16c16967
	v_add_f64 v[18:19], -v[10:11], 1.0
	v_fma_f64 v[22:23], v[6:7], v[22:23], s[8:9]
	s_mov_b32 s11, 0xbf56c16c
	s_mov_b32 s12, 0x55555555
	v_add_f64 v[8:9], v[18:19], -v[8:9]
	v_fma_f64 v[22:23], v[6:7], v[22:23], s[10:11]
	s_mov_b32 s13, 0x3fa55555
	v_mul_f64 v[18:19], v[6:7], v[6:7]
	v_fma_f64 v[22:23], v[6:7], v[22:23], s[12:13]
	v_fma_f64 v[8:9], v[0:1], -v[4:5], v[8:9]
	s_mov_b32 s14, 0xb42fdfa7
	v_fmac_f64_e32 v[8:9], v[18:19], v[22:23]
	s_mov_b32 s15, 0xbe5ae600
	s_mov_b32 s16, 0xf9a43bb8
	v_add_f64 v[8:9], v[10:11], v[8:9]
	s_mov_b32 s17, 0x3de5e0b2
	v_mov_b64_e32 v[10:11], s[14:15]
	s_mov_b32 s14, 0x796cde01
	v_fma_f64 v[18:19], s[16:17], v[6:7], v[10:11]
	s_mov_b32 s15, 0x3ec71de3
	s_mov_b32 s18, 0x19e83e5c
	v_fma_f64 v[18:19], v[6:7], v[18:19], s[14:15]
	s_mov_b32 s19, 0xbf2a01a0
	;; [unrolled: 3-line block ×3, first 2 shown]
	v_fma_f64 v[18:19], v[6:7], v[18:19], s[20:21]
	v_mul_f64 v[22:23], v[0:1], -v[6:7]
	v_mul_f64 v[24:25], v[4:5], 0.5
	v_fmac_f64_e32 v[24:25], v[22:23], v[18:19]
	v_fma_f64 v[4:5], v[6:7], v[24:25], -v[4:5]
	s_mov_b32 s23, 0xbfc55555
	s_mov_b32 s22, s12
	v_fmac_f64_e32 v[4:5], s[22:23], v[22:23]
	v_add_f64 v[0:1], v[0:1], -v[4:5]
	v_and_b32_e32 v4, 1, v16
	v_xor_b32_e32 v1, 0x80000000, v1
	v_cmp_eq_u32_e32 vcc, 0, v4
	s_brev_b32 s24, 1
	v_lshlrev_b32_e32 v4, 30, v16
	v_cndmask_b32_e32 v1, v1, v9, vcc
	v_bitop3_b32 v1, v1, v4, s24 bitop3:0x78
	v_mul_f64 v[4:5], v[12:13], v[12:13]
	v_mul_f64 v[6:7], v[4:5], 0.5
	v_fmac_f64_e32 v[20:21], s[0:1], v[4:5]
	v_cndmask_b32_e32 v0, v0, v8, vcc
	v_add_f64 v[8:9], -v[6:7], 1.0
	v_fma_f64 v[20:21], v[4:5], v[20:21], s[6:7]
	v_add_f64 v[18:19], -v[8:9], 1.0
	v_fma_f64 v[20:21], v[4:5], v[20:21], s[8:9]
	v_add_f64 v[6:7], v[18:19], -v[6:7]
	v_fma_f64 v[20:21], v[4:5], v[20:21], s[10:11]
	v_mul_f64 v[18:19], v[4:5], v[4:5]
	v_fma_f64 v[20:21], v[4:5], v[20:21], s[12:13]
	v_fma_f64 v[6:7], v[12:13], -v[14:15], v[6:7]
	v_fmac_f64_e32 v[6:7], v[18:19], v[20:21]
	v_fmac_f64_e32 v[10:11], s[16:17], v[4:5]
	v_add_f64 v[6:7], v[8:9], v[6:7]
	v_fma_f64 v[8:9], v[4:5], v[10:11], s[14:15]
	v_fma_f64 v[8:9], v[4:5], v[8:9], s[18:19]
	;; [unrolled: 1-line block ×3, first 2 shown]
	v_mul_f64 v[10:11], v[12:13], -v[4:5]
	v_mul_f64 v[18:19], v[14:15], 0.5
	v_fmac_f64_e32 v[18:19], v[10:11], v[8:9]
	s_movk_i32 s25, 0x1f8
	v_fma_f64 v[4:5], v[4:5], v[18:19], -v[14:15]
	v_cmp_class_f64_e64 vcc, v[2:3], s25
	v_fmac_f64_e32 v[4:5], s[22:23], v[10:11]
	v_and_b32_e32 v2, 1, v17
	v_add_f64 v[4:5], v[12:13], -v[4:5]
	v_cmp_eq_u32_e64 s[0:1], 0, v2
	v_mov_b32_e32 v16, 0x7ff80000
	v_cndmask_b32_e32 v0, 0, v0, vcc
	v_cndmask_b32_e64 v2, v6, v4, s[0:1]
	v_cndmask_b32_e64 v4, v7, v5, s[0:1]
	v_lshlrev_b32_e32 v5, 30, v17
	v_xor_b32_e32 v3, v5, v3
	v_bitop3_b32 v3, v4, v3, s24 bitop3:0x78
	v_cndmask_b32_e32 v1, v16, v1, vcc
	v_cndmask_b32_e32 v2, 0, v2, vcc
	;; [unrolled: 1-line block ×3, first 2 shown]
.LBB55_77:
	s_or_b64 exec, exec, s[2:3]
                                        ; implicit-def: $vgpr10_vgpr11
	s_andn2_saveexec_b64 s[2:3], s[4:5]
	s_cbranch_execnz .LBB55_41
.LBB55_78:
	s_or_b64 exec, exec, s[2:3]
	s_setpc_b64 s[30:31]
.Lfunc_end55:
	.size	_ZN2at6native12_GLOBAL__N_14pow_IdEEN3c107complexIT_EES6_S6_, .Lfunc_end55-_ZN2at6native12_GLOBAL__N_14pow_IdEEN3c107complexIT_EES6_S6_
                                        ; -- End function
	.set .L_ZN2at6native12_GLOBAL__N_14pow_IdEEN3c107complexIT_EES6_S6_.num_vgpr, 36
	.set .L_ZN2at6native12_GLOBAL__N_14pow_IdEEN3c107complexIT_EES6_S6_.num_agpr, 0
	.set .L_ZN2at6native12_GLOBAL__N_14pow_IdEEN3c107complexIT_EES6_S6_.numbered_sgpr, 43
	.set .L_ZN2at6native12_GLOBAL__N_14pow_IdEEN3c107complexIT_EES6_S6_.num_named_barrier, 0
	.set .L_ZN2at6native12_GLOBAL__N_14pow_IdEEN3c107complexIT_EES6_S6_.private_seg_size, 0
	.set .L_ZN2at6native12_GLOBAL__N_14pow_IdEEN3c107complexIT_EES6_S6_.uses_vcc, 1
	.set .L_ZN2at6native12_GLOBAL__N_14pow_IdEEN3c107complexIT_EES6_S6_.uses_flat_scratch, 0
	.set .L_ZN2at6native12_GLOBAL__N_14pow_IdEEN3c107complexIT_EES6_S6_.has_dyn_sized_stack, 0
	.set .L_ZN2at6native12_GLOBAL__N_14pow_IdEEN3c107complexIT_EES6_S6_.has_recursion, 0
	.set .L_ZN2at6native12_GLOBAL__N_14pow_IdEEN3c107complexIT_EES6_S6_.has_indirect_call, 0
	.section	.AMDGPU.csdata,"",@progbits
; Function info:
; codeLenInByte = 21528
; TotalNumSgprs: 49
; NumVgprs: 36
; NumAgprs: 0
; TotalNumVgprs: 36
; ScratchSize: 0
; MemoryBound: 0
	.section	.text._ZN2at6native12_GLOBAL__N_125multi_tensor_apply_kernelINS1_18TensorListMetadataILi1EEENS1_21BinaryOpScalarFunctorIN3c107complexIdEELi1ELi1ELi0EEEJNS1_13power_functorIS8_EES8_EEEvT_T0_DpT1_,"axG",@progbits,_ZN2at6native12_GLOBAL__N_125multi_tensor_apply_kernelINS1_18TensorListMetadataILi1EEENS1_21BinaryOpScalarFunctorIN3c107complexIdEELi1ELi1ELi0EEEJNS1_13power_functorIS8_EES8_EEEvT_T0_DpT1_,comdat
	.globl	_ZN2at6native12_GLOBAL__N_125multi_tensor_apply_kernelINS1_18TensorListMetadataILi1EEENS1_21BinaryOpScalarFunctorIN3c107complexIdEELi1ELi1ELi0EEEJNS1_13power_functorIS8_EES8_EEEvT_T0_DpT1_ ; -- Begin function _ZN2at6native12_GLOBAL__N_125multi_tensor_apply_kernelINS1_18TensorListMetadataILi1EEENS1_21BinaryOpScalarFunctorIN3c107complexIdEELi1ELi1ELi0EEEJNS1_13power_functorIS8_EES8_EEEvT_T0_DpT1_
	.p2align	8
	.type	_ZN2at6native12_GLOBAL__N_125multi_tensor_apply_kernelINS1_18TensorListMetadataILi1EEENS1_21BinaryOpScalarFunctorIN3c107complexIdEELi1ELi1ELi0EEEJNS1_13power_functorIS8_EES8_EEEvT_T0_DpT1_,@function
_ZN2at6native12_GLOBAL__N_125multi_tensor_apply_kernelINS1_18TensorListMetadataILi1EEENS1_21BinaryOpScalarFunctorIN3c107complexIdEELi1ELi1ELi0EEEJNS1_13power_functorIS8_EES8_EEEvT_T0_DpT1_: ; @_ZN2at6native12_GLOBAL__N_125multi_tensor_apply_kernelINS1_18TensorListMetadataILi1EEENS1_21BinaryOpScalarFunctorIN3c107complexIdEELi1ELi1ELi0EEEJNS1_13power_functorIS8_EES8_EEEvT_T0_DpT1_
; %bb.0:
	v_mov_b32_e32 v48, v0
	v_mov_b32_e32 v0, s2
	global_load_ubyte v0, v0, s[0:1] offset:1760
	s_mov_b64 s[34:35], s[0:1]
	s_add_u32 s0, s34, s2
	s_mul_hi_u32 s1, s2, 3
	s_mul_i32 s2, s2, 3
	s_addc_u32 s3, s35, 0
	s_add_u32 s0, s0, s2
	s_addc_u32 s1, s3, s1
	s_load_dwordx4 s[48:51], s[34:35], 0xd30
	s_load_dword s2, s[0:1], 0x820
	s_mov_b32 s5, 0
	s_mov_b32 s32, 0
	s_waitcnt vmcnt(0)
	v_readfirstlane_b32 s0, v0
	s_lshl_b32 s3, s0, 3
	s_load_dwordx2 s[46:47], s[34:35], s3 offset:0x0
	s_load_dwordx2 s[0:1], s[34:35], s3 offset:0x370
	s_waitcnt lgkmcnt(0)
	s_ashr_i32 s3, s2, 31
	s_lshl_b64 s[52:53], s[2:3], 20
	s_add_u32 s56, s46, s52
	s_addc_u32 s57, s47, s53
	s_and_b32 s4, s56, 63
	s_lshl_b64 s[2:3], s[2:3], 16
	s_sub_u32 s54, s0, s2
	s_subb_u32 s55, s1, s3
	s_and_b32 s0, s0, 3
	s_mov_b32 s1, s5
	s_or_b64 s[0:1], s[4:5], s[0:1]
	s_cmp_eq_u64 s[0:1], 0
	s_cbranch_scc1 .LBB56_21
; %bb.1:
	v_cmp_lt_i64_e64 s[0:1], s[54:55], 1
	s_and_b64 vcc, exec, s[0:1]
	s_cbranch_vccnz .LBB56_20
; %bb.2:
	s_load_dword s0, s[34:35], 0xd4c
	v_mov_b64_e32 v[0:1], 0x10000
	v_cmp_lt_i64_e32 vcc, s[54:55], v[0:1]
	s_and_b64 s[2:3], vcc, exec
	s_cselect_b32 s59, s55, 0
	s_cselect_b32 s58, s54, 0x10000
	v_mov_b32_e32 v49, 0
	s_waitcnt lgkmcnt(0)
	s_and_b32 s0, s0, 0xffff
	v_cmp_lt_u64_e32 vcc, s[54:55], v[0:1]
	s_mov_b32 s1, 0
	s_and_b64 s[2:3], vcc, exec
	v_lshlrev_b32_e32 v50, 4, v48
	v_mov_b32_e32 v51, v49
	s_cselect_b32 s61, s55, 0
	s_cselect_b32 s60, s54, 0x10000
	s_lshl_b32 s2, s0, 1
	s_mul_i32 s4, s0, 3
	s_lshl_b32 s33, s0, 2
	s_lshl_b32 s43, s0, 6
	v_lshl_add_u64 v[52:53], v[48:49], 0, s[0:1]
	v_mad_u64_u32 v[54:55], s[6:7], s0, 48, v[50:51]
	s_lshl_b32 s0, s0, 5
	s_mov_b32 s3, s1
	s_mov_b32 s5, s1
	v_lshl_add_u64 v[60:61], s[0:1], 0, v[50:51]
	v_or_b32_e32 v54, 8, v54
	v_lshl_add_u64 v[56:57], s[4:5], 0, v[48:49]
	v_lshlrev_b32_e32 v58, 4, v52
	v_mov_b32_e32 v59, v49
	v_or_b32_e32 v60, 8, v60
	v_lshl_add_u64 v[62:63], s[2:3], 0, v[48:49]
	s_mov_b64 s[62:63], 0
	s_branch .LBB56_4
.LBB56_3:                               ;   in Loop: Header=BB56_4 Depth=1
	s_or_b64 exec, exec, s[38:39]
	s_add_u32 s62, s62, s33
	s_addc_u32 s63, s63, 0
	s_waitcnt vmcnt(0)
	v_mov_b64_e32 v[0:1], s[58:59]
	s_add_u32 s56, s56, s43
	v_cmp_lt_i64_e32 vcc, s[62:63], v[0:1]
	s_addc_u32 s57, s57, 0
	s_cbranch_vccz .LBB56_20
.LBB56_4:                               ; =>This Inner Loop Header: Depth=1
	v_lshl_add_u64 v[0:1], v[48:49], 0, s[62:63]
	v_cmp_gt_u64_e32 vcc, s[60:61], v[0:1]
	v_mov_b64_e32 v[42:43], 0
	v_lshl_add_u64 v[70:71], s[56:57], 0, v[50:51]
	v_mov_b64_e32 v[2:3], 0
	v_mov_b64_e32 v[0:1], 0
	s_and_saveexec_b64 s[0:1], vcc
	s_cbranch_execz .LBB56_6
; %bb.5:                                ;   in Loop: Header=BB56_4 Depth=1
	global_load_dwordx4 v[0:3], v[70:71], off
.LBB56_6:                               ;   in Loop: Header=BB56_4 Depth=1
	s_or_b64 exec, exec, s[0:1]
	v_lshl_add_u64 v[4:5], v[52:53], 0, s[62:63]
	v_cmp_gt_u64_e64 s[44:45], s[60:61], v[4:5]
	v_lshl_add_u64 v[68:69], s[56:57], 0, v[58:59]
	v_mov_b64_e32 v[40:41], 0
	s_and_saveexec_b64 s[0:1], s[44:45]
	s_cbranch_execz .LBB56_8
; %bb.7:                                ;   in Loop: Header=BB56_4 Depth=1
	global_load_dwordx4 v[40:43], v[68:69], off
.LBB56_8:                               ;   in Loop: Header=BB56_4 Depth=1
	s_or_b64 exec, exec, s[0:1]
	v_lshl_add_u64 v[4:5], v[62:63], 0, s[62:63]
	v_cmp_gt_u64_e64 s[38:39], s[60:61], v[4:5]
	v_mov_b64_e32 v[38:39], 0
	v_lshl_add_u64 v[66:67], s[56:57], 0, v[60:61]
	v_mov_b64_e32 v[46:47], 0
	v_mov_b64_e32 v[44:45], 0
	s_and_saveexec_b64 s[0:1], s[38:39]
	s_cbranch_execz .LBB56_10
; %bb.9:                                ;   in Loop: Header=BB56_4 Depth=1
	global_load_dwordx4 v[44:47], v[66:67], off offset:-8
.LBB56_10:                              ;   in Loop: Header=BB56_4 Depth=1
	s_or_b64 exec, exec, s[0:1]
	v_lshl_add_u64 v[4:5], v[56:57], 0, s[62:63]
	v_cmp_gt_u64_e64 s[36:37], s[60:61], v[4:5]
	v_lshl_add_u64 v[64:65], s[56:57], 0, v[54:55]
	v_mov_b64_e32 v[36:37], 0
	s_and_saveexec_b64 s[0:1], s[36:37]
	s_cbranch_execnz .LBB56_15
; %bb.11:                               ;   in Loop: Header=BB56_4 Depth=1
	s_or_b64 exec, exec, s[0:1]
	s_and_saveexec_b64 s[64:65], vcc
	s_cbranch_execnz .LBB56_16
.LBB56_12:                              ;   in Loop: Header=BB56_4 Depth=1
	s_or_b64 exec, exec, s[64:65]
	s_and_saveexec_b64 s[64:65], s[44:45]
	s_cbranch_execnz .LBB56_17
.LBB56_13:                              ;   in Loop: Header=BB56_4 Depth=1
	s_or_b64 exec, exec, s[64:65]
	s_and_saveexec_b64 s[44:45], s[38:39]
	s_cbranch_execnz .LBB56_18
.LBB56_14:                              ;   in Loop: Header=BB56_4 Depth=1
	s_or_b64 exec, exec, s[44:45]
	s_and_saveexec_b64 s[38:39], s[36:37]
	s_cbranch_execz .LBB56_3
	s_branch .LBB56_19
.LBB56_15:                              ;   in Loop: Header=BB56_4 Depth=1
	global_load_dwordx4 v[36:39], v[64:65], off offset:-8
	s_or_b64 exec, exec, s[0:1]
	s_and_saveexec_b64 s[64:65], vcc
	s_cbranch_execz .LBB56_12
.LBB56_16:                              ;   in Loop: Header=BB56_4 Depth=1
	s_getpc_b64 s[0:1]
	s_add_u32 s0, s0, _ZN2at6native12_GLOBAL__N_14pow_IdEEN3c107complexIT_EES6_S6_@rel32@lo+4
	s_addc_u32 s1, s1, _ZN2at6native12_GLOBAL__N_14pow_IdEEN3c107complexIT_EES6_S6_@rel32@hi+12
	v_mov_b32_e32 v4, s48
	v_mov_b32_e32 v5, s49
	;; [unrolled: 1-line block ×4, first 2 shown]
	s_swappc_b64 s[30:31], s[0:1]
	global_store_dwordx4 v[70:71], v[0:3], off
	s_or_b64 exec, exec, s[64:65]
	s_and_saveexec_b64 s[64:65], s[44:45]
	s_cbranch_execz .LBB56_13
.LBB56_17:                              ;   in Loop: Header=BB56_4 Depth=1
	s_getpc_b64 s[0:1]
	s_add_u32 s0, s0, _ZN2at6native12_GLOBAL__N_14pow_IdEEN3c107complexIT_EES6_S6_@rel32@lo+4
	s_addc_u32 s1, s1, _ZN2at6native12_GLOBAL__N_14pow_IdEEN3c107complexIT_EES6_S6_@rel32@hi+12
	s_waitcnt vmcnt(0)
	v_mov_b32_e32 v0, v40
	v_mov_b32_e32 v1, v41
	;; [unrolled: 1-line block ×8, first 2 shown]
	s_swappc_b64 s[30:31], s[0:1]
	global_store_dwordx4 v[68:69], v[0:3], off
	s_or_b64 exec, exec, s[64:65]
	s_and_saveexec_b64 s[44:45], s[38:39]
	s_cbranch_execz .LBB56_14
.LBB56_18:                              ;   in Loop: Header=BB56_4 Depth=1
	s_getpc_b64 s[0:1]
	s_add_u32 s0, s0, _ZN2at6native12_GLOBAL__N_14pow_IdEEN3c107complexIT_EES6_S6_@rel32@lo+4
	s_addc_u32 s1, s1, _ZN2at6native12_GLOBAL__N_14pow_IdEEN3c107complexIT_EES6_S6_@rel32@hi+12
	s_waitcnt vmcnt(0)
	v_mov_b32_e32 v0, v44
	v_mov_b32_e32 v1, v45
	;; [unrolled: 1-line block ×8, first 2 shown]
	s_swappc_b64 s[30:31], s[0:1]
	global_store_dwordx4 v[66:67], v[0:3], off offset:-8
	s_or_b64 exec, exec, s[44:45]
	s_and_saveexec_b64 s[38:39], s[36:37]
	s_cbranch_execz .LBB56_3
.LBB56_19:                              ;   in Loop: Header=BB56_4 Depth=1
	s_getpc_b64 s[0:1]
	s_add_u32 s0, s0, _ZN2at6native12_GLOBAL__N_14pow_IdEEN3c107complexIT_EES6_S6_@rel32@lo+4
	s_addc_u32 s1, s1, _ZN2at6native12_GLOBAL__N_14pow_IdEEN3c107complexIT_EES6_S6_@rel32@hi+12
	s_waitcnt vmcnt(0)
	v_mov_b32_e32 v0, v36
	v_mov_b32_e32 v1, v37
	v_mov_b32_e32 v2, v38
	v_mov_b32_e32 v3, v39
	v_mov_b32_e32 v4, s48
	v_mov_b32_e32 v5, s49
	v_mov_b32_e32 v6, s50
	v_mov_b32_e32 v7, s51
	s_swappc_b64 s[30:31], s[0:1]
	global_store_dwordx4 v[64:65], v[0:3], off offset:-8
	s_branch .LBB56_3
.LBB56_20:
	s_cbranch_execz .LBB56_22
	s_branch .LBB56_25
.LBB56_21:
.LBB56_22:
	v_mov_b64_e32 v[2:3], 0x10000
	v_cmp_lt_i64_e32 vcc, s[54:55], v[2:3]
	s_and_b64 s[0:1], vcc, exec
	v_mov_b32_e32 v1, 0
	s_cselect_b32 s39, s55, 0
	s_cselect_b32 s38, s54, 0x10000
	v_lshlrev_b32_e32 v0, 2, v48
	s_mov_b32 s37, 0
	v_cmp_gt_i64_e32 vcc, s[38:39], v[0:1]
	s_and_saveexec_b64 s[0:1], vcc
	s_cbranch_execz .LBB56_25
; %bb.23:
	s_load_dword s0, s[34:35], 0xd4c
	v_lshlrev_b32_e32 v0, 6, v48
	v_mov_b32_e32 v49, v1
	s_mov_b32 s35, s37
	s_mov_b64 s[44:45], 0
	s_waitcnt lgkmcnt(0)
	s_and_b32 s36, s0, 0xffff
	s_add_u32 s0, s46, s52
	s_addc_u32 s1, s47, s53
	s_lshl_b32 s34, s36, 6
	v_lshl_add_u64 v[54:55], s[0:1], 0, v[0:1]
.LBB56_24:                              ; =>This Inner Loop Header: Depth=1
	global_load_dwordx4 v[0:3], v[54:55], off
	global_load_dwordx4 v[36:39], v[54:55], off offset:16
	global_load_dwordx4 v[40:43], v[54:55], off offset:48
	;; [unrolled: 1-line block ×3, first 2 shown]
	s_getpc_b64 s[46:47]
	s_add_u32 s46, s46, _ZN2at6native12_GLOBAL__N_14pow_IdEEN3c107complexIT_EES6_S6_@rel32@lo+4
	s_addc_u32 s47, s47, _ZN2at6native12_GLOBAL__N_14pow_IdEEN3c107complexIT_EES6_S6_@rel32@hi+12
	v_mov_b32_e32 v4, s48
	v_mov_b32_e32 v5, s49
	v_mov_b32_e32 v6, s50
	v_mov_b32_e32 v7, s51
	s_swappc_b64 s[30:31], s[46:47]
	v_mov_b32_e32 v50, v0
	v_mov_b32_e32 v51, v1
	v_mov_b32_e32 v52, v2
	v_mov_b32_e32 v53, v3
	v_mov_b32_e32 v0, v36
	v_mov_b32_e32 v1, v37
	v_mov_b32_e32 v2, v38
	v_mov_b32_e32 v3, v39
	v_mov_b32_e32 v4, s48
	v_mov_b32_e32 v5, s49
	v_mov_b32_e32 v6, s50
	v_mov_b32_e32 v7, s51
	s_swappc_b64 s[30:31], s[46:47]
	v_mov_b32_e32 v36, v0
	v_mov_b32_e32 v37, v1
	v_mov_b32_e32 v38, v2
	v_mov_b32_e32 v39, v3
	v_mov_b32_e32 v0, v44
	v_mov_b32_e32 v1, v45
	v_mov_b32_e32 v2, v46
	v_mov_b32_e32 v3, v47
	;; [unrolled: 13-line block ×3, first 2 shown]
	v_mov_b32_e32 v4, s48
	v_mov_b32_e32 v5, s49
	;; [unrolled: 1-line block ×4, first 2 shown]
	s_swappc_b64 s[30:31], s[46:47]
	v_lshl_add_u64 v[48:49], v[48:49], 0, s[36:37]
	global_store_dwordx4 v[54:55], v[50:53], off
	global_store_dwordx4 v[54:55], v[36:39], off offset:16
	global_store_dwordx4 v[54:55], v[44:47], off offset:32
	;; [unrolled: 1-line block ×3, first 2 shown]
	v_lshl_add_u64 v[54:55], v[54:55], 0, s[34:35]
	s_nop 0
	v_lshlrev_b64 v[0:1], 2, v[48:49]
	v_cmp_le_i64_e32 vcc, s[38:39], v[0:1]
	s_or_b64 s[44:45], vcc, s[44:45]
	s_andn2_b64 exec, exec, s[44:45]
	s_cbranch_execnz .LBB56_24
.LBB56_25:
	s_endpgm
	.section	.rodata,"a",@progbits
	.p2align	6, 0x0
	.amdhsa_kernel _ZN2at6native12_GLOBAL__N_125multi_tensor_apply_kernelINS1_18TensorListMetadataILi1EEENS1_21BinaryOpScalarFunctorIN3c107complexIdEELi1ELi1ELi0EEEJNS1_13power_functorIS8_EES8_EEEvT_T0_DpT1_
		.amdhsa_group_segment_fixed_size 0
		.amdhsa_private_segment_fixed_size 0
		.amdhsa_kernarg_size 3648
		.amdhsa_user_sgpr_count 2
		.amdhsa_user_sgpr_dispatch_ptr 0
		.amdhsa_user_sgpr_queue_ptr 0
		.amdhsa_user_sgpr_kernarg_segment_ptr 1
		.amdhsa_user_sgpr_dispatch_id 0
		.amdhsa_user_sgpr_kernarg_preload_length 0
		.amdhsa_user_sgpr_kernarg_preload_offset 0
		.amdhsa_user_sgpr_private_segment_size 0
		.amdhsa_uses_dynamic_stack 0
		.amdhsa_enable_private_segment 0
		.amdhsa_system_sgpr_workgroup_id_x 1
		.amdhsa_system_sgpr_workgroup_id_y 0
		.amdhsa_system_sgpr_workgroup_id_z 0
		.amdhsa_system_sgpr_workgroup_info 0
		.amdhsa_system_vgpr_workitem_id 0
		.amdhsa_next_free_vgpr 72
		.amdhsa_next_free_sgpr 66
		.amdhsa_accum_offset 72
		.amdhsa_reserve_vcc 1
		.amdhsa_float_round_mode_32 0
		.amdhsa_float_round_mode_16_64 0
		.amdhsa_float_denorm_mode_32 3
		.amdhsa_float_denorm_mode_16_64 3
		.amdhsa_dx10_clamp 1
		.amdhsa_ieee_mode 1
		.amdhsa_fp16_overflow 0
		.amdhsa_tg_split 0
		.amdhsa_exception_fp_ieee_invalid_op 0
		.amdhsa_exception_fp_denorm_src 0
		.amdhsa_exception_fp_ieee_div_zero 0
		.amdhsa_exception_fp_ieee_overflow 0
		.amdhsa_exception_fp_ieee_underflow 0
		.amdhsa_exception_fp_ieee_inexact 0
		.amdhsa_exception_int_div_zero 0
	.end_amdhsa_kernel
	.section	.text._ZN2at6native12_GLOBAL__N_125multi_tensor_apply_kernelINS1_18TensorListMetadataILi1EEENS1_21BinaryOpScalarFunctorIN3c107complexIdEELi1ELi1ELi0EEEJNS1_13power_functorIS8_EES8_EEEvT_T0_DpT1_,"axG",@progbits,_ZN2at6native12_GLOBAL__N_125multi_tensor_apply_kernelINS1_18TensorListMetadataILi1EEENS1_21BinaryOpScalarFunctorIN3c107complexIdEELi1ELi1ELi0EEEJNS1_13power_functorIS8_EES8_EEEvT_T0_DpT1_,comdat
.Lfunc_end56:
	.size	_ZN2at6native12_GLOBAL__N_125multi_tensor_apply_kernelINS1_18TensorListMetadataILi1EEENS1_21BinaryOpScalarFunctorIN3c107complexIdEELi1ELi1ELi0EEEJNS1_13power_functorIS8_EES8_EEEvT_T0_DpT1_, .Lfunc_end56-_ZN2at6native12_GLOBAL__N_125multi_tensor_apply_kernelINS1_18TensorListMetadataILi1EEENS1_21BinaryOpScalarFunctorIN3c107complexIdEELi1ELi1ELi0EEEJNS1_13power_functorIS8_EES8_EEEvT_T0_DpT1_
                                        ; -- End function
	.set _ZN2at6native12_GLOBAL__N_125multi_tensor_apply_kernelINS1_18TensorListMetadataILi1EEENS1_21BinaryOpScalarFunctorIN3c107complexIdEELi1ELi1ELi0EEEJNS1_13power_functorIS8_EES8_EEEvT_T0_DpT1_.num_vgpr, max(72, .L_ZN2at6native12_GLOBAL__N_14pow_IdEEN3c107complexIT_EES6_S6_.num_vgpr)
	.set _ZN2at6native12_GLOBAL__N_125multi_tensor_apply_kernelINS1_18TensorListMetadataILi1EEENS1_21BinaryOpScalarFunctorIN3c107complexIdEELi1ELi1ELi0EEEJNS1_13power_functorIS8_EES8_EEEvT_T0_DpT1_.num_agpr, max(0, .L_ZN2at6native12_GLOBAL__N_14pow_IdEEN3c107complexIT_EES6_S6_.num_agpr)
	.set _ZN2at6native12_GLOBAL__N_125multi_tensor_apply_kernelINS1_18TensorListMetadataILi1EEENS1_21BinaryOpScalarFunctorIN3c107complexIdEELi1ELi1ELi0EEEJNS1_13power_functorIS8_EES8_EEEvT_T0_DpT1_.numbered_sgpr, max(66, .L_ZN2at6native12_GLOBAL__N_14pow_IdEEN3c107complexIT_EES6_S6_.numbered_sgpr)
	.set _ZN2at6native12_GLOBAL__N_125multi_tensor_apply_kernelINS1_18TensorListMetadataILi1EEENS1_21BinaryOpScalarFunctorIN3c107complexIdEELi1ELi1ELi0EEEJNS1_13power_functorIS8_EES8_EEEvT_T0_DpT1_.num_named_barrier, max(0, .L_ZN2at6native12_GLOBAL__N_14pow_IdEEN3c107complexIT_EES6_S6_.num_named_barrier)
	.set _ZN2at6native12_GLOBAL__N_125multi_tensor_apply_kernelINS1_18TensorListMetadataILi1EEENS1_21BinaryOpScalarFunctorIN3c107complexIdEELi1ELi1ELi0EEEJNS1_13power_functorIS8_EES8_EEEvT_T0_DpT1_.private_seg_size, 0+max(.L_ZN2at6native12_GLOBAL__N_14pow_IdEEN3c107complexIT_EES6_S6_.private_seg_size)
	.set _ZN2at6native12_GLOBAL__N_125multi_tensor_apply_kernelINS1_18TensorListMetadataILi1EEENS1_21BinaryOpScalarFunctorIN3c107complexIdEELi1ELi1ELi0EEEJNS1_13power_functorIS8_EES8_EEEvT_T0_DpT1_.uses_vcc, or(1, .L_ZN2at6native12_GLOBAL__N_14pow_IdEEN3c107complexIT_EES6_S6_.uses_vcc)
	.set _ZN2at6native12_GLOBAL__N_125multi_tensor_apply_kernelINS1_18TensorListMetadataILi1EEENS1_21BinaryOpScalarFunctorIN3c107complexIdEELi1ELi1ELi0EEEJNS1_13power_functorIS8_EES8_EEEvT_T0_DpT1_.uses_flat_scratch, or(0, .L_ZN2at6native12_GLOBAL__N_14pow_IdEEN3c107complexIT_EES6_S6_.uses_flat_scratch)
	.set _ZN2at6native12_GLOBAL__N_125multi_tensor_apply_kernelINS1_18TensorListMetadataILi1EEENS1_21BinaryOpScalarFunctorIN3c107complexIdEELi1ELi1ELi0EEEJNS1_13power_functorIS8_EES8_EEEvT_T0_DpT1_.has_dyn_sized_stack, or(0, .L_ZN2at6native12_GLOBAL__N_14pow_IdEEN3c107complexIT_EES6_S6_.has_dyn_sized_stack)
	.set _ZN2at6native12_GLOBAL__N_125multi_tensor_apply_kernelINS1_18TensorListMetadataILi1EEENS1_21BinaryOpScalarFunctorIN3c107complexIdEELi1ELi1ELi0EEEJNS1_13power_functorIS8_EES8_EEEvT_T0_DpT1_.has_recursion, or(0, .L_ZN2at6native12_GLOBAL__N_14pow_IdEEN3c107complexIT_EES6_S6_.has_recursion)
	.set _ZN2at6native12_GLOBAL__N_125multi_tensor_apply_kernelINS1_18TensorListMetadataILi1EEENS1_21BinaryOpScalarFunctorIN3c107complexIdEELi1ELi1ELi0EEEJNS1_13power_functorIS8_EES8_EEEvT_T0_DpT1_.has_indirect_call, or(0, .L_ZN2at6native12_GLOBAL__N_14pow_IdEEN3c107complexIT_EES6_S6_.has_indirect_call)
	.section	.AMDGPU.csdata,"",@progbits
; Kernel info:
; codeLenInByte = 1360
; TotalNumSgprs: 72
; NumVgprs: 72
; NumAgprs: 0
; TotalNumVgprs: 72
; ScratchSize: 0
; MemoryBound: 1
; FloatMode: 240
; IeeeMode: 1
; LDSByteSize: 0 bytes/workgroup (compile time only)
; SGPRBlocks: 8
; VGPRBlocks: 8
; NumSGPRsForWavesPerEU: 72
; NumVGPRsForWavesPerEU: 72
; AccumOffset: 72
; Occupancy: 7
; WaveLimiterHint : 0
; COMPUTE_PGM_RSRC2:SCRATCH_EN: 0
; COMPUTE_PGM_RSRC2:USER_SGPR: 2
; COMPUTE_PGM_RSRC2:TRAP_HANDLER: 0
; COMPUTE_PGM_RSRC2:TGID_X_EN: 1
; COMPUTE_PGM_RSRC2:TGID_Y_EN: 0
; COMPUTE_PGM_RSRC2:TGID_Z_EN: 0
; COMPUTE_PGM_RSRC2:TIDIG_COMP_CNT: 0
; COMPUTE_PGM_RSRC3_GFX90A:ACCUM_OFFSET: 17
; COMPUTE_PGM_RSRC3_GFX90A:TG_SPLIT: 0
	.text
	.p2align	2                               ; -- Begin function _ZN2at6native12_GLOBAL__N_14pow_IfEEN3c107complexIT_EES6_S6_
	.type	_ZN2at6native12_GLOBAL__N_14pow_IfEEN3c107complexIT_EES6_S6_,@function
_ZN2at6native12_GLOBAL__N_14pow_IfEEN3c107complexIT_EES6_S6_: ; @_ZN2at6native12_GLOBAL__N_14pow_IfEEN3c107complexIT_EES6_S6_
; %bb.0:
	s_waitcnt vmcnt(0) expcnt(0) lgkmcnt(0)
	v_cmp_o_f32_e32 vcc, v0, v1
                                        ; implicit-def: $vgpr6
                                        ; implicit-def: $vgpr7
	s_and_saveexec_b64 s[0:1], vcc
	s_xor_b64 s[4:5], exec, s[0:1]
	s_cbranch_execz .LBB57_28
; %bb.1:
	v_cmp_lt_f32_e64 s[0:1], |v0|, |v1|
	s_mov_b32 s2, 0x77f684df
                                        ; implicit-def: $vgpr6
                                        ; implicit-def: $vgpr7
	s_nop 0
	v_cndmask_b32_e64 v4, v1, v0, s[0:1]
	v_cmp_ngt_f32_e64 s[2:3], |v4|, s2
	s_and_saveexec_b64 s[6:7], s[2:3]
	s_xor_b64 s[6:7], exec, s[6:7]
	s_cbranch_execz .LBB57_25
; %bb.2:
	v_cndmask_b32_e64 v5, v0, v1, s[0:1]
	v_and_b32_e32 v5, 0x7fffffff, v5
	v_and_b32_e32 v4, 0x7fffffff, v4
	v_cmp_neq_f32_e32 vcc, 1.0, v5
                                        ; implicit-def: $vgpr6
                                        ; implicit-def: $vgpr7
	s_and_saveexec_b64 s[2:3], vcc
	s_xor_b64 s[8:9], exec, s[2:3]
	s_cbranch_execz .LBB57_18
; %bb.3:
	v_max_f32_e32 v6, v4, v4
	v_max_f32_e32 v7, v5, v5
	v_min_f32_e32 v8, v7, v6
	s_mov_b32 s2, 0x358637bd
	v_cmp_ngt_f32_e32 vcc, s2, v8
	v_max_f32_e32 v6, v7, v6
	s_mov_b32 s2, 0x49742400
	v_cmp_nlt_f32_e64 s[2:3], s2, v6
	s_and_b64 s[2:3], s[2:3], vcc
                                        ; implicit-def: $vgpr6
                                        ; implicit-def: $vgpr7
	s_and_saveexec_b64 s[10:11], s[2:3]
	s_xor_b64 s[10:11], exec, s[10:11]
	s_cbranch_execz .LBB57_15
; %bb.4:
	s_mov_b32 s3, 1.0
	v_cmp_le_f32_e32 vcc, 1.0, v5
                                        ; implicit-def: $vgpr6
                                        ; implicit-def: $vgpr7
	s_and_saveexec_b64 s[12:13], vcc
	s_xor_b64 s[12:13], exec, s[12:13]
	s_cbranch_execz .LBB57_6
; %bb.5:
	s_mov_b32 s2, -1.0
	v_pk_add_f32 v[6:7], v[4:5], s[2:3] op_sel:[1,0]
	v_mov_b32_e32 v8, v4
	v_mov_b32_e32 v5, v6
	;; [unrolled: 1-line block ×3, first 2 shown]
	v_mul_f32_e32 v6, v6, v7
	v_pk_fma_f32 v[4:5], v[4:5], v[8:9], v[6:7] op_sel_hi:[1,1,0]
	s_mov_b32 s2, 0x3f2aaaab
	v_add_f32_e32 v7, 1.0, v4
	v_add_f32_e32 v5, -1.0, v7
	v_mov_b32_e32 v6, v5
	v_pk_add_f32 v[8:9], v[4:5], v[6:7] neg_lo:[0,1] neg_hi:[0,1]
	v_frexp_mant_f32_e32 v6, v7
	v_add_f32_e32 v5, 1.0, v9
	v_add_f32_e32 v5, v8, v5
	v_cvt_f64_f32_e32 v[8:9], v7
	v_frexp_exp_i32_f64_e32 v8, v[8:9]
	v_cmp_gt_f32_e32 vcc, s2, v6
	s_mov_b32 s2, 0x3f317218
	s_movk_i32 s14, 0x204
	v_subbrev_co_u32_e32 v14, vcc, 0, v8, vcc
	v_sub_u32_e32 v6, 0, v14
	v_ldexp_f32 v7, v7, v6
	v_ldexp_f32 v5, v5, v6
	v_add_f32_e32 v6, -1.0, v7
	v_add_f32_e32 v9, 1.0, v7
	v_add_f32_e32 v8, 1.0, v6
	v_add_f32_e32 v10, -1.0, v9
	v_sub_f32_e32 v8, v7, v8
	v_sub_f32_e32 v7, v7, v10
	v_add_f32_e32 v8, v5, v8
	v_add_f32_e32 v5, v5, v7
	v_add_f32_e32 v15, v9, v5
	v_rcp_f32_e32 v16, v15
	v_sub_f32_e32 v7, v15, v9
	v_sub_f32_e32 v5, v5, v7
	v_add_f32_e32 v7, v6, v8
	v_sub_f32_e32 v6, v7, v6
	v_mul_f32_e32 v18, v7, v16
	v_sub_f32_e32 v17, v8, v6
	v_mul_f32_e32 v8, v15, v18
	v_fma_f32 v10, v18, v15, -v8
	v_fmac_f32_e32 v10, v18, v5
	v_add_f32_e32 v6, v8, v10
	v_sub_f32_e32 v9, v7, v6
	v_pk_add_f32 v[12:13], v[6:7], v[8:9] neg_lo:[0,1] neg_hi:[0,1]
	v_mov_b32_e32 v11, v6
	v_pk_add_f32 v[6:7], v[12:13], v[10:11] neg_lo:[0,1] neg_hi:[0,1]
	s_nop 0
	v_add_f32_e32 v7, v17, v7
	v_add_f32_e32 v6, v6, v7
	;; [unrolled: 1-line block ×3, first 2 shown]
	v_mul_f32_e32 v17, v16, v7
	v_mul_f32_e32 v8, v15, v17
	v_fma_f32 v10, v17, v15, -v8
	v_fmac_f32_e32 v10, v17, v5
	v_sub_f32_e32 v5, v9, v7
	v_add_f32_e32 v5, v6, v5
	v_add_f32_e32 v6, v8, v10
	v_sub_f32_e32 v9, v7, v6
	v_pk_add_f32 v[12:13], v[6:7], v[8:9] neg_lo:[0,1] neg_hi:[0,1]
	v_mov_b32_e32 v11, v6
	v_pk_add_f32 v[6:7], v[12:13], v[10:11] neg_lo:[0,1] neg_hi:[0,1]
	v_cvt_f32_i32_e32 v8, v14
	v_add_f32_e32 v5, v5, v7
	v_add_f32_e32 v5, v6, v5
	;; [unrolled: 1-line block ×4, first 2 shown]
	v_sub_f32_e32 v7, v6, v18
	v_mul_f32_e32 v5, v16, v5
	v_sub_f32_e32 v7, v17, v7
	v_add_f32_e32 v5, v7, v5
	v_add_f32_e32 v9, v6, v5
	v_mul_f32_e32 v10, v9, v9
	v_mov_b32_e32 v7, 0x3ecc95a3
	v_fmac_f32_e32 v7, 0x3e9b6dac, v10
	v_sub_f32_e32 v6, v9, v6
	v_fmaak_f32 v7, v10, v7, 0x3f2aaada
	v_sub_f32_e32 v5, v5, v6
	v_ldexp_f32 v11, v9, 1
	v_mul_f32_e32 v9, v9, v10
	v_mov_b32_e32 v6, 0x3f317218
	v_pk_mul_f32 v[6:7], v[8:9], v[6:7]
	v_ldexp_f32 v5, v5, 1
	v_fma_f32 v9, v8, s2, -v6
	v_fmamk_f32 v10, v8, 0xb102e308, v9
	v_pk_add_f32 v[8:9], v[6:7], v[10:11]
	v_mov_b32_e32 v12, v6
	v_sub_f32_e32 v11, v9, v11
	v_sub_f32_e32 v11, v7, v11
	v_add_f32_e32 v13, v5, v11
	v_pk_add_f32 v[6:7], v[8:9], v[6:7] neg_lo:[0,1] neg_hi:[0,1]
	v_pk_add_f32 v[14:15], v[8:9], v[12:13]
	v_mov_b32_e32 v11, v8
	v_mov_b32_e32 v7, v15
	v_pk_add_f32 v[16:17], v[10:11], v[6:7] neg_lo:[0,1] neg_hi:[0,1]
	v_pk_add_f32 v[6:7], v[10:11], v[6:7]
	v_mov_b32_e32 v12, v13
	v_pk_add_f32 v[10:11], v[6:7], v[8:9] op_sel:[1,0] op_sel_hi:[0,1] neg_lo:[0,1] neg_hi:[0,1]
	v_pk_add_f32 v[18:19], v[14:15], v[10:11] op_sel_hi:[1,0] neg_lo:[0,1] neg_hi:[0,1]
	v_mov_b32_e32 v14, v15
	v_mov_b32_e32 v15, v7
	v_pk_mov_b32 v[10:11], v[8:9], v[10:11] op_sel:[1,0]
	v_mov_b32_e32 v13, v8
	v_pk_add_f32 v[10:11], v[14:15], v[10:11] neg_lo:[0,1] neg_hi:[0,1]
	v_mov_b32_e32 v18, v16
	v_pk_add_f32 v[8:9], v[12:13], v[10:11] neg_lo:[0,1] neg_hi:[0,1]
	v_mov_b32_e32 v17, v7
	v_pk_add_f32 v[10:11], v[18:19], v[8:9]
	s_mov_b32 s2, 0x7f800000
	v_pk_add_f32 v[12:13], v[10:11], v[10:11] op_sel:[0,1] op_sel_hi:[1,0]
	v_cmp_neq_f32_e32 vcc, s2, v4
	v_pk_add_f32 v[6:7], v[6:7], v[12:13] op_sel:[1,0] op_sel_hi:[0,1]
	v_mov_b32_e32 v11, v6
	v_pk_add_f32 v[14:15], v[10:11], v[16:17] neg_lo:[0,1] neg_hi:[0,1]
	v_mov_b32_e32 v9, v12
	v_sub_f32_e32 v5, v10, v14
	v_pk_add_f32 v[8:9], v[8:9], v[14:15] neg_lo:[0,1] neg_hi:[0,1]
	v_sub_f32_e32 v5, v16, v5
	v_add_f32_e32 v5, v8, v5
	v_add_f32_e32 v5, v5, v9
	;; [unrolled: 1-line block ×3, first 2 shown]
	v_mov_b32_e32 v6, 0x7f800000
	v_cndmask_b32_e32 v5, v6, v5, vcc
	v_mov_b32_e32 v6, 0x7fc00000
	v_cmp_ngt_f32_e32 vcc, -1.0, v4
	s_mov_b32 s2, 0x33800000
	s_nop 0
	v_cndmask_b32_e32 v5, v6, v5, vcc
	v_mov_b32_e32 v6, 0xff800000
	v_cmp_neq_f32_e32 vcc, -1.0, v4
	s_nop 1
	v_cndmask_b32_e32 v5, v6, v5, vcc
	v_cmp_lt_f32_e64 vcc, |v4|, s2
	v_cmp_gt_i32_e64 s[2:3], 0, v0
	s_nop 0
	v_cndmask_b32_e32 v4, v5, v4, vcc
	v_mul_f32_e32 v6, 0.5, v4
	v_max_f32_e64 v4, |v1|, |v1|
	v_max_f32_e64 v5, |v0|, |v0|
	v_min_f32_e32 v7, v5, v4
	v_max_f32_e32 v4, v5, v4
	v_frexp_mant_f32_e32 v5, v4
	v_rcp_f32_e32 v5, v5
	v_frexp_exp_i32_f32_e32 v4, v4
	v_frexp_exp_i32_f32_e32 v8, v7
	v_frexp_mant_f32_e32 v7, v7
	v_mul_f32_e32 v5, v7, v5
	v_sub_u32_e32 v4, v8, v4
	v_ldexp_f32 v4, v5, v4
	v_mul_f32_e32 v5, v4, v4
	v_mov_b32_e32 v7, 0xbc7a590c
	v_fmac_f32_e32 v7, 0x3b2d2a58, v5
	v_fmaak_f32 v7, v5, v7, 0x3d29fb3f
	v_fmaak_f32 v7, v5, v7, 0xbd97d4d7
	;; [unrolled: 1-line block ×6, first 2 shown]
	v_mul_f32_e32 v5, v5, v7
	v_fmac_f32_e32 v4, v4, v5
	v_sub_f32_e32 v5, 0x3fc90fdb, v4
	v_cndmask_b32_e64 v4, v4, v5, s[0:1]
	v_sub_f32_e32 v5, 0x40490fdb, v4
	v_cmp_gt_f32_e32 vcc, 0, v0
	v_mov_b32_e32 v7, 0x4016cbe4
	s_nop 0
	v_cndmask_b32_e32 v4, v4, v5, vcc
	v_mov_b32_e32 v5, 0x40490fdb
	v_cndmask_b32_e64 v5, 0, v5, s[2:3]
	v_cmp_eq_f32_e64 s[2:3], 0, v1
	s_nop 1
	v_cndmask_b32_e64 v4, v4, v5, s[2:3]
	v_mov_b32_e32 v5, 0x3f490fdb
	v_cmp_class_f32_e64 s[2:3], v0, s14
	v_cmp_class_f32_e64 s[14:15], v1, s14
	v_cndmask_b32_e32 v5, v5, v7, vcc
	s_and_b64 vcc, s[2:3], s[14:15]
	v_cndmask_b32_e32 v7, v4, v5, vcc
                                        ; implicit-def: $vgpr4_vgpr5
.LBB57_6:
	s_andn2_saveexec_b64 s[12:13], s[12:13]
	s_cbranch_execz .LBB57_14
; %bb.7:
	v_pk_mul_f32 v[6:7], v[4:5], v[4:5]
	s_mov_b32 s2, 0x3f333333
	v_add_f32_e32 v8, v7, v6
	v_cmp_ge_f32_e32 vcc, s2, v8
                                        ; implicit-def: $vgpr6
                                        ; implicit-def: $vgpr7
	s_and_saveexec_b64 s[2:3], vcc
	s_xor_b64 s[14:15], exec, s[2:3]
	s_cbranch_execz .LBB57_9
; %bb.8:
	s_mov_b32 s2, 0x800000
	v_cmp_gt_f32_e32 vcc, s2, v8
	s_mov_b32 s2, 0x3f317217
	s_mov_b32 s3, 0x7f800000
	v_cndmask_b32_e64 v4, 0, 32, vcc
	v_ldexp_f32 v4, v8, v4
	v_log_f32_e32 v4, v4
	s_movk_i32 s16, 0x204
	v_mul_f32_e32 v5, 0x3f317217, v4
	v_fma_f32 v5, v4, s2, -v5
	v_fmamk_f32 v5, v4, 0x3377d1cf, v5
	v_fmac_f32_e32 v5, 0x3f317217, v4
	v_cmp_lt_f32_e64 s[2:3], |v4|, s3
	s_nop 1
	v_cndmask_b32_e64 v4, v4, v5, s[2:3]
	v_mov_b32_e32 v5, 0x41b17218
	v_cndmask_b32_e32 v5, 0, v5, vcc
	v_sub_f32_e32 v4, v4, v5
	v_mul_f32_e32 v6, 0.5, v4
	v_max_f32_e64 v4, |v1|, |v1|
	v_max_f32_e64 v5, |v0|, |v0|
	v_min_f32_e32 v7, v5, v4
	v_max_f32_e32 v4, v5, v4
	v_frexp_mant_f32_e32 v5, v4
	v_rcp_f32_e32 v5, v5
	v_frexp_exp_i32_f32_e32 v4, v4
	v_frexp_exp_i32_f32_e32 v8, v7
	v_frexp_mant_f32_e32 v7, v7
	v_mul_f32_e32 v5, v7, v5
	v_sub_u32_e32 v4, v8, v4
	v_ldexp_f32 v4, v5, v4
	v_mul_f32_e32 v5, v4, v4
	v_mov_b32_e32 v7, 0xbc7a590c
	v_fmac_f32_e32 v7, 0x3b2d2a58, v5
	v_fmaak_f32 v7, v5, v7, 0x3d29fb3f
	v_fmaak_f32 v7, v5, v7, 0xbd97d4d7
	;; [unrolled: 1-line block ×6, first 2 shown]
	v_mul_f32_e32 v5, v5, v7
	v_fmac_f32_e32 v4, v4, v5
	v_sub_f32_e32 v5, 0x3fc90fdb, v4
	v_cndmask_b32_e64 v4, v4, v5, s[0:1]
	v_sub_f32_e32 v5, 0x40490fdb, v4
	v_cmp_gt_f32_e32 vcc, 0, v0
	v_cmp_gt_i32_e64 s[2:3], 0, v0
	v_mov_b32_e32 v7, 0x4016cbe4
	v_cndmask_b32_e32 v4, v4, v5, vcc
	v_mov_b32_e32 v5, 0x40490fdb
	v_cndmask_b32_e64 v5, 0, v5, s[2:3]
	v_cmp_eq_f32_e64 s[2:3], 0, v1
	s_nop 1
	v_cndmask_b32_e64 v4, v4, v5, s[2:3]
	v_mov_b32_e32 v5, 0x3f490fdb
	v_cmp_class_f32_e64 s[2:3], v0, s16
	v_cmp_class_f32_e64 s[16:17], v1, s16
	v_cndmask_b32_e32 v5, v5, v7, vcc
	s_and_b64 vcc, s[2:3], s[16:17]
	v_cndmask_b32_e32 v7, v4, v5, vcc
                                        ; implicit-def: $vgpr4_vgpr5
.LBB57_9:
	s_andn2_saveexec_b64 s[14:15], s[14:15]
	s_cbranch_execz .LBB57_13
; %bb.10:
	v_pk_mov_b32 v[6:7], v[4:5], v[4:5] op_sel:[1,0]
	s_mov_b64 s[16:17], 0
	v_and_b32_e32 v7, 0x7fff0000, v7
	v_and_b32_e32 v6, 0x7fff0000, v6
	v_pk_add_f32 v[4:5], v[4:5], v[6:7] op_sel:[1,0] op_sel_hi:[0,1] neg_lo:[0,1] neg_hi:[0,1]
	v_and_b32_e32 v9, 0xffff0000, v5
	v_and_b32_e32 v8, 0xffff0000, v4
	v_add_f32_e32 v12, v6, v6
	v_pk_add_f32 v[16:17], v[4:5], v[8:9] neg_lo:[0,1] neg_hi:[0,1]
	v_pk_mul_f32 v[4:5], v[6:7], v[6:7]
	v_mul_f32_e32 v11, v12, v8
	v_add_f32_e32 v14, v7, v7
	v_pk_mul_f32 v[6:7], v[8:9], v[8:9]
	v_add_f32_e32 v8, v8, v8
	v_mul_f32_e32 v10, v14, v9
	v_mul_f32_e32 v13, v12, v16
	;; [unrolled: 1-line block ×4, first 2 shown]
	v_add_f32_e32 v8, v9, v9
	v_mul_f32_e32 v15, v8, v17
	v_pk_mul_f32 v[8:9], v[16:17], v[16:17]
.LBB57_11:                              ; =>This Inner Loop Header: Depth=1
	v_cmp_nlt_f32_e32 vcc, v4, v5
	s_nop 1
	v_cndmask_b32_e32 v16, v4, v5, vcc
	v_cmp_nlt_f32_e64 s[2:3], v16, v11
	v_cndmask_b32_e32 v4, v5, v4, vcc
	s_and_b64 s[18:19], vcc, s[2:3]
	v_cndmask_b32_e64 v17, v16, v11, s[2:3]
	v_cmp_nlt_f32_e32 vcc, v17, v10
	v_cndmask_b32_e64 v5, v11, v16, s[2:3]
	s_nop 0
	v_cndmask_b32_e32 v16, v17, v10, vcc
	v_cmp_nlt_f32_e64 s[2:3], v16, v6
	v_cndmask_b32_e32 v11, v10, v17, vcc
	s_and_b64 s[20:21], vcc, s[2:3]
	v_cndmask_b32_e64 v17, v16, v6, s[2:3]
	v_cmp_nlt_f32_e32 vcc, v17, v7
	v_cndmask_b32_e64 v10, v6, v16, s[2:3]
	s_nop 0
	v_cndmask_b32_e32 v16, v17, v7, vcc
	v_cmp_nlt_f32_e64 s[2:3], v16, v13
	v_cndmask_b32_e32 v6, v7, v17, vcc
	s_nop 0
	v_cndmask_b32_e64 v17, v16, v13, s[2:3]
	v_cndmask_b32_e64 v7, v13, v16, s[2:3]
	s_and_b64 s[2:3], vcc, s[2:3]
	v_cmp_nlt_f32_e32 vcc, v17, v12
	s_and_b64 s[2:3], s[2:3], vcc
	s_nop 0
	v_cndmask_b32_e32 v16, v17, v12, vcc
	v_cndmask_b32_e32 v13, v12, v17, vcc
	v_cmp_nlt_f32_e32 vcc, v16, v14
	s_and_b64 s[2:3], s[2:3], vcc
	s_nop 0
	v_cndmask_b32_e32 v17, v16, v14, vcc
	v_cndmask_b32_e32 v12, v14, v16, vcc
	;; [unrolled: 5-line block ×4, first 2 shown]
	v_cmp_nlt_f32_e32 vcc, v17, v9
	s_and_b64 s[2:3], s[2:3], vcc
	s_and_b64 s[2:3], s[2:3], s[20:21]
	s_and_b64 s[2:3], s[2:3], s[18:19]
	s_and_b64 s[2:3], exec, s[2:3]
	v_cndmask_b32_e32 v8, v9, v17, vcc
	s_or_b64 s[16:17], s[2:3], s[16:17]
	v_cndmask_b32_e32 v9, v17, v9, vcc
	s_andn2_b64 exec, exec, s[16:17]
	s_cbranch_execnz .LBB57_11
; %bb.12:
	s_or_b64 exec, exec, s[16:17]
	v_add_f32_e32 v4, -1.0, v4
	v_add_f32_e32 v4, v4, v5
	v_add_f32_e32 v4, v4, v11
	v_add_f32_e32 v4, v4, v10
	v_add_f32_e32 v4, v4, v6
	v_add_f32_e32 v4, v4, v7
	v_add_f32_e32 v4, v4, v13
	v_add_f32_e32 v4, v4, v12
	v_add_f32_e32 v4, v4, v14
	v_add_f32_e32 v4, v4, v15
	v_add_f32_e32 v4, v4, v8
	v_add_f32_e32 v4, v9, v4
	v_add_f32_e32 v7, 1.0, v4
	v_add_f32_e32 v5, -1.0, v7
	v_mov_b32_e32 v6, v5
	v_pk_add_f32 v[8:9], v[4:5], v[6:7] neg_lo:[0,1] neg_hi:[0,1]
	v_frexp_mant_f32_e32 v6, v7
	v_add_f32_e32 v5, 1.0, v9
	v_add_f32_e32 v5, v8, v5
	s_mov_b32 s2, 0x3f2aaaab
	v_cvt_f64_f32_e32 v[8:9], v7
	v_frexp_exp_i32_f64_e32 v8, v[8:9]
	v_cmp_gt_f32_e32 vcc, s2, v6
	s_mov_b32 s2, 0x3f317218
	s_movk_i32 s16, 0x204
	v_subbrev_co_u32_e32 v14, vcc, 0, v8, vcc
	v_sub_u32_e32 v6, 0, v14
	v_ldexp_f32 v7, v7, v6
	v_ldexp_f32 v5, v5, v6
	v_add_f32_e32 v6, -1.0, v7
	v_add_f32_e32 v9, 1.0, v7
	v_add_f32_e32 v8, 1.0, v6
	v_add_f32_e32 v10, -1.0, v9
	v_sub_f32_e32 v8, v7, v8
	v_sub_f32_e32 v7, v7, v10
	v_add_f32_e32 v8, v5, v8
	v_add_f32_e32 v5, v5, v7
	;; [unrolled: 1-line block ×3, first 2 shown]
	v_rcp_f32_e32 v16, v15
	v_sub_f32_e32 v7, v15, v9
	v_sub_f32_e32 v5, v5, v7
	v_add_f32_e32 v7, v6, v8
	v_sub_f32_e32 v6, v7, v6
	v_mul_f32_e32 v18, v7, v16
	v_sub_f32_e32 v17, v8, v6
	v_mul_f32_e32 v8, v15, v18
	v_fma_f32 v10, v18, v15, -v8
	v_fmac_f32_e32 v10, v18, v5
	v_add_f32_e32 v6, v8, v10
	v_sub_f32_e32 v9, v7, v6
	v_pk_add_f32 v[12:13], v[6:7], v[8:9] neg_lo:[0,1] neg_hi:[0,1]
	v_mov_b32_e32 v11, v6
	v_pk_add_f32 v[6:7], v[12:13], v[10:11] neg_lo:[0,1] neg_hi:[0,1]
	s_nop 0
	v_add_f32_e32 v7, v17, v7
	v_add_f32_e32 v6, v6, v7
	;; [unrolled: 1-line block ×3, first 2 shown]
	v_mul_f32_e32 v17, v16, v7
	v_mul_f32_e32 v8, v15, v17
	v_fma_f32 v10, v17, v15, -v8
	v_fmac_f32_e32 v10, v17, v5
	v_sub_f32_e32 v5, v9, v7
	v_add_f32_e32 v5, v6, v5
	v_add_f32_e32 v6, v8, v10
	v_sub_f32_e32 v9, v7, v6
	v_pk_add_f32 v[12:13], v[6:7], v[8:9] neg_lo:[0,1] neg_hi:[0,1]
	v_mov_b32_e32 v11, v6
	v_pk_add_f32 v[6:7], v[12:13], v[10:11] neg_lo:[0,1] neg_hi:[0,1]
	v_cvt_f32_i32_e32 v8, v14
	v_add_f32_e32 v5, v5, v7
	v_add_f32_e32 v5, v6, v5
	;; [unrolled: 1-line block ×4, first 2 shown]
	v_sub_f32_e32 v7, v6, v18
	v_mul_f32_e32 v5, v16, v5
	v_sub_f32_e32 v7, v17, v7
	v_add_f32_e32 v5, v7, v5
	v_add_f32_e32 v9, v6, v5
	v_mul_f32_e32 v10, v9, v9
	v_mov_b32_e32 v7, 0x3ecc95a3
	v_fmac_f32_e32 v7, 0x3e9b6dac, v10
	v_sub_f32_e32 v6, v9, v6
	v_fmaak_f32 v7, v10, v7, 0x3f2aaada
	v_sub_f32_e32 v5, v5, v6
	v_ldexp_f32 v11, v9, 1
	v_mul_f32_e32 v9, v9, v10
	v_mov_b32_e32 v6, 0x3f317218
	v_pk_mul_f32 v[6:7], v[8:9], v[6:7]
	v_ldexp_f32 v5, v5, 1
	v_fma_f32 v9, v8, s2, -v6
	v_fmamk_f32 v10, v8, 0xb102e308, v9
	v_pk_add_f32 v[8:9], v[6:7], v[10:11]
	v_mov_b32_e32 v12, v6
	v_sub_f32_e32 v11, v9, v11
	v_sub_f32_e32 v11, v7, v11
	v_add_f32_e32 v13, v5, v11
	v_pk_add_f32 v[6:7], v[8:9], v[6:7] neg_lo:[0,1] neg_hi:[0,1]
	v_pk_add_f32 v[14:15], v[8:9], v[12:13]
	v_mov_b32_e32 v11, v8
	v_mov_b32_e32 v7, v15
	v_pk_add_f32 v[16:17], v[10:11], v[6:7] neg_lo:[0,1] neg_hi:[0,1]
	v_pk_add_f32 v[6:7], v[10:11], v[6:7]
	v_mov_b32_e32 v12, v13
	v_pk_add_f32 v[10:11], v[6:7], v[8:9] op_sel:[1,0] op_sel_hi:[0,1] neg_lo:[0,1] neg_hi:[0,1]
	v_pk_add_f32 v[18:19], v[14:15], v[10:11] op_sel_hi:[1,0] neg_lo:[0,1] neg_hi:[0,1]
	v_mov_b32_e32 v14, v15
	v_mov_b32_e32 v15, v7
	v_pk_mov_b32 v[10:11], v[8:9], v[10:11] op_sel:[1,0]
	v_mov_b32_e32 v13, v8
	v_pk_add_f32 v[10:11], v[14:15], v[10:11] neg_lo:[0,1] neg_hi:[0,1]
	v_mov_b32_e32 v18, v16
	v_pk_add_f32 v[8:9], v[12:13], v[10:11] neg_lo:[0,1] neg_hi:[0,1]
	v_mov_b32_e32 v17, v7
	v_pk_add_f32 v[10:11], v[18:19], v[8:9]
	s_mov_b32 s2, 0x7f800000
	v_pk_add_f32 v[12:13], v[10:11], v[10:11] op_sel:[0,1] op_sel_hi:[1,0]
	v_cmp_neq_f32_e32 vcc, s2, v4
	v_pk_add_f32 v[6:7], v[6:7], v[12:13] op_sel:[1,0] op_sel_hi:[0,1]
	v_mov_b32_e32 v11, v6
	v_pk_add_f32 v[14:15], v[10:11], v[16:17] neg_lo:[0,1] neg_hi:[0,1]
	v_mov_b32_e32 v9, v12
	v_sub_f32_e32 v5, v10, v14
	v_pk_add_f32 v[8:9], v[8:9], v[14:15] neg_lo:[0,1] neg_hi:[0,1]
	v_sub_f32_e32 v5, v16, v5
	v_add_f32_e32 v5, v8, v5
	v_add_f32_e32 v5, v5, v9
	v_add_f32_e32 v5, v6, v5
	v_mov_b32_e32 v6, 0x7f800000
	v_cndmask_b32_e32 v5, v6, v5, vcc
	v_mov_b32_e32 v6, 0x7fc00000
	v_cmp_ngt_f32_e32 vcc, -1.0, v4
	s_mov_b32 s2, 0x33800000
	s_nop 0
	v_cndmask_b32_e32 v5, v6, v5, vcc
	v_mov_b32_e32 v6, 0xff800000
	v_cmp_neq_f32_e32 vcc, -1.0, v4
	s_nop 1
	v_cndmask_b32_e32 v5, v6, v5, vcc
	v_cmp_lt_f32_e64 vcc, |v4|, s2
	v_cmp_gt_i32_e64 s[2:3], 0, v0
	s_nop 0
	v_cndmask_b32_e32 v4, v5, v4, vcc
	v_mul_f32_e32 v6, 0.5, v4
	v_max_f32_e64 v4, |v1|, |v1|
	v_max_f32_e64 v5, |v0|, |v0|
	v_min_f32_e32 v7, v5, v4
	v_max_f32_e32 v4, v5, v4
	v_frexp_mant_f32_e32 v5, v4
	v_rcp_f32_e32 v5, v5
	v_frexp_exp_i32_f32_e32 v4, v4
	v_frexp_exp_i32_f32_e32 v8, v7
	v_frexp_mant_f32_e32 v7, v7
	v_mul_f32_e32 v5, v7, v5
	v_sub_u32_e32 v4, v8, v4
	v_ldexp_f32 v4, v5, v4
	v_mul_f32_e32 v5, v4, v4
	v_mov_b32_e32 v7, 0xbc7a590c
	v_fmac_f32_e32 v7, 0x3b2d2a58, v5
	v_fmaak_f32 v7, v5, v7, 0x3d29fb3f
	v_fmaak_f32 v7, v5, v7, 0xbd97d4d7
	v_fmaak_f32 v7, v5, v7, 0x3dd931b2
	v_fmaak_f32 v7, v5, v7, 0xbe1160e6
	v_fmaak_f32 v7, v5, v7, 0x3e4cb8bf
	v_fmaak_f32 v7, v5, v7, 0xbeaaaa62
	v_mul_f32_e32 v5, v5, v7
	v_fmac_f32_e32 v4, v4, v5
	v_sub_f32_e32 v5, 0x3fc90fdb, v4
	v_cndmask_b32_e64 v4, v4, v5, s[0:1]
	v_sub_f32_e32 v5, 0x40490fdb, v4
	v_cmp_gt_f32_e32 vcc, 0, v0
	v_mov_b32_e32 v7, 0x4016cbe4
	s_nop 0
	v_cndmask_b32_e32 v4, v4, v5, vcc
	v_mov_b32_e32 v5, 0x40490fdb
	v_cndmask_b32_e64 v5, 0, v5, s[2:3]
	v_cmp_eq_f32_e64 s[2:3], 0, v1
	s_nop 1
	v_cndmask_b32_e64 v4, v4, v5, s[2:3]
	v_mov_b32_e32 v5, 0x3f490fdb
	v_cmp_class_f32_e64 s[2:3], v0, s16
	v_cmp_class_f32_e64 s[16:17], v1, s16
	v_cndmask_b32_e32 v5, v5, v7, vcc
	s_and_b64 vcc, s[2:3], s[16:17]
	v_cndmask_b32_e32 v7, v4, v5, vcc
.LBB57_13:
	s_or_b64 exec, exec, s[14:15]
.LBB57_14:
	s_or_b64 exec, exec, s[12:13]
.LBB57_15:
	s_andn2_saveexec_b64 s[10:11], s[10:11]
	s_cbranch_execz .LBB57_17
; %bb.16:
	v_max_f32_e64 v7, |v1|, |v1|
	v_max_f32_e64 v8, |v0|, |v0|
	v_max_f32_e32 v9, v8, v7
	v_cvt_f64_f32_e32 v[4:5], v9
	v_frexp_exp_i32_f64_e32 v4, v[4:5]
	v_sub_u32_e32 v5, 0, v4
	v_ldexp_f32 v6, |v0|, v5
	v_ldexp_f32 v5, |v1|, v5
	v_mul_f32_e32 v5, v5, v5
	v_fmac_f32_e32 v5, v6, v6
	v_sqrt_f32_e32 v5, v5
	s_mov_b32 s2, 0x7f800000
	v_cmp_neq_f32_e32 vcc, s2, v9
	s_mov_b32 s3, 0x800000
	v_ldexp_f32 v4, v5, v4
	v_mov_b32_e32 v5, 0x7f800000
	v_cndmask_b32_e32 v4, v5, v4, vcc
	v_cmp_gt_f32_e32 vcc, s3, v4
	s_mov_b32 s3, 0x3f317217
	s_movk_i32 s12, 0x204
	v_cndmask_b32_e64 v5, 0, 32, vcc
	v_ldexp_f32 v4, v4, v5
	v_log_f32_e32 v4, v4
	s_nop 0
	v_mul_f32_e32 v5, 0x3f317217, v4
	v_fma_f32 v5, v4, s3, -v5
	v_fmamk_f32 v5, v4, 0x3377d1cf, v5
	v_fmac_f32_e32 v5, 0x3f317217, v4
	v_cmp_lt_f32_e64 s[2:3], |v4|, s2
	s_nop 1
	v_cndmask_b32_e64 v4, v4, v5, s[2:3]
	v_mov_b32_e32 v5, 0x41b17218
	v_cndmask_b32_e32 v5, 0, v5, vcc
	v_sub_f32_e32 v6, v4, v5
	v_frexp_mant_f32_e32 v5, v9
	v_rcp_f32_e32 v5, v5
	v_min_f32_e32 v4, v8, v7
	v_frexp_exp_i32_f32_e32 v7, v9
	v_frexp_exp_i32_f32_e32 v8, v4
	v_frexp_mant_f32_e32 v4, v4
	v_mul_f32_e32 v4, v4, v5
	v_sub_u32_e32 v5, v8, v7
	v_ldexp_f32 v4, v4, v5
	v_mul_f32_e32 v5, v4, v4
	v_mov_b32_e32 v7, 0xbc7a590c
	v_fmac_f32_e32 v7, 0x3b2d2a58, v5
	v_fmaak_f32 v7, v5, v7, 0x3d29fb3f
	v_fmaak_f32 v7, v5, v7, 0xbd97d4d7
	;; [unrolled: 1-line block ×6, first 2 shown]
	v_mul_f32_e32 v5, v5, v7
	v_fmac_f32_e32 v4, v4, v5
	v_sub_f32_e32 v5, 0x3fc90fdb, v4
	v_cndmask_b32_e64 v4, v4, v5, s[0:1]
	v_sub_f32_e32 v5, 0x40490fdb, v4
	v_cmp_gt_f32_e32 vcc, 0, v0
	v_cmp_gt_i32_e64 s[2:3], 0, v0
	v_mov_b32_e32 v7, 0x4016cbe4
	v_cndmask_b32_e32 v4, v4, v5, vcc
	v_mov_b32_e32 v5, 0x40490fdb
	v_cndmask_b32_e64 v5, 0, v5, s[2:3]
	v_cmp_eq_f32_e64 s[2:3], 0, v1
	s_nop 1
	v_cndmask_b32_e64 v4, v4, v5, s[2:3]
	v_mov_b32_e32 v5, 0x3f490fdb
	v_cmp_class_f32_e64 s[2:3], v0, s12
	v_cmp_class_f32_e64 s[12:13], v1, s12
	v_cndmask_b32_e32 v5, v5, v7, vcc
	s_and_b64 vcc, s[2:3], s[12:13]
	v_cndmask_b32_e32 v7, v4, v5, vcc
.LBB57_17:
	s_or_b64 exec, exec, s[10:11]
                                        ; implicit-def: $vgpr4
.LBB57_18:
	s_andn2_saveexec_b64 s[8:9], s[8:9]
	s_cbranch_execz .LBB57_24
; %bb.19:
	s_mov_b32 s2, 0x1fec1e4a
	v_cmp_ngt_f32_e32 vcc, s2, v4
                                        ; implicit-def: $vgpr6
                                        ; implicit-def: $vgpr7
	s_and_saveexec_b64 s[2:3], vcc
	s_xor_b64 s[10:11], exec, s[2:3]
	s_cbranch_execz .LBB57_21
; %bb.20:
	v_pk_mul_f32 v[4:5], v[4:5], v[4:5]
	s_mov_b32 s2, 0x3f2aaaab
	v_add_f32_e32 v7, 1.0, v4
	v_add_f32_e32 v5, -1.0, v7
	v_mov_b32_e32 v6, v5
	v_pk_add_f32 v[8:9], v[4:5], v[6:7] neg_lo:[0,1] neg_hi:[0,1]
	v_frexp_mant_f32_e32 v6, v7
	v_add_f32_e32 v5, 1.0, v9
	v_add_f32_e32 v5, v8, v5
	v_cvt_f64_f32_e32 v[8:9], v7
	v_frexp_exp_i32_f64_e32 v8, v[8:9]
	v_cmp_gt_f32_e32 vcc, s2, v6
	s_mov_b32 s2, 0x3f317218
	s_movk_i32 s12, 0x204
	v_subbrev_co_u32_e32 v14, vcc, 0, v8, vcc
	v_sub_u32_e32 v6, 0, v14
	v_ldexp_f32 v7, v7, v6
	v_ldexp_f32 v5, v5, v6
	v_add_f32_e32 v6, -1.0, v7
	v_add_f32_e32 v9, 1.0, v7
	v_add_f32_e32 v8, 1.0, v6
	v_add_f32_e32 v10, -1.0, v9
	v_sub_f32_e32 v8, v7, v8
	v_sub_f32_e32 v7, v7, v10
	v_add_f32_e32 v8, v5, v8
	v_add_f32_e32 v5, v5, v7
	;; [unrolled: 1-line block ×3, first 2 shown]
	v_rcp_f32_e32 v16, v15
	v_sub_f32_e32 v7, v9, v15
	v_add_f32_e32 v5, v5, v7
	v_add_f32_e32 v7, v6, v8
	v_sub_f32_e32 v6, v6, v7
	v_mul_f32_e32 v18, v7, v16
	v_add_f32_e32 v17, v8, v6
	v_mul_f32_e32 v8, v15, v18
	v_fma_f32 v10, v18, v15, -v8
	v_fmac_f32_e32 v10, v18, v5
	v_add_f32_e32 v6, v8, v10
	v_sub_f32_e32 v9, v7, v6
	v_pk_add_f32 v[12:13], v[6:7], v[8:9] neg_lo:[0,1] neg_hi:[0,1]
	v_mov_b32_e32 v11, v6
	v_pk_add_f32 v[6:7], v[12:13], v[10:11] neg_lo:[0,1] neg_hi:[0,1]
	s_nop 0
	v_add_f32_e32 v7, v17, v7
	v_add_f32_e32 v6, v6, v7
	v_add_f32_e32 v7, v9, v6
	v_mul_f32_e32 v17, v16, v7
	v_mul_f32_e32 v8, v15, v17
	v_fma_f32 v10, v17, v15, -v8
	v_fmac_f32_e32 v10, v17, v5
	v_sub_f32_e32 v5, v9, v7
	v_add_f32_e32 v5, v6, v5
	v_add_f32_e32 v6, v8, v10
	v_sub_f32_e32 v9, v7, v6
	v_pk_add_f32 v[12:13], v[6:7], v[8:9] neg_lo:[0,1] neg_hi:[0,1]
	v_mov_b32_e32 v11, v6
	v_pk_add_f32 v[6:7], v[12:13], v[10:11] neg_lo:[0,1] neg_hi:[0,1]
	v_cvt_f32_i32_e32 v8, v14
	v_add_f32_e32 v5, v5, v7
	v_add_f32_e32 v5, v6, v5
	;; [unrolled: 1-line block ×4, first 2 shown]
	v_sub_f32_e32 v7, v6, v18
	v_mul_f32_e32 v5, v16, v5
	v_sub_f32_e32 v7, v17, v7
	v_add_f32_e32 v5, v7, v5
	v_add_f32_e32 v9, v6, v5
	v_mul_f32_e32 v10, v9, v9
	v_mov_b32_e32 v7, 0x3ecc95a3
	v_fmac_f32_e32 v7, 0x3e9b6dac, v10
	v_sub_f32_e32 v6, v9, v6
	v_fmaak_f32 v7, v10, v7, 0x3f2aaada
	v_sub_f32_e32 v5, v5, v6
	v_ldexp_f32 v11, v9, 1
	v_mul_f32_e32 v9, v9, v10
	v_mov_b32_e32 v6, 0x3f317218
	v_pk_mul_f32 v[6:7], v[8:9], v[6:7]
	v_ldexp_f32 v5, v5, 1
	v_fma_f32 v9, v8, s2, -v6
	v_fmamk_f32 v10, v8, 0xb102e308, v9
	v_pk_add_f32 v[8:9], v[6:7], v[10:11]
	v_mov_b32_e32 v12, v6
	v_sub_f32_e32 v11, v9, v11
	v_sub_f32_e32 v11, v7, v11
	v_add_f32_e32 v13, v5, v11
	v_pk_add_f32 v[6:7], v[8:9], v[6:7] neg_lo:[0,1] neg_hi:[0,1]
	v_pk_add_f32 v[14:15], v[8:9], v[12:13]
	v_mov_b32_e32 v11, v8
	v_mov_b32_e32 v7, v15
	v_pk_add_f32 v[16:17], v[10:11], v[6:7] neg_lo:[0,1] neg_hi:[0,1]
	v_pk_add_f32 v[6:7], v[10:11], v[6:7]
	v_mov_b32_e32 v12, v13
	v_pk_add_f32 v[10:11], v[6:7], v[8:9] op_sel:[1,0] op_sel_hi:[0,1] neg_lo:[0,1] neg_hi:[0,1]
	v_pk_add_f32 v[18:19], v[14:15], v[10:11] op_sel_hi:[1,0] neg_lo:[0,1] neg_hi:[0,1]
	v_mov_b32_e32 v14, v15
	v_mov_b32_e32 v15, v7
	v_pk_mov_b32 v[10:11], v[8:9], v[10:11] op_sel:[1,0]
	v_mov_b32_e32 v13, v8
	v_pk_add_f32 v[10:11], v[14:15], v[10:11] neg_lo:[0,1] neg_hi:[0,1]
	v_mov_b32_e32 v18, v16
	v_pk_add_f32 v[8:9], v[12:13], v[10:11] neg_lo:[0,1] neg_hi:[0,1]
	v_mov_b32_e32 v17, v7
	v_pk_add_f32 v[10:11], v[18:19], v[8:9]
	s_mov_b32 s2, 0x7f800000
	v_pk_add_f32 v[12:13], v[10:11], v[10:11] op_sel:[0,1] op_sel_hi:[1,0]
	v_cmp_neq_f32_e32 vcc, s2, v4
	v_pk_add_f32 v[6:7], v[6:7], v[12:13] op_sel:[1,0] op_sel_hi:[0,1]
	v_mov_b32_e32 v11, v6
	v_pk_add_f32 v[14:15], v[10:11], v[16:17] neg_lo:[0,1] neg_hi:[0,1]
	v_mov_b32_e32 v9, v12
	v_sub_f32_e32 v5, v10, v14
	v_pk_add_f32 v[8:9], v[8:9], v[14:15] neg_lo:[0,1] neg_hi:[0,1]
	v_sub_f32_e32 v5, v16, v5
	v_add_f32_e32 v5, v8, v5
	v_add_f32_e32 v5, v5, v9
	;; [unrolled: 1-line block ×3, first 2 shown]
	v_mov_b32_e32 v6, 0x7f800000
	s_mov_b32 s2, 0x33800000
	v_cndmask_b32_e32 v5, v6, v5, vcc
	v_cmp_lt_f32_e64 vcc, |v4|, s2
	v_cmp_gt_i32_e64 s[2:3], 0, v0
	s_nop 0
	v_cndmask_b32_e32 v4, v5, v4, vcc
	v_mul_f32_e32 v6, 0.5, v4
	v_max_f32_e64 v4, |v1|, |v1|
	v_max_f32_e64 v5, |v0|, |v0|
	v_min_f32_e32 v7, v5, v4
	v_max_f32_e32 v4, v5, v4
	v_frexp_mant_f32_e32 v5, v4
	v_rcp_f32_e32 v5, v5
	v_frexp_exp_i32_f32_e32 v4, v4
	v_frexp_exp_i32_f32_e32 v8, v7
	v_frexp_mant_f32_e32 v7, v7
	v_mul_f32_e32 v5, v7, v5
	v_sub_u32_e32 v4, v8, v4
	v_ldexp_f32 v4, v5, v4
	v_mul_f32_e32 v5, v4, v4
	v_mov_b32_e32 v7, 0xbc7a590c
	v_fmac_f32_e32 v7, 0x3b2d2a58, v5
	v_fmaak_f32 v7, v5, v7, 0x3d29fb3f
	v_fmaak_f32 v7, v5, v7, 0xbd97d4d7
	;; [unrolled: 1-line block ×6, first 2 shown]
	v_mul_f32_e32 v5, v5, v7
	v_fmac_f32_e32 v4, v4, v5
	v_sub_f32_e32 v5, 0x3fc90fdb, v4
	v_cndmask_b32_e64 v4, v4, v5, s[0:1]
	v_sub_f32_e32 v5, 0x40490fdb, v4
	v_cmp_gt_f32_e32 vcc, 0, v0
	v_mov_b32_e32 v7, 0x4016cbe4
	s_nop 0
	v_cndmask_b32_e32 v4, v4, v5, vcc
	v_mov_b32_e32 v5, 0x40490fdb
	v_cndmask_b32_e64 v5, 0, v5, s[2:3]
	v_cmp_eq_f32_e64 s[2:3], 0, v1
	s_nop 1
	v_cndmask_b32_e64 v4, v4, v5, s[2:3]
	v_mov_b32_e32 v5, 0x3f490fdb
	v_cmp_class_f32_e64 s[2:3], v0, s12
	v_cmp_class_f32_e64 s[12:13], v1, s12
	v_cndmask_b32_e32 v5, v5, v7, vcc
	s_and_b64 vcc, s[2:3], s[12:13]
	v_cndmask_b32_e32 v7, v4, v5, vcc
                                        ; implicit-def: $vgpr4
.LBB57_21:
	s_andn2_saveexec_b64 s[10:11], s[10:11]
	s_cbranch_execz .LBB57_23
; %bb.22:
	v_mul_f32_e32 v5, 0.5, v4
	v_mul_f32_e32 v6, v4, v5
	v_max_f32_e64 v4, |v1|, |v1|
	v_max_f32_e64 v5, |v0|, |v0|
	v_min_f32_e32 v7, v5, v4
	v_max_f32_e32 v4, v5, v4
	v_frexp_mant_f32_e32 v5, v4
	v_rcp_f32_e32 v5, v5
	v_frexp_exp_i32_f32_e32 v4, v4
	v_frexp_exp_i32_f32_e32 v8, v7
	v_frexp_mant_f32_e32 v7, v7
	v_mul_f32_e32 v5, v7, v5
	v_sub_u32_e32 v4, v8, v4
	v_ldexp_f32 v4, v5, v4
	v_mul_f32_e32 v5, v4, v4
	v_mov_b32_e32 v7, 0xbc7a590c
	v_fmac_f32_e32 v7, 0x3b2d2a58, v5
	v_fmaak_f32 v7, v5, v7, 0x3d29fb3f
	v_fmaak_f32 v7, v5, v7, 0xbd97d4d7
	;; [unrolled: 1-line block ×6, first 2 shown]
	v_mul_f32_e32 v5, v5, v7
	v_fmac_f32_e32 v4, v4, v5
	v_sub_f32_e32 v5, 0x3fc90fdb, v4
	v_cndmask_b32_e64 v4, v4, v5, s[0:1]
	v_sub_f32_e32 v5, 0x40490fdb, v4
	v_cmp_gt_f32_e32 vcc, 0, v0
	v_cmp_gt_i32_e64 s[2:3], 0, v0
	s_movk_i32 s12, 0x204
	v_cndmask_b32_e32 v4, v4, v5, vcc
	v_mov_b32_e32 v5, 0x40490fdb
	v_cndmask_b32_e64 v5, 0, v5, s[2:3]
	v_cmp_eq_f32_e64 s[2:3], 0, v1
	v_mov_b32_e32 v7, 0x4016cbe4
	s_nop 0
	v_cndmask_b32_e64 v4, v4, v5, s[2:3]
	v_mov_b32_e32 v5, 0x3f490fdb
	v_cmp_class_f32_e64 s[2:3], v0, s12
	v_cmp_class_f32_e64 s[12:13], v1, s12
	v_cndmask_b32_e32 v5, v5, v7, vcc
	s_and_b64 vcc, s[2:3], s[12:13]
	v_cndmask_b32_e32 v7, v4, v5, vcc
.LBB57_23:
	s_or_b64 exec, exec, s[10:11]
.LBB57_24:
	s_or_b64 exec, exec, s[8:9]
.LBB57_25:
	s_andn2_saveexec_b64 s[6:7], s[6:7]
	s_cbranch_execz .LBB57_27
; %bb.26:
	s_mov_b32 s8, 0x402df854
	v_div_scale_f32 v4, s[2:3], s8, s8, v0
	v_rcp_f32_e32 v5, v4
	v_div_scale_f32 v6, vcc, v0, s8, v0
	v_fma_f32 v7, -v4, v5, 1.0
	v_fmac_f32_e32 v5, v7, v5
	v_mul_f32_e32 v7, v6, v5
	v_fma_f32 v8, -v4, v7, v6
	v_fmac_f32_e32 v7, v8, v5
	v_fma_f32 v4, -v4, v7, v6
	v_div_scale_f32 v6, s[2:3], s8, s8, v1
	v_rcp_f32_e32 v8, v6
	v_div_fmas_f32 v4, v4, v5, v7
	v_div_fixup_f32 v7, v4, s8, v0
	s_mov_b32 s2, 0x7f800000
	v_fma_f32 v4, -v6, v8, 1.0
	v_fmac_f32_e32 v8, v4, v8
	v_div_scale_f32 v4, vcc, v1, s8, v1
	v_mul_f32_e32 v5, v4, v8
	v_fma_f32 v9, -v6, v5, v4
	v_fmac_f32_e32 v5, v9, v8
	v_fma_f32 v4, -v6, v5, v4
	v_div_fmas_f32 v4, v4, v8, v5
	v_div_fixup_f32 v6, v4, s8, v1
	v_max_f32_e64 v8, |v7|, |v6|
	v_cvt_f64_f32_e32 v[4:5], v8
	v_frexp_exp_i32_f64_e32 v4, v[4:5]
	v_sub_u32_e32 v5, 0, v4
	v_ldexp_f32 v7, |v7|, v5
	v_ldexp_f32 v5, |v6|, v5
	v_mul_f32_e32 v5, v5, v5
	v_fmac_f32_e32 v5, v7, v7
	v_sqrt_f32_e32 v5, v5
	v_cmp_neq_f32_e32 vcc, s2, v8
	s_mov_b32 s3, 0x800000
	v_ldexp_f32 v4, v5, v4
	v_mov_b32_e32 v5, 0x7f800000
	v_cndmask_b32_e32 v4, v5, v4, vcc
	v_cmp_gt_f32_e32 vcc, s3, v4
	s_mov_b32 s3, 0x3f317217
	s_nop 0
	v_cndmask_b32_e64 v5, 0, 32, vcc
	v_ldexp_f32 v4, v4, v5
	v_log_f32_e32 v4, v4
	s_nop 0
	v_mul_f32_e32 v5, 0x3f317217, v4
	v_fma_f32 v5, v4, s3, -v5
	v_fmamk_f32 v5, v4, 0x3377d1cf, v5
	v_fmac_f32_e32 v5, 0x3f317217, v4
	v_cmp_lt_f32_e64 s[2:3], |v4|, s2
	s_nop 1
	v_cndmask_b32_e64 v4, v4, v5, s[2:3]
	v_mov_b32_e32 v5, 0x41b17218
	v_cndmask_b32_e32 v5, 0, v5, vcc
	v_sub_f32_e32 v4, v4, v5
	v_add_f32_e32 v6, 1.0, v4
	v_max_f32_e64 v4, |v1|, |v1|
	v_max_f32_e64 v5, |v0|, |v0|
	v_min_f32_e32 v7, v5, v4
	v_max_f32_e32 v4, v5, v4
	v_frexp_mant_f32_e32 v5, v4
	v_rcp_f32_e32 v5, v5
	v_frexp_exp_i32_f32_e32 v4, v4
	v_frexp_exp_i32_f32_e32 v8, v7
	v_frexp_mant_f32_e32 v7, v7
	v_mul_f32_e32 v5, v7, v5
	v_sub_u32_e32 v4, v8, v4
	v_ldexp_f32 v4, v5, v4
	v_mul_f32_e32 v5, v4, v4
	v_mov_b32_e32 v7, 0xbc7a590c
	v_fmac_f32_e32 v7, 0x3b2d2a58, v5
	v_fmaak_f32 v7, v5, v7, 0x3d29fb3f
	v_fmaak_f32 v7, v5, v7, 0xbd97d4d7
	;; [unrolled: 1-line block ×6, first 2 shown]
	v_mul_f32_e32 v5, v5, v7
	v_fmac_f32_e32 v4, v4, v5
	v_sub_f32_e32 v5, 0x3fc90fdb, v4
	v_cndmask_b32_e64 v4, v4, v5, s[0:1]
	v_sub_f32_e32 v5, 0x40490fdb, v4
	v_cmp_gt_f32_e32 vcc, 0, v0
	v_cmp_gt_i32_e64 s[0:1], 0, v0
	s_movk_i32 s2, 0x204
	v_cndmask_b32_e32 v4, v4, v5, vcc
	v_mov_b32_e32 v5, 0x40490fdb
	v_cndmask_b32_e64 v5, 0, v5, s[0:1]
	v_cmp_eq_f32_e64 s[0:1], 0, v1
	v_mov_b32_e32 v7, 0x4016cbe4
	s_nop 0
	v_cndmask_b32_e64 v4, v4, v5, s[0:1]
	v_mov_b32_e32 v5, 0x3f490fdb
	v_cmp_class_f32_e64 s[0:1], v0, s2
	v_cmp_class_f32_e64 s[2:3], v1, s2
	v_cndmask_b32_e32 v5, v5, v7, vcc
	s_and_b64 vcc, s[0:1], s[2:3]
	v_cndmask_b32_e32 v7, v4, v5, vcc
.LBB57_27:
	s_or_b64 exec, exec, s[6:7]
.LBB57_28:
	s_andn2_saveexec_b64 s[2:3], s[4:5]
	s_cbranch_execz .LBB57_34
; %bb.29:
	s_brev_b32 s4, 4
	v_cmp_nlt_f32_e64 s[0:1], |v0|, s4
	v_cmp_nlt_f32_e64 s[4:5], |v1|, s4
	s_or_b64 s[0:1], s[0:1], s[4:5]
                                        ; implicit-def: $vgpr4
	s_and_saveexec_b64 s[4:5], s[0:1]
	s_xor_b64 s[0:1], exec, s[4:5]
; %bb.30:
	v_pk_mul_f32 v[4:5], v[0:1], v[0:1]
	s_nop 0
	v_add_f32_e32 v4, v4, v5
; %bb.31:
	s_andn2_saveexec_b64 s[0:1], s[0:1]
; %bb.32:
	v_pk_mul_f32 v[4:5], v[0:1], 4.0 op_sel_hi:[1,0]
	s_nop 0
	v_pk_mul_f32 v[4:5], v[4:5], v[4:5]
	s_nop 0
	v_add_f32_e32 v0, v4, v5
	v_mul_f32_e32 v4, 0x3d800000, v0
; %bb.33:
	s_or_b64 exec, exec, s[0:1]
	s_mov_b32 s0, 0x800000
	v_cmp_gt_f32_e32 vcc, s0, v4
	s_mov_b32 s0, 0x3f317217
	s_mov_b32 s1, 0x7f800000
	v_cndmask_b32_e64 v0, 0, 32, vcc
	v_ldexp_f32 v0, v4, v0
	v_log_f32_e32 v0, v0
	v_mov_b32_e32 v7, 0x7fc00000
	v_mul_f32_e32 v4, 0x3f317217, v0
	v_fma_f32 v4, v0, s0, -v4
	v_fmamk_f32 v4, v0, 0x3377d1cf, v4
	v_fmac_f32_e32 v4, 0x3f317217, v0
	v_cmp_lt_f32_e64 s[0:1], |v0|, s1
	s_nop 1
	v_cndmask_b32_e64 v0, v0, v4, s[0:1]
	v_mov_b32_e32 v4, 0x41b17218
	v_cndmask_b32_e32 v4, 0, v4, vcc
	v_sub_f32_e32 v6, v0, v4
.LBB57_34:
	s_or_b64 exec, exec, s[2:3]
	s_brev_b32 s0, -2
	v_bfi_b32 v0, s0, v7, v1
	v_mul_f32_e32 v1, v6, v3
	v_mul_f32_e64 v4, v3, -v0
	v_fmac_f32_e32 v1, v2, v0
	v_fmac_f32_e32 v4, v2, v6
	v_and_b32_e32 v2, 0x7fffffff, v1
	v_cmp_ne_u32_e32 vcc, 0, v2
                                        ; implicit-def: $vgpr0
	s_and_saveexec_b64 s[0:1], vcc
	s_xor_b64 s[6:7], exec, s[0:1]
	s_cbranch_execz .LBB57_40
; %bb.35:
	v_and_b32_e32 v3, 0x7fffffff, v4
	v_cmp_ne_u32_e32 vcc, 0, v3
                                        ; implicit-def: $vgpr0
	s_and_saveexec_b64 s[0:1], vcc
	s_xor_b64 s[8:9], exec, s[0:1]
	s_cbranch_execz .LBB57_67
; %bb.36:
	s_mov_b32 s0, 0x7f800000
	v_cmp_gt_u32_e32 vcc, s0, v2
                                        ; implicit-def: $vgpr0
	s_and_saveexec_b64 s[0:1], vcc
	s_xor_b64 s[10:11], exec, s[0:1]
	s_cbranch_execz .LBB57_60
; %bb.37:
	v_add_u32_e32 v0, 0xbd4e8de8, v4
	s_mov_b32 s0, 0x8e8e5c
	v_cmp_lt_u32_e32 vcc, s0, v0
                                        ; implicit-def: $vgpr0
	s_and_saveexec_b64 s[0:1], vcc
	s_xor_b64 s[12:13], exec, s[0:1]
	s_cbranch_execz .LBB57_49
; %bb.38:
	s_brev_b32 s0, 18
	v_cmp_nlt_f32_e64 s[14:15], |v1|, s0
                                        ; implicit-def: $vgpr0
                                        ; implicit-def: $vgpr3
	s_and_saveexec_b64 s[0:1], s[14:15]
	s_xor_b64 s[16:17], exec, s[0:1]
	s_cbranch_execz .LBB57_42
; %bb.39:
	v_lshrrev_b32_e32 v0, 23, v2
	v_add_u32_e32 v0, 0xffffff88, v0
	v_not_b32_e32 v3, 63
	v_cmp_lt_u32_e32 vcc, 63, v0
	s_mov_b32 s4, 0xfe5163ab
	v_mov_b32_e32 v9, 0
	v_cndmask_b32_e32 v3, 0, v3, vcc
	v_add_u32_e32 v0, v3, v0
	v_not_b32_e32 v3, 31
	v_cmp_lt_u32_e64 s[0:1], 31, v0
	s_nop 1
	v_cndmask_b32_e64 v5, 0, v3, s[0:1]
	v_add_u32_e32 v0, v5, v0
	v_cmp_lt_u32_e64 s[2:3], 31, v0
	s_nop 1
	v_cndmask_b32_e64 v3, 0, v3, s[2:3]
	v_add_u32_e32 v0, v3, v0
	v_and_b32_e32 v3, 0x7fffff, v2
	v_or_b32_e32 v3, 0x800000, v3
	v_mad_u64_u32 v[6:7], s[4:5], v3, s4, 0
	v_mov_b32_e32 v8, v7
	s_mov_b32 s4, 0x3c439041
	v_mad_u64_u32 v[10:11], s[4:5], v3, s4, v[8:9]
	v_mov_b32_e32 v8, v11
	s_mov_b32 s4, 0xdb629599
	v_mad_u64_u32 v[12:13], s[4:5], v3, s4, v[8:9]
	v_mov_b32_e32 v8, v13
	s_mov_b32 s4, 0xf534ddc0
	v_mad_u64_u32 v[14:15], s[4:5], v3, s4, v[8:9]
	v_mov_b32_e32 v8, v15
	s_mov_b32 s4, 0xfc2757d1
	v_mad_u64_u32 v[16:17], s[4:5], v3, s4, v[8:9]
	v_mov_b32_e32 v8, v17
	s_mov_b32 s4, 0x4e441529
	v_mad_u64_u32 v[18:19], s[4:5], v3, s4, v[8:9]
	v_mov_b32_e32 v8, v19
	s_mov_b32 s4, 0xa2f9836e
	v_mad_u64_u32 v[8:9], s[4:5], v3, s4, v[8:9]
	v_cndmask_b32_e32 v5, v18, v14, vcc
	v_cndmask_b32_e32 v3, v8, v16, vcc
	;; [unrolled: 1-line block ×3, first 2 shown]
	v_cndmask_b32_e64 v7, v3, v5, s[0:1]
	v_cndmask_b32_e64 v3, v8, v3, s[0:1]
	v_cndmask_b32_e32 v8, v16, v12, vcc
	v_cndmask_b32_e64 v5, v5, v8, s[0:1]
	v_cndmask_b32_e64 v3, v3, v7, s[2:3]
	;; [unrolled: 1-line block ×3, first 2 shown]
	v_sub_u32_e32 v9, 32, v0
	v_alignbit_b32 v11, v3, v7, v9
	v_cmp_eq_u32_e64 s[4:5], 0, v0
	v_cndmask_b32_e32 v6, v12, v6, vcc
	s_nop 0
	v_cndmask_b32_e64 v0, v11, v3, s[4:5]
	v_cndmask_b32_e32 v3, v14, v10, vcc
	v_cndmask_b32_e64 v8, v8, v3, s[0:1]
	v_cndmask_b32_e64 v5, v5, v8, s[2:3]
	v_alignbit_b32 v10, v7, v5, v9
	v_cndmask_b32_e64 v3, v3, v6, s[0:1]
	v_cndmask_b32_e64 v7, v10, v7, s[4:5]
	v_bfe_u32 v13, v0, 29, 1
	v_cndmask_b32_e64 v3, v8, v3, s[2:3]
	v_alignbit_b32 v10, v0, v7, 30
	v_sub_u32_e32 v14, 0, v13
	v_alignbit_b32 v6, v5, v3, v9
	v_xor_b32_e32 v10, v10, v14
	v_cndmask_b32_e64 v5, v6, v5, s[4:5]
	v_alignbit_b32 v6, v7, v5, 30
	v_ffbh_u32_e32 v7, v10
	v_min_u32_e32 v7, 32, v7
	v_alignbit_b32 v3, v5, v3, 30
	v_xor_b32_e32 v6, v6, v14
	v_sub_u32_e32 v8, 31, v7
	v_xor_b32_e32 v3, v3, v14
	v_alignbit_b32 v9, v10, v6, v8
	v_alignbit_b32 v3, v6, v3, v8
	;; [unrolled: 1-line block ×3, first 2 shown]
	v_ffbh_u32_e32 v6, v5
	v_min_u32_e32 v6, 32, v6
	v_lshrrev_b32_e32 v11, 29, v0
	v_not_b32_e32 v8, v6
	v_alignbit_b32 v3, v5, v3, v8
	v_lshlrev_b32_e32 v5, 31, v11
	v_or_b32_e32 v8, 0x33000000, v5
	v_add_lshl_u32 v6, v6, v7, 23
	v_lshrrev_b32_e32 v3, 9, v3
	v_sub_u32_e32 v6, v8, v6
	v_or_b32_e32 v5, 0.5, v5
	v_lshlrev_b32_e32 v7, 23, v7
	v_or_b32_e32 v3, v6, v3
	v_lshrrev_b32_e32 v6, 9, v9
	v_sub_u32_e32 v5, v5, v7
	v_or_b32_e32 v5, v6, v5
	s_mov_b32 s0, 0x3fc90fda
	v_mul_f32_e32 v6, 0x3fc90fda, v5
	v_fma_f32 v7, v5, s0, -v6
	v_fmamk_f32 v5, v5, 0x33a22168, v7
	v_fmac_f32_e32 v5, 0x3fc90fda, v3
	v_lshrrev_b32_e32 v0, 30, v0
	v_add_f32_e32 v3, v6, v5
	v_add_u32_e32 v0, v13, v0
	s_andn2_saveexec_b64 s[0:1], s[16:17]
	s_cbranch_execz .LBB57_44
	s_branch .LBB57_43
.LBB57_40:
	s_andn2_saveexec_b64 s[0:1], s[6:7]
	s_cbranch_execz .LBB57_78
.LBB57_41:
	v_mul_f32_e32 v0, 0x3fb8aa3b, v4
	s_mov_b32 s2, 0x3fb8aa3b
	v_rndne_f32_e32 v2, v0
	v_sub_f32_e32 v3, v0, v2
	v_fma_f32 v0, v4, s2, -v0
	v_fmamk_f32 v0, v4, 0x32a5705f, v0
	v_add_f32_e32 v0, v3, v0
	v_exp_f32_e32 v0, v0
	v_cvt_i32_f32_e32 v2, v2
	s_mov_b32 s2, 0xc2ce8ed0
	v_cmp_ngt_f32_e32 vcc, s2, v4
	s_mov_b32 s2, 0x42b17218
	v_ldexp_f32 v0, v0, v2
	v_cndmask_b32_e32 v0, 0, v0, vcc
	v_mov_b32_e32 v2, 0x7f800000
	v_cmp_nlt_f32_e32 vcc, s2, v4
	s_nop 1
	v_cndmask_b32_e32 v0, v2, v0, vcc
	s_or_b64 exec, exec, s[0:1]
	s_setpc_b64 s[30:31]
.LBB57_42:
	s_andn2_saveexec_b64 s[0:1], s[16:17]
	s_cbranch_execz .LBB57_44
.LBB57_43:
	s_mov_b32 s2, 0x3f22f983
	v_mul_f32_e64 v0, |v1|, s2
	v_rndne_f32_e32 v3, v0
	s_mov_b32 s2, 0xbfc90fda
	v_cvt_i32_f32_e32 v0, v3
	v_fma_f32 v5, v3, s2, |v1|
	v_fmamk_f32 v5, v3, 0xb3a22168, v5
	v_fmamk_f32 v3, v3, 0xa7c234c4, v5
.LBB57_44:
	s_or_b64 exec, exec, s[0:1]
                                        ; implicit-def: $vgpr5
                                        ; implicit-def: $vgpr6
	s_and_saveexec_b64 s[0:1], s[14:15]
	s_xor_b64 s[14:15], exec, s[0:1]
	s_cbranch_execz .LBB57_46
; %bb.45:
	v_lshrrev_b32_e32 v5, 23, v2
	v_add_u32_e32 v5, 0xffffff88, v5
	v_not_b32_e32 v6, 63
	v_cmp_lt_u32_e32 vcc, 63, v5
	s_mov_b32 s4, 0xfe5163ab
	v_mov_b32_e32 v9, 0
	v_cndmask_b32_e32 v6, 0, v6, vcc
	v_add_u32_e32 v5, v6, v5
	v_not_b32_e32 v6, 31
	v_cmp_lt_u32_e64 s[0:1], 31, v5
	s_nop 1
	v_cndmask_b32_e64 v7, 0, v6, s[0:1]
	v_add_u32_e32 v5, v7, v5
	v_cmp_lt_u32_e64 s[2:3], 31, v5
	s_nop 1
	v_cndmask_b32_e64 v6, 0, v6, s[2:3]
	v_add_u32_e32 v5, v6, v5
	v_and_b32_e32 v6, 0x7fffff, v2
	v_or_b32_e32 v20, 0x800000, v6
	v_mad_u64_u32 v[6:7], s[4:5], v20, s4, 0
	v_mov_b32_e32 v8, v7
	s_mov_b32 s4, 0x3c439041
	v_mad_u64_u32 v[10:11], s[4:5], v20, s4, v[8:9]
	v_mov_b32_e32 v8, v11
	s_mov_b32 s4, 0xdb629599
	;; [unrolled: 3-line block ×6, first 2 shown]
	v_mad_u64_u32 v[8:9], s[4:5], v20, s4, v[8:9]
	v_cndmask_b32_e32 v7, v18, v14, vcc
	v_cndmask_b32_e32 v8, v8, v16, vcc
	;; [unrolled: 1-line block ×3, first 2 shown]
	v_cndmask_b32_e64 v11, v8, v7, s[0:1]
	v_cndmask_b32_e64 v8, v9, v8, s[0:1]
	v_cndmask_b32_e32 v9, v16, v12, vcc
	v_cndmask_b32_e64 v7, v7, v9, s[0:1]
	v_cndmask_b32_e64 v8, v8, v11, s[2:3]
	;; [unrolled: 1-line block ×3, first 2 shown]
	v_sub_u32_e32 v13, 32, v5
	v_alignbit_b32 v15, v8, v11, v13
	v_cmp_eq_u32_e64 s[4:5], 0, v5
	v_cndmask_b32_e32 v6, v12, v6, vcc
	s_nop 0
	v_cndmask_b32_e64 v5, v15, v8, s[4:5]
	v_cndmask_b32_e32 v8, v14, v10, vcc
	v_cndmask_b32_e64 v9, v9, v8, s[0:1]
	v_cndmask_b32_e64 v7, v7, v9, s[2:3]
	v_alignbit_b32 v10, v11, v7, v13
	v_cndmask_b32_e64 v10, v10, v11, s[4:5]
	v_bfe_u32 v15, v5, 29, 1
	v_cndmask_b32_e64 v6, v8, v6, s[0:1]
	v_alignbit_b32 v11, v5, v10, 30
	v_sub_u32_e32 v16, 0, v15
	v_cndmask_b32_e64 v6, v9, v6, s[2:3]
	v_xor_b32_e32 v11, v11, v16
	v_alignbit_b32 v8, v7, v6, v13
	v_cndmask_b32_e64 v7, v8, v7, s[4:5]
	v_ffbh_u32_e32 v9, v11
	v_alignbit_b32 v8, v10, v7, 30
	v_min_u32_e32 v9, 32, v9
	v_alignbit_b32 v6, v7, v6, 30
	v_xor_b32_e32 v8, v8, v16
	v_sub_u32_e32 v10, 31, v9
	v_xor_b32_e32 v6, v6, v16
	v_alignbit_b32 v11, v11, v8, v10
	v_alignbit_b32 v6, v8, v6, v10
	;; [unrolled: 1-line block ×3, first 2 shown]
	v_ffbh_u32_e32 v8, v7
	v_min_u32_e32 v8, 32, v8
	v_lshrrev_b32_e32 v14, 29, v5
	v_not_b32_e32 v10, v8
	v_alignbit_b32 v6, v7, v6, v10
	v_lshlrev_b32_e32 v7, 31, v14
	v_or_b32_e32 v10, 0x33000000, v7
	v_add_lshl_u32 v8, v8, v9, 23
	v_lshrrev_b32_e32 v6, 9, v6
	v_sub_u32_e32 v8, v10, v8
	v_or_b32_e32 v7, 0.5, v7
	v_lshlrev_b32_e32 v9, 23, v9
	v_or_b32_e32 v6, v8, v6
	v_lshrrev_b32_e32 v8, 9, v11
	v_sub_u32_e32 v7, v7, v9
	v_or_b32_e32 v7, v8, v7
	s_mov_b32 s0, 0x3fc90fda
	v_mul_f32_e32 v8, 0x3fc90fda, v7
	v_fma_f32 v9, v7, s0, -v8
	v_fmamk_f32 v7, v7, 0x33a22168, v9
	v_fmac_f32_e32 v7, 0x3fc90fda, v6
	v_lshrrev_b32_e32 v5, 30, v5
	v_add_f32_e32 v6, v8, v7
	v_add_u32_e32 v5, v15, v5
	s_andn2_saveexec_b64 s[0:1], s[14:15]
	s_cbranch_execnz .LBB57_47
	s_branch .LBB57_48
.LBB57_46:
	s_andn2_saveexec_b64 s[0:1], s[14:15]
	s_cbranch_execz .LBB57_48
.LBB57_47:
	s_mov_b32 s2, 0x3f22f983
	v_mul_f32_e64 v5, |v1|, s2
	v_rndne_f32_e32 v6, v5
	s_mov_b32 s2, 0xbfc90fda
	v_cvt_i32_f32_e32 v5, v6
	v_fma_f32 v7, v6, s2, |v1|
	v_fmamk_f32 v7, v6, 0xb3a22168, v7
	v_fmamk_f32 v6, v6, 0xa7c234c4, v7
.LBB57_48:
	s_or_b64 exec, exec, s[0:1]
	v_mul_f32_e32 v7, 0x3fb8aa3b, v4
	s_mov_b32 s0, 0x3fb8aa3b
	v_rndne_f32_e32 v8, v7
	v_sub_f32_e32 v9, v7, v8
	v_fma_f32 v7, v4, s0, -v7
	v_fmamk_f32 v7, v4, 0x32a5705f, v7
	v_add_f32_e32 v7, v9, v7
	v_exp_f32_e32 v7, v7
	v_cvt_i32_f32_e32 v8, v8
	s_mov_b32 s0, 0xc2ce8ed0
	v_cmp_ngt_f32_e32 vcc, s0, v4
	s_mov_b32 s0, 0x42b17218
	v_ldexp_f32 v7, v7, v8
	v_cndmask_b32_e32 v7, 0, v7, vcc
	v_mov_b32_e32 v8, 0x7f800000
	v_cmp_nlt_f32_e32 vcc, s0, v4
	v_mov_b32_e32 v10, 0xbe2aaa9d
	v_mov_b32_e32 v12, 0x3d2aabf7
	v_cndmask_b32_e32 v4, v8, v7, vcc
	v_mul_f32_e32 v7, v3, v3
	v_mov_b32_e32 v8, 0x3c0881c4
	v_fmamk_f32 v9, v7, 0xb94c1982, v8
	v_fmaak_f32 v9, v7, v9, 0xbe2aaa9d
	v_mul_f32_e32 v9, v7, v9
	v_fmac_f32_e32 v3, v3, v9
	v_mov_b32_e32 v9, 0xbab64f3b
	v_fmamk_f32 v11, v7, 0x37d75334, v9
	v_fmaak_f32 v11, v7, v11, 0x3d2aabf7
	v_fmaak_f32 v11, v7, v11, 0xbf000004
	v_fma_f32 v7, v7, v11, 1.0
	v_and_b32_e32 v11, 1, v0
	v_cmp_eq_u32_e32 vcc, 0, v11
	v_mov_b32_e32 v13, 0xbf000004
	v_lshlrev_b32_e32 v0, 30, v0
	v_cndmask_b32_e64 v3, -v3, v7, vcc
	v_mul_f32_e32 v7, v6, v6
	v_fmac_f32_e32 v8, 0xb94c1982, v7
	v_fmac_f32_e32 v10, v7, v8
	;; [unrolled: 1-line block ×3, first 2 shown]
	s_brev_b32 s0, 1
	v_mul_f32_e32 v8, v7, v10
	v_fmac_f32_e32 v12, v7, v9
	v_bitop3_b32 v0, v0, v3, s0 bitop3:0x6c
	s_movk_i32 s0, 0x1f8
	v_fmac_f32_e32 v6, v6, v8
	v_fmac_f32_e32 v13, v7, v12
	v_and_b32_e32 v8, 1, v5
	v_cmp_class_f32_e64 vcc, v1, s0
	v_fma_f32 v7, v7, v13, 1.0
	v_cmp_eq_u32_e64 s[0:1], 0, v8
	v_lshlrev_b32_e32 v5, 30, v5
	v_and_b32_e32 v5, 0x80000000, v5
	v_cndmask_b32_e64 v6, v7, v6, s[0:1]
	v_bitop3_b32 v2, v5, v6, v2 bitop3:0x36
	v_mov_b32_e32 v3, 0x7fc00000
	v_xor_b32_e32 v1, v2, v1
	v_cndmask_b32_e32 v0, v3, v0, vcc
	v_cndmask_b32_e32 v1, v3, v1, vcc
	v_mul_f32_e32 v0, v4, v0
	v_mul_f32_e32 v1, v4, v1
                                        ; implicit-def: $vgpr4
                                        ; implicit-def: $vgpr2
.LBB57_49:
	s_andn2_saveexec_b64 s[12:13], s[12:13]
	s_cbranch_execz .LBB57_52
; %bb.50:
	s_brev_b32 s0, 18
	v_cmp_nlt_f32_e64 s[14:15], |v1|, s0
                                        ; implicit-def: $vgpr3
                                        ; implicit-def: $vgpr0
	s_and_saveexec_b64 s[0:1], s[14:15]
	s_xor_b64 s[16:17], exec, s[0:1]
	s_cbranch_execz .LBB57_53
; %bb.51:
	v_lshrrev_b32_e32 v0, 23, v2
	v_add_u32_e32 v0, 0xffffff88, v0
	v_not_b32_e32 v3, 63
	v_cmp_lt_u32_e32 vcc, 63, v0
	s_mov_b32 s4, 0xfe5163ab
	v_mov_b32_e32 v9, 0
	v_cndmask_b32_e32 v3, 0, v3, vcc
	v_add_u32_e32 v0, v3, v0
	v_not_b32_e32 v3, 31
	v_cmp_lt_u32_e64 s[0:1], 31, v0
	s_nop 1
	v_cndmask_b32_e64 v5, 0, v3, s[0:1]
	v_add_u32_e32 v0, v5, v0
	v_cmp_lt_u32_e64 s[2:3], 31, v0
	s_nop 1
	v_cndmask_b32_e64 v3, 0, v3, s[2:3]
	v_add_u32_e32 v0, v3, v0
	v_and_b32_e32 v3, 0x7fffff, v2
	v_or_b32_e32 v3, 0x800000, v3
	v_mad_u64_u32 v[6:7], s[4:5], v3, s4, 0
	v_mov_b32_e32 v8, v7
	s_mov_b32 s4, 0x3c439041
	v_mad_u64_u32 v[10:11], s[4:5], v3, s4, v[8:9]
	v_mov_b32_e32 v8, v11
	s_mov_b32 s4, 0xdb629599
	;; [unrolled: 3-line block ×6, first 2 shown]
	v_mad_u64_u32 v[8:9], s[4:5], v3, s4, v[8:9]
	v_cndmask_b32_e32 v5, v18, v14, vcc
	v_cndmask_b32_e32 v3, v8, v16, vcc
	;; [unrolled: 1-line block ×3, first 2 shown]
	v_cndmask_b32_e64 v7, v3, v5, s[0:1]
	v_cndmask_b32_e64 v3, v8, v3, s[0:1]
	v_cndmask_b32_e32 v8, v16, v12, vcc
	v_cndmask_b32_e64 v5, v5, v8, s[0:1]
	v_sub_u32_e32 v9, 32, v0
	v_cmp_eq_u32_e64 s[4:5], 0, v0
	v_cndmask_b32_e32 v0, v14, v10, vcc
	v_cndmask_b32_e64 v3, v3, v7, s[2:3]
	v_cndmask_b32_e64 v7, v7, v5, s[2:3]
	;; [unrolled: 1-line block ×3, first 2 shown]
	v_alignbit_b32 v11, v3, v7, v9
	v_cndmask_b32_e64 v5, v5, v8, s[2:3]
	v_cndmask_b32_e32 v6, v12, v6, vcc
	v_cndmask_b32_e64 v3, v11, v3, s[4:5]
	v_alignbit_b32 v10, v7, v5, v9
	v_cndmask_b32_e64 v0, v0, v6, s[0:1]
	v_cndmask_b32_e64 v7, v10, v7, s[4:5]
	v_bfe_u32 v13, v3, 29, 1
	v_cndmask_b32_e64 v0, v8, v0, s[2:3]
	v_alignbit_b32 v10, v3, v7, 30
	v_sub_u32_e32 v14, 0, v13
	v_alignbit_b32 v6, v5, v0, v9
	v_xor_b32_e32 v10, v10, v14
	v_cndmask_b32_e64 v5, v6, v5, s[4:5]
	v_alignbit_b32 v6, v7, v5, 30
	v_ffbh_u32_e32 v7, v10
	v_min_u32_e32 v7, 32, v7
	v_alignbit_b32 v0, v5, v0, 30
	v_xor_b32_e32 v6, v6, v14
	v_sub_u32_e32 v8, 31, v7
	v_xor_b32_e32 v0, v0, v14
	v_alignbit_b32 v9, v10, v6, v8
	v_alignbit_b32 v0, v6, v0, v8
	;; [unrolled: 1-line block ×3, first 2 shown]
	v_ffbh_u32_e32 v6, v5
	v_min_u32_e32 v6, 32, v6
	v_lshrrev_b32_e32 v11, 29, v3
	v_not_b32_e32 v8, v6
	v_alignbit_b32 v0, v5, v0, v8
	v_lshlrev_b32_e32 v5, 31, v11
	v_or_b32_e32 v8, 0x33000000, v5
	v_add_lshl_u32 v6, v6, v7, 23
	v_lshrrev_b32_e32 v0, 9, v0
	v_sub_u32_e32 v6, v8, v6
	v_or_b32_e32 v5, 0.5, v5
	v_lshlrev_b32_e32 v7, 23, v7
	v_or_b32_e32 v0, v6, v0
	v_lshrrev_b32_e32 v6, 9, v9
	v_sub_u32_e32 v5, v5, v7
	v_or_b32_e32 v5, v6, v5
	s_mov_b32 s0, 0x3fc90fda
	v_mul_f32_e32 v6, 0x3fc90fda, v5
	v_fma_f32 v7, v5, s0, -v6
	v_fmamk_f32 v5, v5, 0x33a22168, v7
	v_fmac_f32_e32 v5, 0x3fc90fda, v0
	v_lshrrev_b32_e32 v3, 30, v3
	v_add_f32_e32 v0, v6, v5
	v_add_u32_e32 v3, v13, v3
	s_andn2_saveexec_b64 s[0:1], s[16:17]
	s_cbranch_execz .LBB57_55
	s_branch .LBB57_54
.LBB57_52:
	s_or_b64 exec, exec, s[12:13]
                                        ; implicit-def: $vgpr4
                                        ; implicit-def: $vgpr3
	s_andn2_saveexec_b64 s[0:1], s[10:11]
	s_cbranch_execnz .LBB57_61
	s_branch .LBB57_66
.LBB57_53:
	s_andn2_saveexec_b64 s[0:1], s[16:17]
	s_cbranch_execz .LBB57_55
.LBB57_54:
	s_mov_b32 s2, 0x3f22f983
	v_mul_f32_e64 v0, |v1|, s2
	v_rndne_f32_e32 v0, v0
	s_mov_b32 s2, 0xbfc90fda
	v_cvt_i32_f32_e32 v3, v0
	v_fma_f32 v5, v0, s2, |v1|
	v_fmamk_f32 v5, v0, 0xb3a22168, v5
	v_fmamk_f32 v0, v0, 0xa7c234c4, v5
.LBB57_55:
	s_or_b64 exec, exec, s[0:1]
                                        ; implicit-def: $vgpr5
                                        ; implicit-def: $vgpr6
	s_and_saveexec_b64 s[0:1], s[14:15]
	s_xor_b64 s[14:15], exec, s[0:1]
	s_cbranch_execz .LBB57_57
; %bb.56:
	v_lshrrev_b32_e32 v5, 23, v2
	v_add_u32_e32 v5, 0xffffff88, v5
	v_not_b32_e32 v6, 63
	v_cmp_lt_u32_e32 vcc, 63, v5
	s_mov_b32 s4, 0xfe5163ab
	v_mov_b32_e32 v9, 0
	v_cndmask_b32_e32 v6, 0, v6, vcc
	v_add_u32_e32 v5, v6, v5
	v_not_b32_e32 v6, 31
	v_cmp_lt_u32_e64 s[0:1], 31, v5
	s_nop 1
	v_cndmask_b32_e64 v7, 0, v6, s[0:1]
	v_add_u32_e32 v5, v7, v5
	v_cmp_lt_u32_e64 s[2:3], 31, v5
	s_nop 1
	v_cndmask_b32_e64 v6, 0, v6, s[2:3]
	v_add_u32_e32 v5, v6, v5
	v_and_b32_e32 v6, 0x7fffff, v2
	v_or_b32_e32 v20, 0x800000, v6
	v_mad_u64_u32 v[6:7], s[4:5], v20, s4, 0
	v_mov_b32_e32 v8, v7
	s_mov_b32 s4, 0x3c439041
	v_mad_u64_u32 v[10:11], s[4:5], v20, s4, v[8:9]
	v_mov_b32_e32 v8, v11
	s_mov_b32 s4, 0xdb629599
	;; [unrolled: 3-line block ×6, first 2 shown]
	v_mad_u64_u32 v[8:9], s[4:5], v20, s4, v[8:9]
	v_cndmask_b32_e32 v7, v18, v14, vcc
	v_cndmask_b32_e32 v8, v8, v16, vcc
	;; [unrolled: 1-line block ×3, first 2 shown]
	v_cndmask_b32_e64 v11, v8, v7, s[0:1]
	v_cndmask_b32_e64 v8, v9, v8, s[0:1]
	v_cndmask_b32_e32 v9, v16, v12, vcc
	v_cndmask_b32_e64 v7, v7, v9, s[0:1]
	v_cndmask_b32_e64 v8, v8, v11, s[2:3]
	;; [unrolled: 1-line block ×3, first 2 shown]
	v_sub_u32_e32 v13, 32, v5
	v_alignbit_b32 v15, v8, v11, v13
	v_cmp_eq_u32_e64 s[4:5], 0, v5
	v_cndmask_b32_e32 v6, v12, v6, vcc
	s_nop 0
	v_cndmask_b32_e64 v5, v15, v8, s[4:5]
	v_cndmask_b32_e32 v8, v14, v10, vcc
	v_cndmask_b32_e64 v9, v9, v8, s[0:1]
	v_cndmask_b32_e64 v7, v7, v9, s[2:3]
	v_alignbit_b32 v10, v11, v7, v13
	v_cndmask_b32_e64 v10, v10, v11, s[4:5]
	v_bfe_u32 v15, v5, 29, 1
	v_cndmask_b32_e64 v6, v8, v6, s[0:1]
	v_alignbit_b32 v11, v5, v10, 30
	v_sub_u32_e32 v16, 0, v15
	v_cndmask_b32_e64 v6, v9, v6, s[2:3]
	v_xor_b32_e32 v11, v11, v16
	v_alignbit_b32 v8, v7, v6, v13
	v_cndmask_b32_e64 v7, v8, v7, s[4:5]
	v_ffbh_u32_e32 v9, v11
	v_alignbit_b32 v8, v10, v7, 30
	v_min_u32_e32 v9, 32, v9
	v_alignbit_b32 v6, v7, v6, 30
	v_xor_b32_e32 v8, v8, v16
	v_sub_u32_e32 v10, 31, v9
	v_xor_b32_e32 v6, v6, v16
	v_alignbit_b32 v11, v11, v8, v10
	v_alignbit_b32 v6, v8, v6, v10
	;; [unrolled: 1-line block ×3, first 2 shown]
	v_ffbh_u32_e32 v8, v7
	v_min_u32_e32 v8, 32, v8
	v_lshrrev_b32_e32 v14, 29, v5
	v_not_b32_e32 v10, v8
	v_alignbit_b32 v6, v7, v6, v10
	v_lshlrev_b32_e32 v7, 31, v14
	v_or_b32_e32 v10, 0x33000000, v7
	v_add_lshl_u32 v8, v8, v9, 23
	v_lshrrev_b32_e32 v6, 9, v6
	v_sub_u32_e32 v8, v10, v8
	v_or_b32_e32 v7, 0.5, v7
	v_lshlrev_b32_e32 v9, 23, v9
	v_or_b32_e32 v6, v8, v6
	v_lshrrev_b32_e32 v8, 9, v11
	v_sub_u32_e32 v7, v7, v9
	v_or_b32_e32 v7, v8, v7
	s_mov_b32 s0, 0x3fc90fda
	v_mul_f32_e32 v8, 0x3fc90fda, v7
	v_fma_f32 v9, v7, s0, -v8
	v_fmamk_f32 v7, v7, 0x33a22168, v9
	v_fmac_f32_e32 v7, 0x3fc90fda, v6
	v_lshrrev_b32_e32 v5, 30, v5
	v_add_f32_e32 v6, v8, v7
	v_add_u32_e32 v5, v15, v5
	s_andn2_saveexec_b64 s[0:1], s[14:15]
	s_cbranch_execnz .LBB57_58
	s_branch .LBB57_59
.LBB57_57:
	s_andn2_saveexec_b64 s[0:1], s[14:15]
	s_cbranch_execz .LBB57_59
.LBB57_58:
	s_mov_b32 s2, 0x3f22f983
	v_mul_f32_e64 v5, |v1|, s2
	v_rndne_f32_e32 v6, v5
	s_mov_b32 s2, 0xbfc90fda
	v_cvt_i32_f32_e32 v5, v6
	v_fma_f32 v7, v6, s2, |v1|
	v_fmamk_f32 v7, v6, 0xb3a22168, v7
	v_fmamk_f32 v6, v6, 0xa7c234c4, v7
.LBB57_59:
	s_or_b64 exec, exec, s[0:1]
	v_mul_f32_e32 v8, v0, v0
	v_mov_b32_e32 v9, 0xbab64f3b
	v_fmamk_f32 v10, v8, 0x37d75334, v9
	v_mov_b32_e32 v13, 0x3c0881c4
	v_fmaak_f32 v10, v8, v10, 0x3d2aabf7
	v_fmamk_f32 v14, v8, 0xb94c1982, v13
	v_fmaak_f32 v10, v8, v10, 0xbf000004
	v_fmaak_f32 v14, v8, v14, 0xbe2aaa9d
	v_lshlrev_b32_e32 v7, 30, v3
	v_and_b32_e32 v3, 1, v3
	v_fma_f32 v10, v8, v10, 1.0
	v_mul_f32_e32 v8, v8, v14
	v_fmac_f32_e32 v0, v0, v8
	v_cmp_eq_u32_e32 vcc, 0, v3
	s_brev_b32 s1, 1
	v_add_f32_e32 v3, 0xc322e3bc, v4
	v_cndmask_b32_e64 v0, -v0, v10, vcc
	v_bitop3_b32 v0, v7, v0, s1 bitop3:0x6c
	s_mov_b32 s1, 0x3fb8aa3b
	v_mul_f32_e32 v4, 0x3fb8aa3b, v3
	v_fma_f32 v7, v3, s1, -v4
	v_rndne_f32_e32 v8, v4
	v_fmamk_f32 v7, v3, 0x32a5705f, v7
	v_sub_f32_e32 v4, v4, v8
	v_add_f32_e32 v4, v4, v7
	v_exp_f32_e32 v4, v4
	v_cvt_i32_f32_e32 v7, v8
	s_movk_i32 s0, 0x1f8
	v_cmp_class_f32_e64 vcc, v1, s0
	s_mov_b32 s0, 0xc2ce8ed0
	v_ldexp_f32 v4, v4, v7
	v_cmp_ngt_f32_e64 s[0:1], s0, v3
	v_mov_b32_e32 v7, 0x7f800000
	v_mov_b32_e32 v11, 0x3d2aabf7
	v_cndmask_b32_e64 v4, 0, v4, s[0:1]
	s_mov_b32 s0, 0x42b17218
	v_cmp_nlt_f32_e64 s[0:1], s0, v3
	v_mov_b32_e32 v15, 0xbe2aaa9d
	v_mov_b32_e32 v12, 0xbf000004
	v_cndmask_b32_e64 v3, v7, v4, s[0:1]
	v_and_b32_e32 v4, 0x7fffff, v3
	v_lshrrev_b32_e32 v3, 23, v3
	v_subrev_u32_e32 v3, 19, v3
	v_lshrrev_b16_e32 v7, 15, v3
	v_add_u16_e32 v7, v3, v7
	v_ashrrev_i16_e32 v7, 1, v7
	v_bfe_i32 v7, v7, 0, 16
	v_lshl_add_u32 v10, v7, 23, 1.0
	v_sub_u32_e32 v3, v3, v7
	v_mul_f32_e32 v7, v6, v6
	v_fmac_f32_e32 v13, 0xb94c1982, v7
	v_fmac_f32_e32 v9, 0x37d75334, v7
	;; [unrolled: 1-line block ×4, first 2 shown]
	v_mul_f32_e32 v13, v7, v15
	v_fmac_f32_e32 v12, v7, v11
	v_and_b32_e32 v9, 1, v5
	v_fmac_f32_e32 v6, v6, v13
	v_fma_f32 v7, v7, v12, 1.0
	v_cmp_eq_u32_e64 s[0:1], 0, v9
	v_lshlrev_b32_e32 v5, 30, v5
	v_and_b32_e32 v5, 0x80000000, v5
	v_cndmask_b32_e64 v6, v7, v6, s[0:1]
	v_bitop3_b32 v2, v5, v6, v2 bitop3:0x36
	v_mov_b32_e32 v8, 0x7fc00000
	v_xor_b32_e32 v1, v2, v1
	v_cndmask_b32_e32 v0, v8, v0, vcc
	v_or_b32_e32 v4, 0x7f000000, v4
	v_cndmask_b32_e32 v1, v8, v1, vcc
	v_mul_f32_e32 v0, v0, v4
	v_mul_f32_e32 v1, v1, v4
	;; [unrolled: 1-line block ×3, first 2 shown]
	v_lshl_add_u32 v3, v3, 23, 1.0
	v_mul_f32_e32 v1, v1, v10
	v_mul_f32_e32 v0, v0, v3
	;; [unrolled: 1-line block ×3, first 2 shown]
	s_or_b64 exec, exec, s[12:13]
                                        ; implicit-def: $vgpr4
                                        ; implicit-def: $vgpr3
.LBB57_60:
	s_andn2_saveexec_b64 s[0:1], s[10:11]
	s_cbranch_execz .LBB57_66
.LBB57_61:
	s_mov_b32 s2, 0x7f800000
	v_cmp_ne_u32_e32 vcc, s2, v3
	v_sub_f32_e32 v1, v1, v1
	s_and_saveexec_b64 s[2:3], vcc
	s_xor_b64 s[2:3], exec, s[2:3]
; %bb.62:
                                        ; implicit-def: $vgpr4
; %bb.63:
	s_or_saveexec_b64 s[2:3], s[2:3]
	v_mov_b32_e32 v0, v1
	s_xor_b64 exec, exec, s[2:3]
; %bb.64:
	v_cmp_lt_i32_e32 vcc, -1, v4
	s_nop 1
	v_cndmask_b32_e32 v0, 0, v4, vcc
	v_cndmask_b32_e32 v1, 0, v1, vcc
; %bb.65:
	s_or_b64 exec, exec, s[2:3]
.LBB57_66:
	s_or_b64 exec, exec, s[0:1]
                                        ; implicit-def: $vgpr2
.LBB57_67:
	s_andn2_saveexec_b64 s[8:9], s[8:9]
	s_cbranch_execz .LBB57_77
; %bb.68:
	s_brev_b32 s0, 18
	v_cmp_nlt_f32_e64 s[10:11], |v1|, s0
	v_lshrrev_b32_e32 v4, 23, v2
                                        ; implicit-def: $vgpr0
                                        ; implicit-def: $vgpr3
	s_and_saveexec_b64 s[0:1], s[10:11]
	s_xor_b64 s[12:13], exec, s[0:1]
	s_cbranch_execz .LBB57_70
; %bb.69:
	v_add_u32_e32 v0, 0xffffff88, v4
	v_not_b32_e32 v3, 63
	v_cmp_lt_u32_e32 vcc, 63, v0
	s_mov_b32 s4, 0xfe5163ab
	v_mov_b32_e32 v9, 0
	v_cndmask_b32_e32 v3, 0, v3, vcc
	v_add_u32_e32 v0, v3, v0
	v_not_b32_e32 v3, 31
	v_cmp_lt_u32_e64 s[0:1], 31, v0
	s_nop 1
	v_cndmask_b32_e64 v5, 0, v3, s[0:1]
	v_add_u32_e32 v0, v5, v0
	v_cmp_lt_u32_e64 s[2:3], 31, v0
	s_nop 1
	v_cndmask_b32_e64 v3, 0, v3, s[2:3]
	v_add_u32_e32 v0, v3, v0
	v_and_b32_e32 v3, 0x7fffff, v2
	v_or_b32_e32 v3, 0x800000, v3
	v_mad_u64_u32 v[6:7], s[4:5], v3, s4, 0
	v_mov_b32_e32 v8, v7
	s_mov_b32 s4, 0x3c439041
	v_mad_u64_u32 v[10:11], s[4:5], v3, s4, v[8:9]
	v_mov_b32_e32 v8, v11
	s_mov_b32 s4, 0xdb629599
	;; [unrolled: 3-line block ×6, first 2 shown]
	v_mad_u64_u32 v[8:9], s[4:5], v3, s4, v[8:9]
	v_cndmask_b32_e32 v5, v18, v14, vcc
	v_cndmask_b32_e32 v3, v8, v16, vcc
	;; [unrolled: 1-line block ×3, first 2 shown]
	v_cndmask_b32_e64 v7, v3, v5, s[0:1]
	v_cndmask_b32_e64 v3, v8, v3, s[0:1]
	v_cndmask_b32_e32 v8, v16, v12, vcc
	v_cndmask_b32_e64 v5, v5, v8, s[0:1]
	v_cndmask_b32_e64 v3, v3, v7, s[2:3]
	;; [unrolled: 1-line block ×3, first 2 shown]
	v_sub_u32_e32 v9, 32, v0
	v_alignbit_b32 v11, v3, v7, v9
	v_cmp_eq_u32_e64 s[4:5], 0, v0
	v_cndmask_b32_e32 v6, v12, v6, vcc
	s_nop 0
	v_cndmask_b32_e64 v0, v11, v3, s[4:5]
	v_cndmask_b32_e32 v3, v14, v10, vcc
	v_cndmask_b32_e64 v8, v8, v3, s[0:1]
	v_cndmask_b32_e64 v5, v5, v8, s[2:3]
	v_alignbit_b32 v10, v7, v5, v9
	v_cndmask_b32_e64 v3, v3, v6, s[0:1]
	v_cndmask_b32_e64 v7, v10, v7, s[4:5]
	v_bfe_u32 v13, v0, 29, 1
	v_cndmask_b32_e64 v3, v8, v3, s[2:3]
	v_alignbit_b32 v10, v0, v7, 30
	v_sub_u32_e32 v14, 0, v13
	v_alignbit_b32 v6, v5, v3, v9
	v_xor_b32_e32 v10, v10, v14
	v_cndmask_b32_e64 v5, v6, v5, s[4:5]
	v_alignbit_b32 v6, v7, v5, 30
	v_ffbh_u32_e32 v7, v10
	v_min_u32_e32 v7, 32, v7
	v_alignbit_b32 v3, v5, v3, 30
	v_xor_b32_e32 v6, v6, v14
	v_sub_u32_e32 v8, 31, v7
	v_xor_b32_e32 v3, v3, v14
	v_alignbit_b32 v9, v10, v6, v8
	v_alignbit_b32 v3, v6, v3, v8
	v_alignbit_b32 v5, v9, v3, 9
	v_ffbh_u32_e32 v6, v5
	v_min_u32_e32 v6, 32, v6
	v_lshrrev_b32_e32 v11, 29, v0
	v_not_b32_e32 v8, v6
	v_alignbit_b32 v3, v5, v3, v8
	v_lshlrev_b32_e32 v5, 31, v11
	v_or_b32_e32 v8, 0x33000000, v5
	v_add_lshl_u32 v6, v6, v7, 23
	v_lshrrev_b32_e32 v3, 9, v3
	v_sub_u32_e32 v6, v8, v6
	v_or_b32_e32 v5, 0.5, v5
	v_lshlrev_b32_e32 v7, 23, v7
	v_or_b32_e32 v3, v6, v3
	v_lshrrev_b32_e32 v6, 9, v9
	v_sub_u32_e32 v5, v5, v7
	v_or_b32_e32 v5, v6, v5
	s_mov_b32 s0, 0x3fc90fda
	v_mul_f32_e32 v6, 0x3fc90fda, v5
	v_fma_f32 v7, v5, s0, -v6
	v_fmamk_f32 v5, v5, 0x33a22168, v7
	v_fmac_f32_e32 v5, 0x3fc90fda, v3
	v_lshrrev_b32_e32 v0, 30, v0
	v_add_f32_e32 v3, v6, v5
	v_add_u32_e32 v0, v13, v0
	s_andn2_saveexec_b64 s[0:1], s[12:13]
	s_cbranch_execz .LBB57_72
	s_branch .LBB57_71
.LBB57_70:
	s_andn2_saveexec_b64 s[0:1], s[12:13]
	s_cbranch_execz .LBB57_72
.LBB57_71:
	s_mov_b32 s2, 0x3f22f983
	v_mul_f32_e64 v0, |v1|, s2
	v_rndne_f32_e32 v3, v0
	s_mov_b32 s2, 0xbfc90fda
	v_cvt_i32_f32_e32 v0, v3
	v_fma_f32 v5, v3, s2, |v1|
	v_fmamk_f32 v5, v3, 0xb3a22168, v5
	v_fmamk_f32 v3, v3, 0xa7c234c4, v5
.LBB57_72:
	s_or_b64 exec, exec, s[0:1]
                                        ; implicit-def: $vgpr5
                                        ; implicit-def: $vgpr6
	s_and_saveexec_b64 s[0:1], s[10:11]
	s_xor_b64 s[10:11], exec, s[0:1]
	s_cbranch_execz .LBB57_74
; %bb.73:
	v_add_u32_e32 v4, 0xffffff88, v4
	v_not_b32_e32 v5, 63
	v_cmp_lt_u32_e32 vcc, 63, v4
	s_mov_b32 s4, 0xfe5163ab
	v_mov_b32_e32 v7, 0
	v_cndmask_b32_e32 v5, 0, v5, vcc
	v_add_u32_e32 v4, v5, v4
	v_not_b32_e32 v5, 31
	v_cmp_lt_u32_e64 s[0:1], 31, v4
	s_nop 1
	v_cndmask_b32_e64 v6, 0, v5, s[0:1]
	v_add_u32_e32 v4, v6, v4
	v_cmp_lt_u32_e64 s[2:3], 31, v4
	s_nop 1
	v_cndmask_b32_e64 v5, 0, v5, s[2:3]
	v_add_u32_e32 v18, v5, v4
	v_and_b32_e32 v4, 0x7fffff, v2
	v_or_b32_e32 v19, 0x800000, v4
	v_mad_u64_u32 v[4:5], s[4:5], v19, s4, 0
	v_mov_b32_e32 v6, v5
	s_mov_b32 s4, 0x3c439041
	v_mad_u64_u32 v[8:9], s[4:5], v19, s4, v[6:7]
	v_mov_b32_e32 v6, v9
	s_mov_b32 s4, 0xdb629599
	;; [unrolled: 3-line block ×6, first 2 shown]
	v_mad_u64_u32 v[6:7], s[4:5], v19, s4, v[6:7]
	v_cndmask_b32_e32 v5, v16, v12, vcc
	v_cndmask_b32_e32 v6, v6, v14, vcc
	;; [unrolled: 1-line block ×3, first 2 shown]
	v_cndmask_b32_e64 v9, v6, v5, s[0:1]
	v_cndmask_b32_e64 v6, v7, v6, s[0:1]
	v_cndmask_b32_e32 v7, v14, v10, vcc
	v_cndmask_b32_e64 v5, v5, v7, s[0:1]
	v_cndmask_b32_e64 v6, v6, v9, s[2:3]
	;; [unrolled: 1-line block ×3, first 2 shown]
	v_sub_u32_e32 v11, 32, v18
	v_alignbit_b32 v13, v6, v9, v11
	v_cmp_eq_u32_e64 s[4:5], 0, v18
	v_cndmask_b32_e32 v4, v10, v4, vcc
	s_nop 0
	v_cndmask_b32_e64 v13, v13, v6, s[4:5]
	v_cndmask_b32_e32 v6, v12, v8, vcc
	v_cndmask_b32_e64 v7, v7, v6, s[0:1]
	v_cndmask_b32_e64 v5, v5, v7, s[2:3]
	v_alignbit_b32 v8, v9, v5, v11
	v_cndmask_b32_e64 v8, v8, v9, s[4:5]
	v_bfe_u32 v14, v13, 29, 1
	v_cndmask_b32_e64 v4, v6, v4, s[0:1]
	v_alignbit_b32 v9, v13, v8, 30
	v_sub_u32_e32 v15, 0, v14
	v_cndmask_b32_e64 v4, v7, v4, s[2:3]
	v_xor_b32_e32 v9, v9, v15
	v_alignbit_b32 v6, v5, v4, v11
	v_cndmask_b32_e64 v5, v6, v5, s[4:5]
	v_ffbh_u32_e32 v7, v9
	v_alignbit_b32 v6, v8, v5, 30
	v_min_u32_e32 v7, 32, v7
	v_alignbit_b32 v4, v5, v4, 30
	v_xor_b32_e32 v6, v6, v15
	v_sub_u32_e32 v8, 31, v7
	v_xor_b32_e32 v4, v4, v15
	v_alignbit_b32 v9, v9, v6, v8
	v_alignbit_b32 v4, v6, v4, v8
	;; [unrolled: 1-line block ×3, first 2 shown]
	v_ffbh_u32_e32 v6, v5
	v_min_u32_e32 v6, 32, v6
	v_lshrrev_b32_e32 v12, 29, v13
	v_not_b32_e32 v8, v6
	v_alignbit_b32 v4, v5, v4, v8
	v_lshlrev_b32_e32 v5, 31, v12
	v_or_b32_e32 v8, 0x33000000, v5
	v_add_lshl_u32 v6, v6, v7, 23
	v_lshrrev_b32_e32 v4, 9, v4
	v_sub_u32_e32 v6, v8, v6
	v_or_b32_e32 v5, 0.5, v5
	v_lshlrev_b32_e32 v7, 23, v7
	v_or_b32_e32 v4, v6, v4
	v_lshrrev_b32_e32 v6, 9, v9
	v_sub_u32_e32 v5, v5, v7
	v_or_b32_e32 v5, v6, v5
	s_mov_b32 s0, 0x3fc90fda
	v_mul_f32_e32 v6, 0x3fc90fda, v5
	v_fma_f32 v7, v5, s0, -v6
	v_fmamk_f32 v5, v5, 0x33a22168, v7
	v_fmac_f32_e32 v5, 0x3fc90fda, v4
	v_lshrrev_b32_e32 v4, 30, v13
	v_add_f32_e32 v6, v6, v5
	v_add_u32_e32 v5, v14, v4
	s_andn2_saveexec_b64 s[0:1], s[10:11]
	s_cbranch_execnz .LBB57_75
	s_branch .LBB57_76
.LBB57_74:
	s_andn2_saveexec_b64 s[0:1], s[10:11]
	s_cbranch_execz .LBB57_76
.LBB57_75:
	s_mov_b32 s2, 0x3f22f983
	v_mul_f32_e64 v4, |v1|, s2
	v_rndne_f32_e32 v4, v4
	s_mov_b32 s2, 0xbfc90fda
	v_cvt_i32_f32_e32 v5, v4
	v_fma_f32 v6, v4, s2, |v1|
	v_fmamk_f32 v6, v4, 0xb3a22168, v6
	v_fmamk_f32 v6, v4, 0xa7c234c4, v6
.LBB57_76:
	s_or_b64 exec, exec, s[0:1]
	v_mul_f32_e32 v4, v3, v3
	v_mov_b32_e32 v7, 0x3c0881c4
	v_fmamk_f32 v8, v4, 0xb94c1982, v7
	v_fmaak_f32 v8, v4, v8, 0xbe2aaa9d
	v_mul_f32_e32 v8, v4, v8
	v_fmac_f32_e32 v3, v3, v8
	v_mov_b32_e32 v8, 0xbab64f3b
	v_fmamk_f32 v10, v4, 0x37d75334, v8
	v_fmaak_f32 v10, v4, v10, 0x3d2aabf7
	v_fmaak_f32 v10, v4, v10, 0xbf000004
	v_fma_f32 v4, v4, v10, 1.0
	v_and_b32_e32 v10, 1, v0
	v_cmp_eq_u32_e32 vcc, 0, v10
	v_mov_b32_e32 v9, 0xbe2aaa9d
	v_mov_b32_e32 v11, 0x3d2aabf7
	v_cndmask_b32_e64 v3, -v3, v4, vcc
	v_mul_f32_e32 v4, v6, v6
	v_fmac_f32_e32 v7, 0xb94c1982, v4
	v_fmac_f32_e32 v9, v4, v7
	v_fmac_f32_e32 v8, 0x37d75334, v4
	v_mov_b32_e32 v12, 0xbf000004
	v_lshlrev_b32_e32 v0, 30, v0
	s_brev_b32 s0, 1
	v_mul_f32_e32 v7, v4, v9
	v_fmac_f32_e32 v11, v4, v8
	v_bitop3_b32 v0, v0, v3, s0 bitop3:0x6c
	s_movk_i32 s0, 0x1f8
	v_fmac_f32_e32 v6, v6, v7
	v_fmac_f32_e32 v12, v4, v11
	v_and_b32_e32 v7, 1, v5
	v_cmp_class_f32_e64 vcc, v1, s0
	v_fma_f32 v4, v4, v12, 1.0
	v_cmp_eq_u32_e64 s[0:1], 0, v7
	v_lshlrev_b32_e32 v5, 30, v5
	v_and_b32_e32 v5, 0x80000000, v5
	v_cndmask_b32_e64 v4, v4, v6, s[0:1]
	v_bitop3_b32 v2, v5, v4, v2 bitop3:0x36
	v_mov_b32_e32 v3, 0x7fc00000
	v_xor_b32_e32 v1, v2, v1
	v_cndmask_b32_e32 v0, v3, v0, vcc
	v_cndmask_b32_e32 v1, v3, v1, vcc
.LBB57_77:
	s_or_b64 exec, exec, s[8:9]
                                        ; implicit-def: $vgpr4
	s_andn2_saveexec_b64 s[0:1], s[6:7]
	s_cbranch_execnz .LBB57_41
.LBB57_78:
	s_or_b64 exec, exec, s[0:1]
	s_setpc_b64 s[30:31]
.Lfunc_end57:
	.size	_ZN2at6native12_GLOBAL__N_14pow_IfEEN3c107complexIT_EES6_S6_, .Lfunc_end57-_ZN2at6native12_GLOBAL__N_14pow_IfEEN3c107complexIT_EES6_S6_
                                        ; -- End function
	.set .L_ZN2at6native12_GLOBAL__N_14pow_IfEEN3c107complexIT_EES6_S6_.num_vgpr, 21
	.set .L_ZN2at6native12_GLOBAL__N_14pow_IfEEN3c107complexIT_EES6_S6_.num_agpr, 0
	.set .L_ZN2at6native12_GLOBAL__N_14pow_IfEEN3c107complexIT_EES6_S6_.numbered_sgpr, 32
	.set .L_ZN2at6native12_GLOBAL__N_14pow_IfEEN3c107complexIT_EES6_S6_.num_named_barrier, 0
	.set .L_ZN2at6native12_GLOBAL__N_14pow_IfEEN3c107complexIT_EES6_S6_.private_seg_size, 0
	.set .L_ZN2at6native12_GLOBAL__N_14pow_IfEEN3c107complexIT_EES6_S6_.uses_vcc, 1
	.set .L_ZN2at6native12_GLOBAL__N_14pow_IfEEN3c107complexIT_EES6_S6_.uses_flat_scratch, 0
	.set .L_ZN2at6native12_GLOBAL__N_14pow_IfEEN3c107complexIT_EES6_S6_.has_dyn_sized_stack, 0
	.set .L_ZN2at6native12_GLOBAL__N_14pow_IfEEN3c107complexIT_EES6_S6_.has_recursion, 0
	.set .L_ZN2at6native12_GLOBAL__N_14pow_IfEEN3c107complexIT_EES6_S6_.has_indirect_call, 0
	.section	.AMDGPU.csdata,"",@progbits
; Function info:
; codeLenInByte = 11204
; TotalNumSgprs: 38
; NumVgprs: 21
; NumAgprs: 0
; TotalNumVgprs: 21
; ScratchSize: 0
; MemoryBound: 0
	.section	.text._ZN2at6native12_GLOBAL__N_125multi_tensor_apply_kernelINS1_18TensorListMetadataILi1EEENS1_21BinaryOpScalarFunctorIN3c107complexIfEELi1ELi1ELi0EEEJNS1_13power_functorIS8_EES8_EEEvT_T0_DpT1_,"axG",@progbits,_ZN2at6native12_GLOBAL__N_125multi_tensor_apply_kernelINS1_18TensorListMetadataILi1EEENS1_21BinaryOpScalarFunctorIN3c107complexIfEELi1ELi1ELi0EEEJNS1_13power_functorIS8_EES8_EEEvT_T0_DpT1_,comdat
	.globl	_ZN2at6native12_GLOBAL__N_125multi_tensor_apply_kernelINS1_18TensorListMetadataILi1EEENS1_21BinaryOpScalarFunctorIN3c107complexIfEELi1ELi1ELi0EEEJNS1_13power_functorIS8_EES8_EEEvT_T0_DpT1_ ; -- Begin function _ZN2at6native12_GLOBAL__N_125multi_tensor_apply_kernelINS1_18TensorListMetadataILi1EEENS1_21BinaryOpScalarFunctorIN3c107complexIfEELi1ELi1ELi0EEEJNS1_13power_functorIS8_EES8_EEEvT_T0_DpT1_
	.p2align	8
	.type	_ZN2at6native12_GLOBAL__N_125multi_tensor_apply_kernelINS1_18TensorListMetadataILi1EEENS1_21BinaryOpScalarFunctorIN3c107complexIfEELi1ELi1ELi0EEEJNS1_13power_functorIS8_EES8_EEEvT_T0_DpT1_,@function
_ZN2at6native12_GLOBAL__N_125multi_tensor_apply_kernelINS1_18TensorListMetadataILi1EEENS1_21BinaryOpScalarFunctorIN3c107complexIfEELi1ELi1ELi0EEEJNS1_13power_functorIS8_EES8_EEEvT_T0_DpT1_: ; @_ZN2at6native12_GLOBAL__N_125multi_tensor_apply_kernelINS1_18TensorListMetadataILi1EEENS1_21BinaryOpScalarFunctorIN3c107complexIfEELi1ELi1ELi0EEEJNS1_13power_functorIS8_EES8_EEEvT_T0_DpT1_
; %bb.0:
	v_mov_b32_e32 v22, v0
	v_mov_b32_e32 v0, s2
	global_load_ubyte v0, v0, s[0:1] offset:1760
	s_mov_b64 s[22:23], s[0:1]
	s_add_u32 s0, s22, s2
	s_mul_hi_u32 s1, s2, 3
	s_mul_i32 s2, s2, 3
	s_addc_u32 s3, s23, 0
	s_add_u32 s0, s0, s2
	s_addc_u32 s1, s3, s1
	s_load_dword s0, s[0:1], 0x820
	s_mov_b32 s5, 0
	s_mov_b32 s32, 16
	s_waitcnt vmcnt(0)
	v_readfirstlane_b32 s1, v0
	s_lshl_b32 s1, s1, 3
	s_load_dwordx2 s[36:37], s[22:23], 0xd30
	s_load_dwordx2 s[38:39], s[22:23], s1 offset:0x0
	s_load_dwordx2 s[2:3], s[22:23], s1 offset:0x370
	s_waitcnt lgkmcnt(0)
	s_ashr_i32 s1, s0, 31
	s_lshl_b64 s[40:41], s[0:1], 19
	s_add_u32 s44, s38, s40
	s_addc_u32 s45, s39, s41
	s_and_b32 s4, s44, 31
	s_lshl_b64 s[0:1], s[0:1], 16
	s_sub_u32 s42, s2, s0
	s_subb_u32 s43, s3, s1
	s_and_b32 s0, s2, 3
	s_mov_b32 s1, s5
	s_or_b64 s[0:1], s[4:5], s[0:1]
	s_cmp_eq_u64 s[0:1], 0
	s_cbranch_scc1 .LBB58_19
; %bb.1:
	v_cmp_lt_i64_e64 s[0:1], s[42:43], 1
	s_and_b64 vcc, exec, s[0:1]
	s_cbranch_vccnz .LBB58_18
; %bb.2:
	s_mov_b64 s[0:1], src_private_base
	s_load_dword s0, s[22:23], 0xd44
	v_mov_b64_e32 v[0:1], 0x10000
	v_cmp_lt_i64_e32 vcc, s[42:43], v[0:1]
	s_and_b64 s[4:5], vcc, exec
	s_mov_b32 s3, 0
	s_cselect_b32 s5, s43, 0
	s_cselect_b32 s4, s42, 0x10000
	s_waitcnt lgkmcnt(0)
	s_and_b32 s2, s0, 0xffff
	v_cmp_lt_u64_e32 vcc, s[42:43], v[0:1]
	v_mov_b32_e32 v23, 0
	s_and_b64 s[6:7], vcc, exec
	s_mul_i32 s8, s2, 3
	s_mov_b32 s9, s3
	s_cselect_b32 s47, s43, 0
	s_cselect_b32 s46, s42, 0x10000
	s_lshl_b32 s6, s2, 1
	s_mov_b32 s7, s3
	v_lshlrev_b32_e32 v30, 3, v22
	v_mov_b32_e32 v31, v23
	v_lshl_add_u64 v[34:35], s[8:9], 0, v[22:23]
	s_lshl_b32 s8, s2, 4
	v_lshl_add_u64 v[40:41], v[22:23], 0, s[2:3]
	s_lshl_b32 s33, s2, 2
	s_lshl_b32 s54, s2, 5
	v_mad_u64_u32 v[32:33], s[10:11], s2, 24, v[30:31]
	v_lshl_add_u64 v[36:37], s[8:9], 0, v[30:31]
	v_lshl_add_u64 v[38:39], s[6:7], 0, v[22:23]
	v_lshlrev_b32_e32 v42, 3, v40
	v_mov_b32_e32 v43, v23
	s_mov_b64 s[48:49], 0
	v_mov_b32_e32 v56, v23
	v_mov_b32_e32 v57, v23
	;; [unrolled: 1-line block ×4, first 2 shown]
	v_mov_b64_e32 v[44:45], s[4:5]
	s_branch .LBB58_4
.LBB58_3:                               ;   in Loop: Header=BB58_4 Depth=1
	s_or_b64 exec, exec, s[0:1]
	s_add_u32 s48, s48, s33
	s_addc_u32 s49, s49, 0
	s_add_u32 s44, s44, s54
	v_cmp_lt_i64_e32 vcc, s[48:49], v[44:45]
	s_addc_u32 s45, s45, 0
	s_cbranch_vccz .LBB58_18
.LBB58_4:                               ; =>This Inner Loop Header: Depth=1
	v_lshl_add_u64 v[0:1], v[22:23], 0, s[48:49]
	v_cmp_gt_u64_e64 s[34:35], s[46:47], v[0:1]
	v_lshl_add_u64 v[52:53], s[44:45], 0, v[30:31]
	v_mov_b32_e32 v28, 0
	v_mov_b32_e32 v29, 0
	s_and_saveexec_b64 s[0:1], s[34:35]
	s_cbranch_execz .LBB58_6
; %bb.5:                                ;   in Loop: Header=BB58_4 Depth=1
	global_load_dwordx2 v[28:29], v[52:53], off
.LBB58_6:                               ;   in Loop: Header=BB58_4 Depth=1
	s_or_b64 exec, exec, s[0:1]
	v_lshl_add_u64 v[0:1], v[40:41], 0, s[48:49]
	v_cmp_gt_u64_e64 s[28:29], s[46:47], v[0:1]
	v_mov_b32_e32 v26, 0
	v_lshl_add_u64 v[48:49], s[44:45], 0, v[42:43]
	v_mov_b32_e32 v27, 0
	s_and_saveexec_b64 s[0:1], s[28:29]
	s_cbranch_execz .LBB58_8
; %bb.7:                                ;   in Loop: Header=BB58_4 Depth=1
	global_load_dwordx2 v[26:27], v[48:49], off
.LBB58_8:                               ;   in Loop: Header=BB58_4 Depth=1
	s_or_b64 exec, exec, s[0:1]
	v_lshl_add_u64 v[0:1], v[38:39], 0, s[48:49]
	v_cmp_gt_u64_e64 s[26:27], s[46:47], v[0:1]
	v_mov_b64_e32 v[24:25], 0
	v_lshl_add_u64 v[46:47], s[44:45], 0, v[36:37]
	s_and_saveexec_b64 s[0:1], s[26:27]
	s_cbranch_execz .LBB58_10
; %bb.9:                                ;   in Loop: Header=BB58_4 Depth=1
	global_load_dwordx2 v[24:25], v[46:47], off
.LBB58_10:                              ;   in Loop: Header=BB58_4 Depth=1
	s_or_b64 exec, exec, s[0:1]
	v_lshl_add_u64 v[0:1], v[34:35], 0, s[48:49]
	v_lshl_add_u64 v[50:51], s[44:45], 0, v[32:33]
	v_cmp_gt_u64_e64 s[24:25], s[46:47], v[0:1]
	scratch_store_dwordx2 off, v[56:57], off
	s_getpc_b64 s[50:51]
	s_add_u32 s50, s50, _ZN2at6native12_GLOBAL__N_14pow_IfEEN3c107complexIT_EES6_S6_@rel32@lo+4
	s_addc_u32 s51, s51, _ZN2at6native12_GLOBAL__N_14pow_IfEEN3c107complexIT_EES6_S6_@rel32@hi+12
	v_cndmask_b32_e64 v1, v21, v51, s[24:25]
	v_cndmask_b32_e64 v0, v54, v50, s[24:25]
	flat_load_dwordx2 v[0:1], v[0:1]
	v_mov_b32_e32 v2, s36
	v_mov_b32_e32 v3, s37
	s_swappc_b64 s[30:31], s[50:51]
	scratch_store_dwordx2 off, v[0:1], off
	s_and_saveexec_b64 s[52:53], s[34:35]
	s_cbranch_execnz .LBB58_14
; %bb.11:                               ;   in Loop: Header=BB58_4 Depth=1
	s_or_b64 exec, exec, s[52:53]
	s_and_saveexec_b64 s[34:35], s[28:29]
	s_cbranch_execnz .LBB58_15
.LBB58_12:                              ;   in Loop: Header=BB58_4 Depth=1
	s_or_b64 exec, exec, s[34:35]
	s_and_saveexec_b64 s[28:29], s[26:27]
	s_cbranch_execnz .LBB58_16
.LBB58_13:                              ;   in Loop: Header=BB58_4 Depth=1
	s_or_b64 exec, exec, s[28:29]
	s_and_saveexec_b64 s[0:1], s[24:25]
	s_cbranch_execz .LBB58_3
	s_branch .LBB58_17
.LBB58_14:                              ;   in Loop: Header=BB58_4 Depth=1
	v_mov_b32_e32 v0, v28
	v_mov_b32_e32 v1, v29
	;; [unrolled: 1-line block ×4, first 2 shown]
	s_swappc_b64 s[30:31], s[50:51]
	global_store_dwordx2 v[52:53], v[0:1], off
	s_or_b64 exec, exec, s[52:53]
	s_and_saveexec_b64 s[34:35], s[28:29]
	s_cbranch_execz .LBB58_12
.LBB58_15:                              ;   in Loop: Header=BB58_4 Depth=1
	s_getpc_b64 s[0:1]
	s_add_u32 s0, s0, _ZN2at6native12_GLOBAL__N_14pow_IfEEN3c107complexIT_EES6_S6_@rel32@lo+4
	s_addc_u32 s1, s1, _ZN2at6native12_GLOBAL__N_14pow_IfEEN3c107complexIT_EES6_S6_@rel32@hi+12
	v_mov_b32_e32 v0, v26
	v_mov_b32_e32 v1, v27
	;; [unrolled: 1-line block ×4, first 2 shown]
	s_swappc_b64 s[30:31], s[0:1]
	global_store_dwordx2 v[48:49], v[0:1], off
	s_or_b64 exec, exec, s[34:35]
	s_and_saveexec_b64 s[28:29], s[26:27]
	s_cbranch_execz .LBB58_13
.LBB58_16:                              ;   in Loop: Header=BB58_4 Depth=1
	s_getpc_b64 s[0:1]
	s_add_u32 s0, s0, _ZN2at6native12_GLOBAL__N_14pow_IfEEN3c107complexIT_EES6_S6_@rel32@lo+4
	s_addc_u32 s1, s1, _ZN2at6native12_GLOBAL__N_14pow_IfEEN3c107complexIT_EES6_S6_@rel32@hi+12
	v_mov_b32_e32 v0, v24
	v_mov_b32_e32 v1, v25
	;; [unrolled: 1-line block ×4, first 2 shown]
	s_swappc_b64 s[30:31], s[0:1]
	global_store_dwordx2 v[46:47], v[0:1], off
	s_or_b64 exec, exec, s[28:29]
	s_and_saveexec_b64 s[0:1], s[24:25]
	s_cbranch_execz .LBB58_3
.LBB58_17:                              ;   in Loop: Header=BB58_4 Depth=1
	scratch_load_dwordx2 v[0:1], off, off
	s_waitcnt vmcnt(0)
	global_store_dwordx2 v[50:51], v[0:1], off
	s_branch .LBB58_3
.LBB58_18:
	s_cbranch_execz .LBB58_20
	s_branch .LBB58_23
.LBB58_19:
.LBB58_20:
	v_mov_b64_e32 v[2:3], 0x10000
	v_cmp_lt_i64_e32 vcc, s[42:43], v[2:3]
	s_and_b64 s[0:1], vcc, exec
	v_mov_b32_e32 v1, 0
	s_cselect_b32 s27, s43, 0
	s_cselect_b32 s26, s42, 0x10000
	v_lshlrev_b32_e32 v0, 2, v22
	s_mov_b32 s25, 0
	v_cmp_gt_i64_e32 vcc, s[26:27], v[0:1]
	s_and_saveexec_b64 s[0:1], vcc
	s_cbranch_execz .LBB58_23
; %bb.21:
	s_load_dword s0, s[22:23], 0xd44
	v_lshlrev_b32_e32 v0, 5, v22
	v_mov_b32_e32 v23, v1
	s_mov_b32 s23, s25
	s_mov_b64 s[28:29], 0
	s_waitcnt lgkmcnt(0)
	s_and_b32 s24, s0, 0xffff
	s_add_u32 s0, s38, s40
	s_addc_u32 s1, s39, s41
	s_lshl_b32 s22, s24, 5
	v_lshl_add_u64 v[32:33], s[0:1], 0, v[0:1]
.LBB58_22:                              ; =>This Inner Loop Header: Depth=1
	global_load_dwordx4 v[24:27], v[32:33], off
	global_load_dwordx4 v[28:31], v[32:33], off offset:16
	s_getpc_b64 s[34:35]
	s_add_u32 s34, s34, _ZN2at6native12_GLOBAL__N_14pow_IfEEN3c107complexIT_EES6_S6_@rel32@lo+4
	s_addc_u32 s35, s35, _ZN2at6native12_GLOBAL__N_14pow_IfEEN3c107complexIT_EES6_S6_@rel32@hi+12
	v_mov_b32_e32 v2, s36
	v_mov_b32_e32 v3, s37
	s_waitcnt vmcnt(1)
	v_mov_b32_e32 v0, v24
	v_mov_b32_e32 v1, v25
	s_swappc_b64 s[30:31], s[34:35]
	v_mov_b32_e32 v24, v0
	v_mov_b32_e32 v25, v1
	v_mov_b32_e32 v0, v26
	v_mov_b32_e32 v1, v27
	v_mov_b32_e32 v2, s36
	v_mov_b32_e32 v3, s37
	s_swappc_b64 s[30:31], s[34:35]
	v_mov_b32_e32 v26, v0
	v_mov_b32_e32 v27, v1
	v_mov_b32_e32 v0, v28
	v_mov_b32_e32 v1, v29
	;; [unrolled: 7-line block ×3, first 2 shown]
	v_mov_b32_e32 v2, s36
	v_mov_b32_e32 v3, s37
	s_swappc_b64 s[30:31], s[34:35]
	v_lshl_add_u64 v[22:23], v[22:23], 0, s[24:25]
	v_mov_b32_e32 v30, v0
	v_mov_b32_e32 v31, v1
	v_lshlrev_b64 v[0:1], 2, v[22:23]
	v_cmp_le_i64_e32 vcc, s[26:27], v[0:1]
	global_store_dwordx4 v[32:33], v[24:27], off
	scratch_store_dwordx2 off, v[30:31], off
	global_store_dwordx4 v[32:33], v[28:31], off offset:16
	s_or_b64 s[28:29], vcc, s[28:29]
	v_lshl_add_u64 v[32:33], v[32:33], 0, s[22:23]
	s_andn2_b64 exec, exec, s[28:29]
	s_cbranch_execnz .LBB58_22
.LBB58_23:
	s_endpgm
	.section	.rodata,"a",@progbits
	.p2align	6, 0x0
	.amdhsa_kernel _ZN2at6native12_GLOBAL__N_125multi_tensor_apply_kernelINS1_18TensorListMetadataILi1EEENS1_21BinaryOpScalarFunctorIN3c107complexIfEELi1ELi1ELi0EEEJNS1_13power_functorIS8_EES8_EEEvT_T0_DpT1_
		.amdhsa_group_segment_fixed_size 0
		.amdhsa_private_segment_fixed_size 16
		.amdhsa_kernarg_size 3640
		.amdhsa_user_sgpr_count 2
		.amdhsa_user_sgpr_dispatch_ptr 0
		.amdhsa_user_sgpr_queue_ptr 0
		.amdhsa_user_sgpr_kernarg_segment_ptr 1
		.amdhsa_user_sgpr_dispatch_id 0
		.amdhsa_user_sgpr_kernarg_preload_length 0
		.amdhsa_user_sgpr_kernarg_preload_offset 0
		.amdhsa_user_sgpr_private_segment_size 0
		.amdhsa_uses_dynamic_stack 0
		.amdhsa_enable_private_segment 1
		.amdhsa_system_sgpr_workgroup_id_x 1
		.amdhsa_system_sgpr_workgroup_id_y 0
		.amdhsa_system_sgpr_workgroup_id_z 0
		.amdhsa_system_sgpr_workgroup_info 0
		.amdhsa_system_vgpr_workitem_id 0
		.amdhsa_next_free_vgpr 58
		.amdhsa_next_free_sgpr 55
		.amdhsa_accum_offset 60
		.amdhsa_reserve_vcc 1
		.amdhsa_float_round_mode_32 0
		.amdhsa_float_round_mode_16_64 0
		.amdhsa_float_denorm_mode_32 3
		.amdhsa_float_denorm_mode_16_64 3
		.amdhsa_dx10_clamp 1
		.amdhsa_ieee_mode 1
		.amdhsa_fp16_overflow 0
		.amdhsa_tg_split 0
		.amdhsa_exception_fp_ieee_invalid_op 0
		.amdhsa_exception_fp_denorm_src 0
		.amdhsa_exception_fp_ieee_div_zero 0
		.amdhsa_exception_fp_ieee_overflow 0
		.amdhsa_exception_fp_ieee_underflow 0
		.amdhsa_exception_fp_ieee_inexact 0
		.amdhsa_exception_int_div_zero 0
	.end_amdhsa_kernel
	.section	.text._ZN2at6native12_GLOBAL__N_125multi_tensor_apply_kernelINS1_18TensorListMetadataILi1EEENS1_21BinaryOpScalarFunctorIN3c107complexIfEELi1ELi1ELi0EEEJNS1_13power_functorIS8_EES8_EEEvT_T0_DpT1_,"axG",@progbits,_ZN2at6native12_GLOBAL__N_125multi_tensor_apply_kernelINS1_18TensorListMetadataILi1EEENS1_21BinaryOpScalarFunctorIN3c107complexIfEELi1ELi1ELi0EEEJNS1_13power_functorIS8_EES8_EEEvT_T0_DpT1_,comdat
.Lfunc_end58:
	.size	_ZN2at6native12_GLOBAL__N_125multi_tensor_apply_kernelINS1_18TensorListMetadataILi1EEENS1_21BinaryOpScalarFunctorIN3c107complexIfEELi1ELi1ELi0EEEJNS1_13power_functorIS8_EES8_EEEvT_T0_DpT1_, .Lfunc_end58-_ZN2at6native12_GLOBAL__N_125multi_tensor_apply_kernelINS1_18TensorListMetadataILi1EEENS1_21BinaryOpScalarFunctorIN3c107complexIfEELi1ELi1ELi0EEEJNS1_13power_functorIS8_EES8_EEEvT_T0_DpT1_
                                        ; -- End function
	.set _ZN2at6native12_GLOBAL__N_125multi_tensor_apply_kernelINS1_18TensorListMetadataILi1EEENS1_21BinaryOpScalarFunctorIN3c107complexIfEELi1ELi1ELi0EEEJNS1_13power_functorIS8_EES8_EEEvT_T0_DpT1_.num_vgpr, max(58, .L_ZN2at6native12_GLOBAL__N_14pow_IfEEN3c107complexIT_EES6_S6_.num_vgpr)
	.set _ZN2at6native12_GLOBAL__N_125multi_tensor_apply_kernelINS1_18TensorListMetadataILi1EEENS1_21BinaryOpScalarFunctorIN3c107complexIfEELi1ELi1ELi0EEEJNS1_13power_functorIS8_EES8_EEEvT_T0_DpT1_.num_agpr, max(0, .L_ZN2at6native12_GLOBAL__N_14pow_IfEEN3c107complexIT_EES6_S6_.num_agpr)
	.set _ZN2at6native12_GLOBAL__N_125multi_tensor_apply_kernelINS1_18TensorListMetadataILi1EEENS1_21BinaryOpScalarFunctorIN3c107complexIfEELi1ELi1ELi0EEEJNS1_13power_functorIS8_EES8_EEEvT_T0_DpT1_.numbered_sgpr, max(55, .L_ZN2at6native12_GLOBAL__N_14pow_IfEEN3c107complexIT_EES6_S6_.numbered_sgpr)
	.set _ZN2at6native12_GLOBAL__N_125multi_tensor_apply_kernelINS1_18TensorListMetadataILi1EEENS1_21BinaryOpScalarFunctorIN3c107complexIfEELi1ELi1ELi0EEEJNS1_13power_functorIS8_EES8_EEEvT_T0_DpT1_.num_named_barrier, max(0, .L_ZN2at6native12_GLOBAL__N_14pow_IfEEN3c107complexIT_EES6_S6_.num_named_barrier)
	.set _ZN2at6native12_GLOBAL__N_125multi_tensor_apply_kernelINS1_18TensorListMetadataILi1EEENS1_21BinaryOpScalarFunctorIN3c107complexIfEELi1ELi1ELi0EEEJNS1_13power_functorIS8_EES8_EEEvT_T0_DpT1_.private_seg_size, 16+max(.L_ZN2at6native12_GLOBAL__N_14pow_IfEEN3c107complexIT_EES6_S6_.private_seg_size)
	.set _ZN2at6native12_GLOBAL__N_125multi_tensor_apply_kernelINS1_18TensorListMetadataILi1EEENS1_21BinaryOpScalarFunctorIN3c107complexIfEELi1ELi1ELi0EEEJNS1_13power_functorIS8_EES8_EEEvT_T0_DpT1_.uses_vcc, or(1, .L_ZN2at6native12_GLOBAL__N_14pow_IfEEN3c107complexIT_EES6_S6_.uses_vcc)
	.set _ZN2at6native12_GLOBAL__N_125multi_tensor_apply_kernelINS1_18TensorListMetadataILi1EEENS1_21BinaryOpScalarFunctorIN3c107complexIfEELi1ELi1ELi0EEEJNS1_13power_functorIS8_EES8_EEEvT_T0_DpT1_.uses_flat_scratch, or(0, .L_ZN2at6native12_GLOBAL__N_14pow_IfEEN3c107complexIT_EES6_S6_.uses_flat_scratch)
	.set _ZN2at6native12_GLOBAL__N_125multi_tensor_apply_kernelINS1_18TensorListMetadataILi1EEENS1_21BinaryOpScalarFunctorIN3c107complexIfEELi1ELi1ELi0EEEJNS1_13power_functorIS8_EES8_EEEvT_T0_DpT1_.has_dyn_sized_stack, or(0, .L_ZN2at6native12_GLOBAL__N_14pow_IfEEN3c107complexIT_EES6_S6_.has_dyn_sized_stack)
	.set _ZN2at6native12_GLOBAL__N_125multi_tensor_apply_kernelINS1_18TensorListMetadataILi1EEENS1_21BinaryOpScalarFunctorIN3c107complexIfEELi1ELi1ELi0EEEJNS1_13power_functorIS8_EES8_EEEvT_T0_DpT1_.has_recursion, or(0, .L_ZN2at6native12_GLOBAL__N_14pow_IfEEN3c107complexIT_EES6_S6_.has_recursion)
	.set _ZN2at6native12_GLOBAL__N_125multi_tensor_apply_kernelINS1_18TensorListMetadataILi1EEENS1_21BinaryOpScalarFunctorIN3c107complexIfEELi1ELi1ELi0EEEJNS1_13power_functorIS8_EES8_EEEvT_T0_DpT1_.has_indirect_call, or(0, .L_ZN2at6native12_GLOBAL__N_14pow_IfEEN3c107complexIT_EES6_S6_.has_indirect_call)
	.section	.AMDGPU.csdata,"",@progbits
; Kernel info:
; codeLenInByte = 1204
; TotalNumSgprs: 61
; NumVgprs: 58
; NumAgprs: 0
; TotalNumVgprs: 58
; ScratchSize: 16
; MemoryBound: 0
; FloatMode: 240
; IeeeMode: 1
; LDSByteSize: 0 bytes/workgroup (compile time only)
; SGPRBlocks: 7
; VGPRBlocks: 7
; NumSGPRsForWavesPerEU: 61
; NumVGPRsForWavesPerEU: 58
; AccumOffset: 60
; Occupancy: 8
; WaveLimiterHint : 0
; COMPUTE_PGM_RSRC2:SCRATCH_EN: 1
; COMPUTE_PGM_RSRC2:USER_SGPR: 2
; COMPUTE_PGM_RSRC2:TRAP_HANDLER: 0
; COMPUTE_PGM_RSRC2:TGID_X_EN: 1
; COMPUTE_PGM_RSRC2:TGID_Y_EN: 0
; COMPUTE_PGM_RSRC2:TGID_Z_EN: 0
; COMPUTE_PGM_RSRC2:TIDIG_COMP_CNT: 0
; COMPUTE_PGM_RSRC3_GFX90A:ACCUM_OFFSET: 14
; COMPUTE_PGM_RSRC3_GFX90A:TG_SPLIT: 0
	.section	.text._ZN2at6native12_GLOBAL__N_125multi_tensor_apply_kernelINS1_18TensorListMetadataILi1EEENS1_21BinaryOpScalarFunctorIN3c104HalfELi1ELi1ELi0EEEJNS1_13power_functorIfEEfEEEvT_T0_DpT1_,"axG",@progbits,_ZN2at6native12_GLOBAL__N_125multi_tensor_apply_kernelINS1_18TensorListMetadataILi1EEENS1_21BinaryOpScalarFunctorIN3c104HalfELi1ELi1ELi0EEEJNS1_13power_functorIfEEfEEEvT_T0_DpT1_,comdat
	.globl	_ZN2at6native12_GLOBAL__N_125multi_tensor_apply_kernelINS1_18TensorListMetadataILi1EEENS1_21BinaryOpScalarFunctorIN3c104HalfELi1ELi1ELi0EEEJNS1_13power_functorIfEEfEEEvT_T0_DpT1_ ; -- Begin function _ZN2at6native12_GLOBAL__N_125multi_tensor_apply_kernelINS1_18TensorListMetadataILi1EEENS1_21BinaryOpScalarFunctorIN3c104HalfELi1ELi1ELi0EEEJNS1_13power_functorIfEEfEEEvT_T0_DpT1_
	.p2align	8
	.type	_ZN2at6native12_GLOBAL__N_125multi_tensor_apply_kernelINS1_18TensorListMetadataILi1EEENS1_21BinaryOpScalarFunctorIN3c104HalfELi1ELi1ELi0EEEJNS1_13power_functorIfEEfEEEvT_T0_DpT1_,@function
_ZN2at6native12_GLOBAL__N_125multi_tensor_apply_kernelINS1_18TensorListMetadataILi1EEENS1_21BinaryOpScalarFunctorIN3c104HalfELi1ELi1ELi0EEEJNS1_13power_functorIfEEfEEEvT_T0_DpT1_: ; @_ZN2at6native12_GLOBAL__N_125multi_tensor_apply_kernelINS1_18TensorListMetadataILi1EEENS1_21BinaryOpScalarFunctorIN3c104HalfELi1ELi1ELi0EEEJNS1_13power_functorIfEEfEEEvT_T0_DpT1_
; %bb.0:
	v_mov_b32_e32 v1, s2
	global_load_ubyte v1, v1, s[0:1] offset:1760
	s_add_u32 s3, s0, s2
	s_mul_hi_u32 s4, s2, 3
	s_mul_i32 s2, s2, 3
	s_addc_u32 s5, s1, 0
	s_add_u32 s2, s3, s2
	s_addc_u32 s3, s5, s4
	s_load_dword s2, s[2:3], 0x820
	s_mov_b32 s7, 0
	s_waitcnt vmcnt(0)
	v_readfirstlane_b32 s3, v1
	s_lshl_b32 s3, s3, 3
	s_load_dword s33, s[0:1], 0xd2c
	s_load_dwordx2 s[4:5], s[0:1], s3 offset:0x370
	s_load_dwordx2 s[16:17], s[0:1], s3 offset:0x0
	s_waitcnt lgkmcnt(0)
	s_ashr_i32 s3, s2, 31
	s_lshl_b64 s[18:19], s[2:3], 17
	s_lshl_b64 s[2:3], s[2:3], 16
	s_and_b32 s6, s16, 7
	s_sub_u32 s20, s4, s2
	s_subb_u32 s21, s5, s3
	s_and_b32 s2, s4, 3
	s_mov_b32 s3, s7
	s_or_b64 s[2:3], s[6:7], s[2:3]
	s_cmp_eq_u64 s[2:3], 0
	s_cbranch_scc1 .LBB59_21
; %bb.1:
	v_cmp_lt_i64_e64 s[2:3], s[20:21], 1
	s_and_b64 vcc, exec, s[2:3]
	s_cbranch_vccnz .LBB59_20
; %bb.2:
	s_load_dword s2, s[0:1], 0xd3c
	v_mov_b64_e32 v[2:3], 0x10000
	v_cmp_lt_i64_e32 vcc, s[20:21], v[2:3]
	s_and_b64 s[4:5], vcc, exec
	s_cselect_b32 s23, s21, 0
	s_cselect_b32 s22, s20, 0x10000
	s_waitcnt lgkmcnt(0)
	s_and_b32 s2, s2, 0xffff
	v_cmp_lt_u64_e32 vcc, s[20:21], v[2:3]
	s_and_b64 s[4:5], vcc, exec
	s_mov_b32 s3, 0
	v_mov_b32_e32 v1, 0
	s_cselect_b32 s25, s21, 0
	s_cselect_b32 s24, s20, 0x10000
	s_lshl_b32 s4, s2, 1
	s_lshl_b32 s26, s2, 2
	s_add_u32 s8, s16, s18
	v_lshl_add_u64 v[8:9], v[0:1], 0, s[2:3]
	s_mov_b32 s5, s3
	s_mul_i32 s6, s2, 3
	s_mov_b32 s7, s3
	v_lshlrev_b32_e32 v2, 1, v0
	v_mov_b32_e32 v3, v1
	s_addc_u32 s9, s17, s19
	v_lshlrev_b32_e32 v10, 1, v8
	v_mov_b32_e32 v11, v1
	s_mov_b32 s27, s3
	v_lshl_add_u64 v[2:3], s[8:9], 0, v[2:3]
	s_lshl_b32 s28, s2, 3
	s_mov_b32 s29, s3
	s_mul_i32 s30, s2, 6
	s_mov_b32 s31, s3
	v_lshl_add_u64 v[4:5], s[6:7], 0, v[0:1]
	v_lshl_add_u64 v[6:7], s[4:5], 0, v[0:1]
	;; [unrolled: 1-line block ×3, first 2 shown]
	s_mov_b64 s[34:35], 0
	s_movk_i32 s42, 0x204
	s_mov_b32 s43, 0x7f800000
	s_brev_b32 s44, -2
	s_mov_b32 s45, 0x3f2aaaab
	s_mov_b32 s46, 0x3f317218
	v_mov_b32_e32 v16, 0x3e91f4c4
	s_mov_b32 s47, 0x42b17218
	s_mov_b32 s48, 0x3fb8aa3b
	;; [unrolled: 1-line block ×3, first 2 shown]
	v_mov_b32_e32 v17, 0x7f800000
	v_mov_b32_e32 v18, 0x37000000
	v_mov_b32_e32 v19, 0x7fc00000
                                        ; implicit-def: $vgpr12
	s_branch .LBB59_4
.LBB59_3:                               ;   in Loop: Header=BB59_4 Depth=1
	s_or_b64 exec, exec, s[6:7]
	s_add_u32 s34, s34, s26
	s_addc_u32 s35, s35, 0
	v_mov_b64_e32 v[12:13], s[22:23]
	v_cmp_lt_i64_e32 vcc, s[34:35], v[12:13]
	v_lshl_add_u64 v[2:3], v[2:3], 0, s[28:29]
	v_lshl_add_u64 v[10:11], v[10:11], 0, s[28:29]
	s_cbranch_vccz .LBB59_20
.LBB59_4:                               ; =>This Inner Loop Header: Depth=1
	v_lshl_add_u64 v[12:13], v[0:1], 0, s[34:35]
	v_cmp_gt_u64_e64 s[6:7], s[24:25], v[12:13]
	s_waitcnt vmcnt(0)
	v_mov_b32_e32 v23, 0
	s_and_saveexec_b64 s[2:3], s[6:7]
	s_cbranch_execz .LBB59_6
; %bb.5:                                ;   in Loop: Header=BB59_4 Depth=1
	global_load_ushort v23, v[2:3], off
.LBB59_6:                               ;   in Loop: Header=BB59_4 Depth=1
	s_or_b64 exec, exec, s[2:3]
	v_lshl_add_u64 v[12:13], v[8:9], 0, s[34:35]
	v_cmp_gt_u64_e64 s[4:5], s[24:25], v[12:13]
	v_mov_b32_e32 v21, 0
	v_mov_b32_e32 v22, 0
	s_and_saveexec_b64 s[2:3], s[4:5]
	s_cbranch_execz .LBB59_8
; %bb.7:                                ;   in Loop: Header=BB59_4 Depth=1
	global_load_ushort v22, v[10:11], off
.LBB59_8:                               ;   in Loop: Header=BB59_4 Depth=1
	s_or_b64 exec, exec, s[2:3]
	v_lshl_add_u64 v[12:13], v[6:7], 0, s[34:35]
	v_cmp_gt_u64_e64 s[2:3], s[24:25], v[12:13]
	v_lshl_add_u64 v[14:15], v[2:3], 0, s[26:27]
	s_and_saveexec_b64 s[8:9], s[2:3]
	s_cbranch_execz .LBB59_10
; %bb.9:                                ;   in Loop: Header=BB59_4 Depth=1
	global_load_ushort v21, v[14:15], off
.LBB59_10:                              ;   in Loop: Header=BB59_4 Depth=1
	s_or_b64 exec, exec, s[8:9]
	v_lshl_add_u64 v[12:13], v[4:5], 0, s[34:35]
	v_cmp_gt_u64_e32 vcc, s[24:25], v[12:13]
	v_mov_b32_e32 v20, 0
	v_lshl_add_u64 v[12:13], v[2:3], 0, s[30:31]
	s_and_saveexec_b64 s[8:9], vcc
	s_cbranch_execnz .LBB59_15
; %bb.11:                               ;   in Loop: Header=BB59_4 Depth=1
	s_or_b64 exec, exec, s[8:9]
	s_and_saveexec_b64 s[36:37], s[6:7]
	s_cbranch_execnz .LBB59_16
.LBB59_12:                              ;   in Loop: Header=BB59_4 Depth=1
	s_or_b64 exec, exec, s[36:37]
	s_and_saveexec_b64 s[10:11], s[4:5]
	s_cbranch_execnz .LBB59_17
.LBB59_13:                              ;   in Loop: Header=BB59_4 Depth=1
	s_or_b64 exec, exec, s[10:11]
	s_and_saveexec_b64 s[8:9], s[2:3]
	s_cbranch_execnz .LBB59_18
.LBB59_14:                              ;   in Loop: Header=BB59_4 Depth=1
	s_or_b64 exec, exec, s[8:9]
	s_and_saveexec_b64 s[6:7], vcc
	s_cbranch_execz .LBB59_3
	s_branch .LBB59_19
.LBB59_15:                              ;   in Loop: Header=BB59_4 Depth=1
	global_load_ushort v20, v[12:13], off
	s_or_b64 exec, exec, s[8:9]
	s_and_saveexec_b64 s[36:37], s[6:7]
	s_cbranch_execz .LBB59_12
.LBB59_16:                              ;   in Loop: Header=BB59_4 Depth=1
	s_waitcnt vmcnt(0)
	v_cvt_f32_f16_e32 v25, v23
	v_mov_b32_e32 v24, s33
	v_cmp_neq_f16_e64 s[6:7], 1.0, v23
	s_nop 1
	v_cndmask_b32_e64 v23, 1.0, v24, s[6:7]
	v_cmp_neq_f32_e64 s[6:7], 0, v23
	v_cmp_gt_f32_e64 s[8:9], 0, v23
	v_trunc_f32_e32 v24, v23
	v_cndmask_b32_e64 v38, 1.0, v25, s[6:7]
	v_cmp_eq_f32_e64 s[6:7], 0, v38
	s_xor_b64 s[8:9], s[8:9], s[6:7]
	v_cndmask_b32_e64 v26, v17, 0, s[8:9]
	v_cmp_eq_f32_e64 s[8:9], v24, v23
	v_mul_f32_e32 v24, 0.5, v23
	v_trunc_f32_e32 v25, v24
	v_cmp_neq_f32_e64 s[10:11], v25, v24
	v_cvt_f64_f32_e64 v[24:25], |v38|
	v_frexp_exp_i32_f64_e32 v24, v[24:25]
	v_frexp_mant_f32_e64 v25, |v38|
	s_and_b64 s[10:11], s[8:9], s[10:11]
	v_cmp_gt_f32_e64 s[12:13], s45, v25
	v_cndmask_b32_e64 v27, 0, v38, s[10:11]
	v_bfi_b32 v39, s44, v26, v27
	v_subbrev_co_u32_e64 v24, s[14:15], 0, v24, s[12:13]
	v_cvt_f32_i32_e32 v28, v24
	v_cndmask_b32_e64 v27, 1.0, 2.0, s[12:13]
	v_mul_f32_e32 v25, v25, v27
	v_add_f32_e32 v27, 1.0, v25
	v_rcp_f32_e32 v36, v27
	v_mul_f32_e32 v24, 0x3f317218, v28
	v_fma_f32 v26, v28, s46, -v24
	v_fmac_f32_e32 v26, 0xb102e308, v28
	v_add_f32_e32 v28, -1.0, v27
	v_add_f32_e32 v29, -1.0, v25
	v_sub_f32_e32 v28, v25, v28
	v_mul_f32_e32 v25, v29, v36
	v_mul_f32_e32 v30, v27, v25
	v_fma_f32 v32, v25, v27, -v30
	v_fmac_f32_e32 v32, v25, v28
	v_add_f32_e32 v28, v30, v32
	v_sub_f32_e32 v31, v29, v28
	v_pk_add_f32 v[34:35], v[28:29], v[30:31] neg_lo:[0,1] neg_hi:[0,1]
	v_mov_b32_e32 v33, v28
	v_pk_add_f32 v[28:29], v[34:35], v[32:33] neg_lo:[0,1] neg_hi:[0,1]
	v_cmp_neq_f32_e64 s[14:15], v23, |v23|
	v_add_f32_e32 v27, v28, v29
	v_add_f32_e32 v27, v31, v27
	v_mul_f32_e32 v29, v36, v27
	v_add_f32_e32 v28, v25, v29
	v_sub_f32_e32 v25, v28, v25
	v_mul_f32_e32 v31, v28, v28
	v_sub_f32_e32 v40, v29, v25
	v_add_f32_e32 v25, v40, v40
	v_fma_f32 v29, v28, v28, -v31
	v_fmac_f32_e32 v29, v28, v25
	v_add_f32_e32 v30, v31, v29
	v_sub_f32_e32 v25, v30, v31
	v_sub_f32_e32 v25, v29, v25
	v_fmamk_f32 v29, v30, 0x3e76c4e1, v16
	v_fmaak_f32 v29, v30, v29, 0x3ecccdef
	v_mul_f32_e32 v31, v30, v29
	v_fma_f32 v32, v30, v29, -v31
	v_fmac_f32_e32 v32, v25, v29
	v_add_f32_e32 v34, v31, v32
	v_add_f32_e32 v33, 0x3f2aaaaa, v34
	v_sub_f32_e32 v29, v34, v31
	v_sub_f32_e32 v29, v32, v29
	v_add_f32_e32 v31, 0xbf2aaaaa, v33
	v_add_f32_e32 v29, 0x31739010, v29
	v_sub_f32_e32 v31, v34, v31
	v_pk_mul_f32 v[34:35], v[28:29], v[30:31]
	v_pk_add_f32 v[36:37], v[28:29], v[30:31]
	v_fma_f32 v32, v30, v28, -v34
	v_fmac_f32_e32 v32, v30, v40
	v_mov_b32_e32 v35, v37
	v_fmac_f32_e32 v32, v25, v28
	v_ldexp_f32 v27, v28, 1
	v_pk_add_f32 v[28:29], v[34:35], v[32:33]
	v_ldexp_f32 v36, v40, 1
	v_pk_mul_f32 v[30:31], v[28:29], v[28:29] op_sel:[0,1] op_sel_hi:[1,0]
	v_sub_f32_e32 v25, v28, v34
	v_sub_f32_e32 v31, v33, v29
	;; [unrolled: 1-line block ×3, first 2 shown]
	v_add_f32_e32 v31, v37, v31
	v_fma_f32 v32, v28, v29, -v30
	v_fmac_f32_e32 v32, v28, v31
	v_fmac_f32_e32 v32, v25, v29
	v_add_f32_e32 v25, v30, v32
	v_pk_add_f32 v[28:29], v[24:25], v[26:27]
	v_mov_b32_e32 v34, v25
	v_mov_b32_e32 v35, v29
	v_mov_b32_e32 v31, v27
	v_pk_add_f32 v[30:31], v[34:35], v[30:31] neg_lo:[0,1] neg_hi:[0,1]
	v_mov_b32_e32 v33, v25
	v_pk_add_f32 v[30:31], v[32:33], v[30:31] neg_lo:[0,1] neg_hi:[0,1]
	v_mov_b32_e32 v27, v28
	v_add_f32_e32 v25, v36, v30
	v_add_f32_e32 v25, v25, v31
	v_pk_add_f32 v[30:31], v[28:29], v[24:25] neg_lo:[0,1] neg_hi:[0,1]
	v_pk_add_f32 v[32:33], v[28:29], v[24:25]
	v_mov_b32_e32 v24, v25
	v_mov_b32_e32 v31, v33
	v_pk_add_f32 v[34:35], v[26:27], v[30:31] neg_lo:[0,1] neg_hi:[0,1]
	v_pk_add_f32 v[26:27], v[26:27], v[30:31]
	v_mov_b32_e32 v25, v28
	v_pk_add_f32 v[30:31], v[26:27], v[28:29] op_sel:[1,0] op_sel_hi:[0,1] neg_lo:[0,1] neg_hi:[0,1]
	v_pk_add_f32 v[36:37], v[32:33], v[30:31] op_sel_hi:[1,0] neg_lo:[0,1] neg_hi:[0,1]
	v_mov_b32_e32 v32, v33
	v_mov_b32_e32 v33, v27
	v_pk_mov_b32 v[30:31], v[28:29], v[30:31] op_sel:[1,0]
	v_mov_b32_e32 v36, v34
	v_pk_add_f32 v[30:31], v[32:33], v[30:31] neg_lo:[0,1] neg_hi:[0,1]
	v_mov_b32_e32 v35, v27
	v_pk_add_f32 v[24:25], v[24:25], v[30:31] neg_lo:[0,1] neg_hi:[0,1]
	v_cmp_lt_f32_e64 s[40:41], |v38|, 1.0
	v_pk_add_f32 v[28:29], v[36:37], v[24:25]
	v_cmp_class_f32_e64 s[38:39], v38, s42
	v_pk_add_f32 v[30:31], v[28:29], v[28:29] op_sel:[0,1] op_sel_hi:[1,0]
	s_or_b64 s[6:7], s[6:7], s[38:39]
	v_pk_add_f32 v[26:27], v[26:27], v[30:31] op_sel:[1,0] op_sel_hi:[0,1]
	v_mov_b32_e32 v29, v26
	v_pk_add_f32 v[32:33], v[28:29], v[34:35] neg_lo:[0,1] neg_hi:[0,1]
	v_mov_b32_e32 v25, v30
	v_sub_f32_e32 v27, v28, v32
	v_pk_add_f32 v[24:25], v[24:25], v[32:33] neg_lo:[0,1] neg_hi:[0,1]
	v_sub_f32_e32 v27, v34, v27
	v_add_f32_e32 v24, v24, v27
	v_add_f32_e32 v24, v24, v25
	;; [unrolled: 1-line block ×3, first 2 shown]
	v_mul_f32_e32 v27, v23, v25
	v_sub_f32_e32 v26, v25, v26
	v_sub_f32_e32 v24, v24, v26
	v_fma_f32 v25, v23, v25, -v27
	v_fmac_f32_e32 v25, v23, v24
	v_add_f32_e32 v24, v27, v25
	v_cmp_class_f32_e64 s[12:13], v27, s42
	s_nop 1
	v_cndmask_b32_e64 v26, v24, v27, s[12:13]
	v_cmp_eq_f32_e64 s[12:13], s47, v26
	v_sub_f32_e32 v24, v24, v27
	v_sub_f32_e32 v24, v25, v24
	v_cndmask_b32_e64 v28, 0, v18, s[12:13]
	v_sub_f32_e32 v29, v26, v28
	v_mul_f32_e32 v30, 0x3fb8aa3b, v29
	v_fma_f32 v31, v29, s48, -v30
	v_rndne_f32_e32 v32, v30
	v_fmac_f32_e32 v31, 0x32a5705f, v29
	v_sub_f32_e32 v30, v30, v32
	v_add_f32_e32 v30, v30, v31
	v_exp_f32_e32 v30, v30
	v_cvt_i32_f32_e32 v31, v32
	s_xor_b64 s[12:13], s[14:15], s[40:41]
	v_cndmask_b32_e64 v32, v17, 0, s[12:13]
	v_cmp_neq_f32_e64 s[12:13], |v38|, 1.0
	v_ldexp_f32 v30, v30, v31
	v_cndmask_b32_e64 v25, 1.0, v38, s[10:11]
	v_cndmask_b32_e64 v32, 1.0, v32, s[12:13]
	v_cmp_ngt_f32_e64 s[12:13], s49, v29
	s_nop 1
	v_cndmask_b32_e64 v30, 0, v30, s[12:13]
	v_cmp_nlt_f32_e64 s[12:13], s47, v29
	s_nop 1
	v_cndmask_b32_e64 v29, v17, v30, s[12:13]
	v_cmp_neq_f32_e64 s[12:13], |v26|, s43
	s_nop 1
	v_cndmask_b32_e64 v24, 0, v24, s[12:13]
	v_add_f32_e32 v24, v28, v24
	v_fma_f32 v24, v29, v24, v29
	v_cmp_class_f32_e64 s[12:13], v29, s42
	s_nop 1
	v_cndmask_b32_e64 v24, v24, v29, s[12:13]
	v_bfi_b32 v24, s44, v24, v25
	v_cndmask_b32_e64 v25, v19, v24, s[8:9]
	v_cmp_gt_f32_e64 s[8:9], 0, v38
	s_nop 1
	v_cndmask_b32_e64 v24, v24, v25, s[8:9]
	v_cmp_class_f32_e64 s[8:9], v23, s42
	s_nop 1
	v_cndmask_b32_e64 v24, v24, v32, s[8:9]
	v_cndmask_b32_e64 v24, v24, v39, s[6:7]
	v_cmp_o_f32_e64 s[6:7], v38, v23
	s_nop 1
	v_cndmask_b32_e64 v23, v19, v24, s[6:7]
	v_cvt_f16_f32_e32 v23, v23
	global_store_short v[2:3], v23, off
	s_or_b64 exec, exec, s[36:37]
	s_and_saveexec_b64 s[10:11], s[4:5]
	s_cbranch_execz .LBB59_13
.LBB59_17:                              ;   in Loop: Header=BB59_4 Depth=1
	s_waitcnt vmcnt(0)
	v_cvt_f32_f16_e32 v23, v22
	v_mov_b32_e32 v24, s33
	v_cmp_neq_f16_e64 s[4:5], 1.0, v22
	s_nop 1
	v_cndmask_b32_e64 v36, 1.0, v24, s[4:5]
	v_cmp_neq_f32_e64 s[4:5], 0, v36
	s_nop 1
	v_cndmask_b32_e64 v37, 1.0, v23, s[4:5]
	v_frexp_mant_f32_e64 v22, |v37|
	v_cmp_gt_f32_e64 s[4:5], s45, v22
	v_cmp_lt_f32_e64 s[8:9], |v37|, 1.0
	v_cmp_class_f32_e64 s[12:13], v37, s42
	v_cndmask_b32_e64 v23, 1.0, 2.0, s[4:5]
	v_mul_f32_e32 v22, v22, v23
	v_add_f32_e32 v25, 1.0, v22
	v_rcp_f32_e32 v30, v25
	v_add_f32_e32 v23, -1.0, v25
	v_sub_f32_e32 v27, v22, v23
	v_add_f32_e32 v23, -1.0, v22
	v_mul_f32_e32 v31, v23, v30
	v_mul_f32_e32 v24, v25, v31
	v_fma_f32 v26, v31, v25, -v24
	v_fmac_f32_e32 v26, v31, v27
	v_add_f32_e32 v22, v24, v26
	v_sub_f32_e32 v25, v23, v22
	v_pk_add_f32 v[28:29], v[22:23], v[24:25] neg_lo:[0,1] neg_hi:[0,1]
	v_mov_b32_e32 v27, v22
	v_pk_add_f32 v[22:23], v[28:29], v[26:27] neg_lo:[0,1] neg_hi:[0,1]
	s_nop 0
	v_add_f32_e32 v22, v22, v23
	v_add_f32_e32 v22, v25, v22
	v_mul_f32_e32 v23, v30, v22
	v_add_f32_e32 v22, v31, v23
	v_sub_f32_e32 v24, v22, v31
	v_sub_f32_e32 v32, v23, v24
	v_mul_f32_e32 v23, v22, v22
	v_fma_f32 v25, v22, v22, -v23
	v_add_f32_e32 v24, v32, v32
	v_fmac_f32_e32 v25, v22, v24
	v_add_f32_e32 v24, v23, v25
	v_fmamk_f32 v26, v24, 0x3e76c4e1, v16
	v_fmaak_f32 v26, v24, v26, 0x3ecccdef
	v_sub_f32_e32 v23, v24, v23
	v_sub_f32_e32 v33, v25, v23
	v_mul_f32_e32 v23, v24, v26
	v_fma_f32 v25, v24, v26, -v23
	v_fmac_f32_e32 v25, v33, v26
	v_add_f32_e32 v26, v23, v25
	v_add_f32_e32 v27, 0x3f2aaaaa, v26
	v_sub_f32_e32 v23, v26, v23
	v_sub_f32_e32 v23, v25, v23
	v_add_f32_e32 v25, 0xbf2aaaaa, v27
	v_add_f32_e32 v23, 0x31739010, v23
	v_sub_f32_e32 v25, v26, v25
	v_pk_mul_f32 v[28:29], v[22:23], v[24:25]
	v_pk_add_f32 v[30:31], v[22:23], v[24:25]
	v_fma_f32 v26, v24, v22, -v28
	v_fmac_f32_e32 v26, v24, v32
	v_mov_b32_e32 v29, v31
	v_fmac_f32_e32 v26, v33, v22
	v_pk_add_f32 v[24:25], v[28:29], v[26:27]
	v_ldexp_f32 v34, v32, 1
	v_sub_f32_e32 v23, v24, v28
	v_sub_f32_e32 v23, v26, v23
	;; [unrolled: 1-line block ×3, first 2 shown]
	v_add_f32_e32 v30, v31, v26
	v_pk_mul_f32 v[26:27], v[24:25], v[24:25] op_sel:[0,1] op_sel_hi:[1,0]
	v_cvt_f64_f32_e64 v[28:29], |v37|
	v_frexp_exp_i32_f64_e32 v27, v[28:29]
	v_subbrev_co_u32_e64 v27, s[4:5], 0, v27, s[4:5]
	v_cvt_f32_i32_e32 v27, v27
	v_fma_f32 v28, v24, v25, -v26
	v_fmac_f32_e32 v28, v24, v30
	v_fmac_f32_e32 v28, v23, v25
	v_mul_f32_e32 v24, 0x3f317218, v27
	v_fma_f32 v30, v27, s46, -v24
	v_fmac_f32_e32 v30, 0xb102e308, v27
	v_ldexp_f32 v31, v22, 1
	v_add_f32_e32 v25, v26, v28
	v_pk_add_f32 v[22:23], v[24:25], v[30:31]
	v_mov_b32_e32 v32, v25
	v_mov_b32_e32 v33, v23
	;; [unrolled: 1-line block ×3, first 2 shown]
	v_pk_add_f32 v[26:27], v[32:33], v[26:27] neg_lo:[0,1] neg_hi:[0,1]
	v_mov_b32_e32 v29, v25
	v_pk_add_f32 v[26:27], v[28:29], v[26:27] neg_lo:[0,1] neg_hi:[0,1]
	v_mov_b32_e32 v31, v22
	v_add_f32_e32 v25, v34, v26
	v_add_f32_e32 v25, v25, v27
	v_pk_add_f32 v[26:27], v[22:23], v[24:25] neg_lo:[0,1] neg_hi:[0,1]
	v_pk_add_f32 v[28:29], v[22:23], v[24:25]
	v_mov_b32_e32 v24, v25
	v_mov_b32_e32 v27, v29
	v_pk_add_f32 v[32:33], v[30:31], v[26:27] neg_lo:[0,1] neg_hi:[0,1]
	v_pk_add_f32 v[26:27], v[30:31], v[26:27]
	v_mov_b32_e32 v25, v22
	v_pk_add_f32 v[30:31], v[26:27], v[22:23] op_sel:[1,0] op_sel_hi:[0,1] neg_lo:[0,1] neg_hi:[0,1]
	v_pk_add_f32 v[34:35], v[28:29], v[30:31] op_sel_hi:[1,0] neg_lo:[0,1] neg_hi:[0,1]
	v_mov_b32_e32 v28, v29
	v_mov_b32_e32 v29, v27
	v_pk_mov_b32 v[30:31], v[22:23], v[30:31] op_sel:[1,0]
	v_mov_b32_e32 v34, v32
	v_pk_add_f32 v[28:29], v[28:29], v[30:31] neg_lo:[0,1] neg_hi:[0,1]
	v_mov_b32_e32 v33, v27
	v_pk_add_f32 v[22:23], v[24:25], v[28:29] neg_lo:[0,1] neg_hi:[0,1]
	s_nop 0
	v_pk_add_f32 v[24:25], v[34:35], v[22:23]
	s_nop 0
	v_pk_add_f32 v[28:29], v[24:25], v[24:25] op_sel:[0,1] op_sel_hi:[1,0]
	s_nop 0
	v_pk_add_f32 v[26:27], v[26:27], v[28:29] op_sel:[1,0] op_sel_hi:[0,1]
	v_mov_b32_e32 v25, v26
	v_pk_add_f32 v[30:31], v[24:25], v[32:33] neg_lo:[0,1] neg_hi:[0,1]
	v_mov_b32_e32 v23, v28
	v_sub_f32_e32 v24, v24, v30
	v_pk_add_f32 v[22:23], v[22:23], v[30:31] neg_lo:[0,1] neg_hi:[0,1]
	v_sub_f32_e32 v24, v32, v24
	v_add_f32_e32 v22, v22, v24
	v_add_f32_e32 v22, v22, v23
	v_add_f32_e32 v23, v26, v22
	v_sub_f32_e32 v24, v23, v26
	v_sub_f32_e32 v22, v22, v24
	v_mul_f32_e32 v24, v36, v23
	v_fma_f32 v23, v36, v23, -v24
	v_fmac_f32_e32 v23, v36, v22
	v_add_f32_e32 v22, v24, v23
	v_cmp_class_f32_e64 s[4:5], v24, s42
	v_sub_f32_e32 v25, v22, v24
	v_sub_f32_e32 v23, v23, v25
	v_cndmask_b32_e64 v22, v22, v24, s[4:5]
	v_cmp_eq_f32_e64 s[4:5], s47, v22
	s_nop 1
	v_cndmask_b32_e64 v24, 0, v18, s[4:5]
	v_sub_f32_e32 v25, v22, v24
	v_mul_f32_e32 v26, 0x3fb8aa3b, v25
	v_fma_f32 v27, v25, s48, -v26
	v_rndne_f32_e32 v28, v26
	v_fmac_f32_e32 v27, 0x32a5705f, v25
	v_sub_f32_e32 v26, v26, v28
	v_add_f32_e32 v26, v26, v27
	v_exp_f32_e32 v26, v26
	v_cvt_i32_f32_e32 v27, v28
	v_cmp_neq_f32_e64 s[4:5], |v22|, s43
	s_nop 1
	v_cndmask_b32_e64 v22, 0, v23, s[4:5]
	v_ldexp_f32 v23, v26, v27
	v_cmp_ngt_f32_e64 s[4:5], s49, v25
	v_add_f32_e32 v22, v24, v22
	s_nop 0
	v_cndmask_b32_e64 v23, 0, v23, s[4:5]
	v_cmp_nlt_f32_e64 s[4:5], s47, v25
	s_nop 1
	v_cndmask_b32_e64 v23, v17, v23, s[4:5]
	v_fma_f32 v22, v23, v22, v23
	v_cmp_class_f32_e64 s[4:5], v23, s42
	s_nop 1
	v_cndmask_b32_e64 v22, v22, v23, s[4:5]
	v_trunc_f32_e32 v23, v36
	v_cmp_eq_f32_e64 s[4:5], v23, v36
	v_mul_f32_e32 v23, 0.5, v36
	v_trunc_f32_e32 v24, v23
	v_cmp_neq_f32_e64 s[6:7], v24, v23
	s_and_b64 s[6:7], s[4:5], s[6:7]
	s_nop 0
	v_cndmask_b32_e64 v23, 1.0, v37, s[6:7]
	v_bfi_b32 v22, s44, v22, v23
	v_cndmask_b32_e64 v23, v19, v22, s[4:5]
	v_cmp_gt_f32_e64 s[4:5], 0, v37
	v_cndmask_b32_e64 v24, 0, v37, s[6:7]
	s_nop 0
	v_cndmask_b32_e64 v22, v22, v23, s[4:5]
	v_cmp_neq_f32_e64 s[4:5], v36, |v36|
	s_xor_b64 s[4:5], s[4:5], s[8:9]
	v_cmp_gt_f32_e64 s[8:9], 0, v36
	v_cndmask_b32_e64 v23, v17, 0, s[4:5]
	v_cmp_neq_f32_e64 s[4:5], |v37|, 1.0
	s_nop 1
	v_cndmask_b32_e64 v23, 1.0, v23, s[4:5]
	v_cmp_class_f32_e64 s[4:5], v36, s42
	s_nop 1
	v_cndmask_b32_e64 v22, v22, v23, s[4:5]
	v_cmp_eq_f32_e64 s[4:5], 0, v37
	s_xor_b64 s[8:9], s[8:9], s[4:5]
	v_cndmask_b32_e64 v23, v17, 0, s[8:9]
	v_bfi_b32 v23, s44, v23, v24
	s_or_b64 s[4:5], s[4:5], s[12:13]
	v_cndmask_b32_e64 v22, v22, v23, s[4:5]
	v_cmp_o_f32_e64 s[4:5], v37, v36
	s_nop 1
	v_cndmask_b32_e64 v22, v19, v22, s[4:5]
	v_cvt_f16_f32_e32 v22, v22
	global_store_short v[10:11], v22, off
	s_or_b64 exec, exec, s[10:11]
	s_and_saveexec_b64 s[8:9], s[2:3]
	s_cbranch_execz .LBB59_14
.LBB59_18:                              ;   in Loop: Header=BB59_4 Depth=1
	s_waitcnt vmcnt(0)
	v_cvt_f32_f16_e32 v22, v21
	v_mov_b32_e32 v23, s33
	v_cmp_neq_f16_e64 s[2:3], 1.0, v21
	s_nop 1
	v_cndmask_b32_e64 v21, 1.0, v23, s[2:3]
	v_cmp_neq_f32_e64 s[2:3], 0, v21
	s_nop 1
	v_cndmask_b32_e64 v36, 1.0, v22, s[2:3]
	v_frexp_mant_f32_e64 v22, |v36|
	v_cmp_gt_f32_e64 s[2:3], s45, v22
	v_cmp_lt_f32_e64 s[6:7], |v36|, 1.0
	v_cmp_class_f32_e64 s[10:11], v36, s42
	v_cndmask_b32_e64 v23, 1.0, 2.0, s[2:3]
	v_mul_f32_e32 v22, v22, v23
	v_add_f32_e32 v25, 1.0, v22
	v_rcp_f32_e32 v30, v25
	v_add_f32_e32 v23, -1.0, v25
	v_sub_f32_e32 v27, v22, v23
	v_add_f32_e32 v23, -1.0, v22
	v_mul_f32_e32 v31, v23, v30
	v_mul_f32_e32 v24, v25, v31
	v_fma_f32 v26, v31, v25, -v24
	v_fmac_f32_e32 v26, v31, v27
	v_add_f32_e32 v22, v24, v26
	v_sub_f32_e32 v25, v23, v22
	v_pk_add_f32 v[28:29], v[22:23], v[24:25] neg_lo:[0,1] neg_hi:[0,1]
	v_mov_b32_e32 v27, v22
	v_pk_add_f32 v[22:23], v[28:29], v[26:27] neg_lo:[0,1] neg_hi:[0,1]
	s_nop 0
	v_add_f32_e32 v22, v22, v23
	v_add_f32_e32 v22, v25, v22
	v_mul_f32_e32 v23, v30, v22
	v_add_f32_e32 v22, v31, v23
	v_sub_f32_e32 v24, v22, v31
	v_sub_f32_e32 v32, v23, v24
	v_mul_f32_e32 v23, v22, v22
	v_fma_f32 v25, v22, v22, -v23
	v_add_f32_e32 v24, v32, v32
	v_fmac_f32_e32 v25, v22, v24
	v_add_f32_e32 v24, v23, v25
	v_fmamk_f32 v26, v24, 0x3e76c4e1, v16
	v_fmaak_f32 v26, v24, v26, 0x3ecccdef
	v_sub_f32_e32 v23, v24, v23
	v_sub_f32_e32 v33, v25, v23
	v_mul_f32_e32 v23, v24, v26
	v_fma_f32 v25, v24, v26, -v23
	v_fmac_f32_e32 v25, v33, v26
	v_add_f32_e32 v26, v23, v25
	v_add_f32_e32 v27, 0x3f2aaaaa, v26
	v_sub_f32_e32 v23, v26, v23
	v_sub_f32_e32 v23, v25, v23
	v_add_f32_e32 v25, 0xbf2aaaaa, v27
	v_add_f32_e32 v23, 0x31739010, v23
	v_sub_f32_e32 v25, v26, v25
	v_pk_mul_f32 v[28:29], v[22:23], v[24:25]
	v_pk_add_f32 v[30:31], v[22:23], v[24:25]
	v_fma_f32 v26, v24, v22, -v28
	v_fmac_f32_e32 v26, v24, v32
	v_mov_b32_e32 v29, v31
	v_fmac_f32_e32 v26, v33, v22
	v_pk_add_f32 v[24:25], v[28:29], v[26:27]
	v_ldexp_f32 v34, v32, 1
	v_sub_f32_e32 v23, v24, v28
	v_sub_f32_e32 v23, v26, v23
	;; [unrolled: 1-line block ×3, first 2 shown]
	v_add_f32_e32 v30, v31, v26
	v_pk_mul_f32 v[26:27], v[24:25], v[24:25] op_sel:[0,1] op_sel_hi:[1,0]
	v_cvt_f64_f32_e64 v[28:29], |v36|
	v_frexp_exp_i32_f64_e32 v27, v[28:29]
	v_subbrev_co_u32_e64 v27, s[2:3], 0, v27, s[2:3]
	v_cvt_f32_i32_e32 v27, v27
	v_fma_f32 v28, v24, v25, -v26
	v_fmac_f32_e32 v28, v24, v30
	v_fmac_f32_e32 v28, v23, v25
	v_mul_f32_e32 v24, 0x3f317218, v27
	v_fma_f32 v30, v27, s46, -v24
	v_fmac_f32_e32 v30, 0xb102e308, v27
	v_ldexp_f32 v31, v22, 1
	v_add_f32_e32 v25, v26, v28
	v_pk_add_f32 v[22:23], v[24:25], v[30:31]
	v_mov_b32_e32 v32, v25
	v_mov_b32_e32 v33, v23
	;; [unrolled: 1-line block ×3, first 2 shown]
	v_pk_add_f32 v[26:27], v[32:33], v[26:27] neg_lo:[0,1] neg_hi:[0,1]
	v_mov_b32_e32 v29, v25
	v_pk_add_f32 v[26:27], v[28:29], v[26:27] neg_lo:[0,1] neg_hi:[0,1]
	v_mov_b32_e32 v31, v22
	v_add_f32_e32 v25, v34, v26
	v_add_f32_e32 v25, v25, v27
	v_pk_add_f32 v[26:27], v[22:23], v[24:25] neg_lo:[0,1] neg_hi:[0,1]
	v_pk_add_f32 v[28:29], v[22:23], v[24:25]
	v_mov_b32_e32 v24, v25
	v_mov_b32_e32 v27, v29
	v_pk_add_f32 v[32:33], v[30:31], v[26:27] neg_lo:[0,1] neg_hi:[0,1]
	v_pk_add_f32 v[26:27], v[30:31], v[26:27]
	v_mov_b32_e32 v25, v22
	v_pk_add_f32 v[30:31], v[26:27], v[22:23] op_sel:[1,0] op_sel_hi:[0,1] neg_lo:[0,1] neg_hi:[0,1]
	v_pk_add_f32 v[34:35], v[28:29], v[30:31] op_sel_hi:[1,0] neg_lo:[0,1] neg_hi:[0,1]
	v_mov_b32_e32 v28, v29
	v_mov_b32_e32 v29, v27
	v_pk_mov_b32 v[30:31], v[22:23], v[30:31] op_sel:[1,0]
	v_mov_b32_e32 v34, v32
	v_pk_add_f32 v[28:29], v[28:29], v[30:31] neg_lo:[0,1] neg_hi:[0,1]
	v_mov_b32_e32 v33, v27
	v_pk_add_f32 v[22:23], v[24:25], v[28:29] neg_lo:[0,1] neg_hi:[0,1]
	s_nop 0
	v_pk_add_f32 v[24:25], v[34:35], v[22:23]
	s_nop 0
	v_pk_add_f32 v[28:29], v[24:25], v[24:25] op_sel:[0,1] op_sel_hi:[1,0]
	s_nop 0
	v_pk_add_f32 v[26:27], v[26:27], v[28:29] op_sel:[1,0] op_sel_hi:[0,1]
	v_mov_b32_e32 v25, v26
	v_pk_add_f32 v[30:31], v[24:25], v[32:33] neg_lo:[0,1] neg_hi:[0,1]
	v_mov_b32_e32 v23, v28
	v_sub_f32_e32 v24, v24, v30
	v_pk_add_f32 v[22:23], v[22:23], v[30:31] neg_lo:[0,1] neg_hi:[0,1]
	v_sub_f32_e32 v24, v32, v24
	v_add_f32_e32 v22, v22, v24
	v_add_f32_e32 v22, v22, v23
	;; [unrolled: 1-line block ×3, first 2 shown]
	v_sub_f32_e32 v24, v23, v26
	v_sub_f32_e32 v22, v22, v24
	v_mul_f32_e32 v24, v21, v23
	v_fma_f32 v23, v21, v23, -v24
	v_fmac_f32_e32 v23, v21, v22
	v_add_f32_e32 v22, v24, v23
	v_cmp_class_f32_e64 s[2:3], v24, s42
	v_sub_f32_e32 v25, v22, v24
	v_sub_f32_e32 v23, v23, v25
	v_cndmask_b32_e64 v22, v22, v24, s[2:3]
	v_cmp_eq_f32_e64 s[2:3], s47, v22
	s_nop 1
	v_cndmask_b32_e64 v24, 0, v18, s[2:3]
	v_sub_f32_e32 v25, v22, v24
	v_mul_f32_e32 v26, 0x3fb8aa3b, v25
	v_fma_f32 v27, v25, s48, -v26
	v_rndne_f32_e32 v28, v26
	v_fmac_f32_e32 v27, 0x32a5705f, v25
	v_sub_f32_e32 v26, v26, v28
	v_add_f32_e32 v26, v26, v27
	v_exp_f32_e32 v26, v26
	v_cvt_i32_f32_e32 v27, v28
	v_cmp_neq_f32_e64 s[2:3], |v22|, s43
	s_nop 1
	v_cndmask_b32_e64 v22, 0, v23, s[2:3]
	v_ldexp_f32 v23, v26, v27
	v_cmp_ngt_f32_e64 s[2:3], s49, v25
	v_add_f32_e32 v22, v24, v22
	s_nop 0
	v_cndmask_b32_e64 v23, 0, v23, s[2:3]
	v_cmp_nlt_f32_e64 s[2:3], s47, v25
	s_nop 1
	v_cndmask_b32_e64 v23, v17, v23, s[2:3]
	v_fma_f32 v22, v23, v22, v23
	v_cmp_class_f32_e64 s[2:3], v23, s42
	s_nop 1
	v_cndmask_b32_e64 v22, v22, v23, s[2:3]
	v_trunc_f32_e32 v23, v21
	v_cmp_eq_f32_e64 s[2:3], v23, v21
	v_mul_f32_e32 v23, 0.5, v21
	v_trunc_f32_e32 v24, v23
	v_cmp_neq_f32_e64 s[4:5], v24, v23
	s_and_b64 s[4:5], s[2:3], s[4:5]
	s_nop 0
	v_cndmask_b32_e64 v23, 1.0, v36, s[4:5]
	v_bfi_b32 v22, s44, v22, v23
	v_cndmask_b32_e64 v23, v19, v22, s[2:3]
	v_cmp_gt_f32_e64 s[2:3], 0, v36
	v_cndmask_b32_e64 v24, 0, v36, s[4:5]
	s_nop 0
	v_cndmask_b32_e64 v22, v22, v23, s[2:3]
	v_cmp_neq_f32_e64 s[2:3], v21, |v21|
	s_xor_b64 s[2:3], s[2:3], s[6:7]
	v_cmp_gt_f32_e64 s[6:7], 0, v21
	v_cndmask_b32_e64 v23, v17, 0, s[2:3]
	v_cmp_neq_f32_e64 s[2:3], |v36|, 1.0
	s_nop 1
	v_cndmask_b32_e64 v23, 1.0, v23, s[2:3]
	v_cmp_class_f32_e64 s[2:3], v21, s42
	s_nop 1
	v_cndmask_b32_e64 v22, v22, v23, s[2:3]
	v_cmp_eq_f32_e64 s[2:3], 0, v36
	s_xor_b64 s[6:7], s[6:7], s[2:3]
	v_cndmask_b32_e64 v23, v17, 0, s[6:7]
	v_bfi_b32 v23, s44, v23, v24
	s_or_b64 s[2:3], s[2:3], s[10:11]
	v_cndmask_b32_e64 v22, v22, v23, s[2:3]
	v_cmp_o_f32_e64 s[2:3], v36, v21
	s_nop 1
	v_cndmask_b32_e64 v21, v19, v22, s[2:3]
	v_cvt_f16_f32_e32 v21, v21
	global_store_short v[14:15], v21, off
	s_or_b64 exec, exec, s[8:9]
	s_and_saveexec_b64 s[6:7], vcc
	s_cbranch_execz .LBB59_3
.LBB59_19:                              ;   in Loop: Header=BB59_4 Depth=1
	s_waitcnt vmcnt(0)
	v_cvt_f32_f16_e32 v14, v20
	v_mov_b32_e32 v15, s33
	v_cmp_neq_f16_e32 vcc, 1.0, v20
	s_nop 1
	v_cndmask_b32_e32 v32, 1.0, v15, vcc
	v_cmp_neq_f32_e32 vcc, 0, v32
	v_cmp_neq_f32_e64 s[4:5], v32, |v32|
	s_nop 0
	v_cndmask_b32_e32 v33, 1.0, v14, vcc
	v_frexp_mant_f32_e64 v14, |v33|
	v_cmp_gt_f32_e32 vcc, s45, v14
	v_cmp_lt_f32_e64 s[8:9], |v33|, 1.0
	s_xor_b64 s[4:5], s[4:5], s[8:9]
	v_cndmask_b32_e64 v15, 1.0, 2.0, vcc
	v_mul_f32_e32 v14, v14, v15
	v_add_f32_e32 v21, 1.0, v14
	v_rcp_f32_e32 v26, v21
	v_add_f32_e32 v15, -1.0, v21
	v_sub_f32_e32 v23, v14, v15
	v_add_f32_e32 v15, -1.0, v14
	v_mul_f32_e32 v27, v15, v26
	v_mul_f32_e32 v20, v21, v27
	v_fma_f32 v22, v27, v21, -v20
	v_fmac_f32_e32 v22, v27, v23
	v_add_f32_e32 v14, v20, v22
	v_sub_f32_e32 v21, v15, v14
	v_pk_add_f32 v[24:25], v[14:15], v[20:21] neg_lo:[0,1] neg_hi:[0,1]
	v_mov_b32_e32 v23, v14
	v_pk_add_f32 v[14:15], v[24:25], v[22:23] neg_lo:[0,1] neg_hi:[0,1]
	v_cmp_class_f32_e64 s[8:9], v33, s42
	v_add_f32_e32 v14, v14, v15
	v_add_f32_e32 v14, v21, v14
	v_mul_f32_e32 v15, v26, v14
	v_add_f32_e32 v14, v27, v15
	v_sub_f32_e32 v20, v14, v27
	v_sub_f32_e32 v28, v15, v20
	v_mul_f32_e32 v15, v14, v14
	v_fma_f32 v21, v14, v14, -v15
	v_add_f32_e32 v20, v28, v28
	v_fmac_f32_e32 v21, v14, v20
	v_add_f32_e32 v20, v15, v21
	v_fmamk_f32 v22, v20, 0x3e76c4e1, v16
	v_fmaak_f32 v22, v20, v22, 0x3ecccdef
	v_sub_f32_e32 v15, v20, v15
	v_sub_f32_e32 v29, v21, v15
	v_mul_f32_e32 v15, v20, v22
	v_fma_f32 v21, v20, v22, -v15
	v_fmac_f32_e32 v21, v29, v22
	v_add_f32_e32 v22, v15, v21
	v_add_f32_e32 v23, 0x3f2aaaaa, v22
	v_sub_f32_e32 v15, v22, v15
	v_sub_f32_e32 v15, v21, v15
	v_add_f32_e32 v21, 0xbf2aaaaa, v23
	v_add_f32_e32 v15, 0x31739010, v15
	v_sub_f32_e32 v21, v22, v21
	v_pk_mul_f32 v[24:25], v[14:15], v[20:21]
	v_pk_add_f32 v[26:27], v[14:15], v[20:21]
	v_fma_f32 v22, v20, v14, -v24
	v_fmac_f32_e32 v22, v20, v28
	v_mov_b32_e32 v25, v27
	v_fmac_f32_e32 v22, v29, v14
	v_pk_add_f32 v[20:21], v[24:25], v[22:23]
	v_ldexp_f32 v30, v28, 1
	v_sub_f32_e32 v15, v20, v24
	v_sub_f32_e32 v15, v22, v15
	;; [unrolled: 1-line block ×3, first 2 shown]
	v_add_f32_e32 v26, v27, v22
	v_pk_mul_f32 v[22:23], v[20:21], v[20:21] op_sel:[0,1] op_sel_hi:[1,0]
	v_cvt_f64_f32_e64 v[24:25], |v33|
	v_frexp_exp_i32_f64_e32 v23, v[24:25]
	v_subbrev_co_u32_e32 v23, vcc, 0, v23, vcc
	v_cvt_f32_i32_e32 v23, v23
	v_fma_f32 v24, v20, v21, -v22
	v_fmac_f32_e32 v24, v20, v26
	v_fmac_f32_e32 v24, v15, v21
	v_mul_f32_e32 v20, 0x3f317218, v23
	v_fma_f32 v26, v23, s46, -v20
	v_fmac_f32_e32 v26, 0xb102e308, v23
	v_ldexp_f32 v27, v14, 1
	v_add_f32_e32 v21, v22, v24
	v_pk_add_f32 v[14:15], v[20:21], v[26:27]
	v_mov_b32_e32 v28, v21
	v_mov_b32_e32 v29, v15
	v_mov_b32_e32 v23, v27
	v_pk_add_f32 v[22:23], v[28:29], v[22:23] neg_lo:[0,1] neg_hi:[0,1]
	v_mov_b32_e32 v25, v21
	v_pk_add_f32 v[22:23], v[24:25], v[22:23] neg_lo:[0,1] neg_hi:[0,1]
	v_mov_b32_e32 v27, v14
	v_add_f32_e32 v21, v30, v22
	v_add_f32_e32 v21, v21, v23
	v_pk_add_f32 v[22:23], v[14:15], v[20:21] neg_lo:[0,1] neg_hi:[0,1]
	v_pk_add_f32 v[24:25], v[14:15], v[20:21]
	v_mov_b32_e32 v20, v21
	v_mov_b32_e32 v23, v25
	v_pk_add_f32 v[28:29], v[26:27], v[22:23] neg_lo:[0,1] neg_hi:[0,1]
	v_pk_add_f32 v[22:23], v[26:27], v[22:23]
	v_mov_b32_e32 v21, v14
	v_pk_add_f32 v[26:27], v[22:23], v[14:15] op_sel:[1,0] op_sel_hi:[0,1] neg_lo:[0,1] neg_hi:[0,1]
	v_pk_add_f32 v[30:31], v[24:25], v[26:27] op_sel_hi:[1,0] neg_lo:[0,1] neg_hi:[0,1]
	v_mov_b32_e32 v24, v25
	v_mov_b32_e32 v25, v23
	v_pk_mov_b32 v[26:27], v[14:15], v[26:27] op_sel:[1,0]
	v_mov_b32_e32 v30, v28
	v_pk_add_f32 v[24:25], v[24:25], v[26:27] neg_lo:[0,1] neg_hi:[0,1]
	v_mov_b32_e32 v29, v23
	v_pk_add_f32 v[14:15], v[20:21], v[24:25] neg_lo:[0,1] neg_hi:[0,1]
	s_nop 0
	v_pk_add_f32 v[20:21], v[30:31], v[14:15]
	s_nop 0
	v_pk_add_f32 v[24:25], v[20:21], v[20:21] op_sel:[0,1] op_sel_hi:[1,0]
	s_nop 0
	v_pk_add_f32 v[22:23], v[22:23], v[24:25] op_sel:[1,0] op_sel_hi:[0,1]
	v_mov_b32_e32 v21, v22
	v_pk_add_f32 v[26:27], v[20:21], v[28:29] neg_lo:[0,1] neg_hi:[0,1]
	v_mov_b32_e32 v15, v24
	v_sub_f32_e32 v20, v20, v26
	v_pk_add_f32 v[14:15], v[14:15], v[26:27] neg_lo:[0,1] neg_hi:[0,1]
	v_sub_f32_e32 v20, v28, v20
	v_add_f32_e32 v14, v14, v20
	v_add_f32_e32 v14, v14, v15
	;; [unrolled: 1-line block ×3, first 2 shown]
	v_sub_f32_e32 v20, v15, v22
	v_sub_f32_e32 v14, v14, v20
	v_mul_f32_e32 v20, v32, v15
	v_fma_f32 v15, v32, v15, -v20
	v_fmac_f32_e32 v15, v32, v14
	v_add_f32_e32 v14, v20, v15
	v_cmp_class_f32_e64 vcc, v20, s42
	v_sub_f32_e32 v21, v14, v20
	v_sub_f32_e32 v15, v15, v21
	v_cndmask_b32_e32 v14, v14, v20, vcc
	v_cmp_eq_f32_e32 vcc, s47, v14
	s_nop 1
	v_cndmask_b32_e32 v20, 0, v18, vcc
	v_sub_f32_e32 v21, v14, v20
	v_mul_f32_e32 v22, 0x3fb8aa3b, v21
	v_fma_f32 v23, v21, s48, -v22
	v_rndne_f32_e32 v24, v22
	v_fmac_f32_e32 v23, 0x32a5705f, v21
	v_sub_f32_e32 v22, v22, v24
	v_add_f32_e32 v22, v22, v23
	v_exp_f32_e32 v22, v22
	v_cvt_i32_f32_e32 v23, v24
	v_cmp_neq_f32_e64 vcc, |v14|, s43
	s_nop 1
	v_cndmask_b32_e32 v14, 0, v15, vcc
	v_ldexp_f32 v15, v22, v23
	v_cmp_ngt_f32_e32 vcc, s49, v21
	v_add_f32_e32 v14, v20, v14
	s_nop 0
	v_cndmask_b32_e32 v15, 0, v15, vcc
	v_cmp_nlt_f32_e32 vcc, s47, v21
	s_nop 1
	v_cndmask_b32_e32 v15, v17, v15, vcc
	v_fma_f32 v14, v15, v14, v15
	v_cmp_class_f32_e64 vcc, v15, s42
	s_nop 1
	v_cndmask_b32_e32 v14, v14, v15, vcc
	v_trunc_f32_e32 v15, v32
	v_cmp_eq_f32_e32 vcc, v15, v32
	v_mul_f32_e32 v15, 0.5, v32
	v_trunc_f32_e32 v20, v15
	v_cmp_neq_f32_e64 s[2:3], v20, v15
	s_and_b64 s[2:3], vcc, s[2:3]
	s_nop 0
	v_cndmask_b32_e64 v15, 1.0, v33, s[2:3]
	v_bfi_b32 v14, s44, v14, v15
	v_cndmask_b32_e32 v15, v19, v14, vcc
	v_cmp_gt_f32_e32 vcc, 0, v33
	v_cndmask_b32_e64 v20, 0, v33, s[2:3]
	s_nop 0
	v_cndmask_b32_e32 v14, v14, v15, vcc
	v_cndmask_b32_e64 v15, v17, 0, s[4:5]
	v_cmp_neq_f32_e64 vcc, |v33|, 1.0
	v_cmp_gt_f32_e64 s[4:5], 0, v32
	s_nop 0
	v_cndmask_b32_e32 v15, 1.0, v15, vcc
	v_cmp_class_f32_e64 vcc, v32, s42
	s_nop 1
	v_cndmask_b32_e32 v14, v14, v15, vcc
	v_cmp_eq_f32_e32 vcc, 0, v33
	s_xor_b64 s[4:5], s[4:5], vcc
	v_cndmask_b32_e64 v15, v17, 0, s[4:5]
	v_bfi_b32 v15, s44, v15, v20
	s_or_b64 vcc, vcc, s[8:9]
	v_cndmask_b32_e32 v14, v14, v15, vcc
	v_cmp_o_f32_e32 vcc, v33, v32
	s_nop 1
	v_cndmask_b32_e32 v14, v19, v14, vcc
	v_cvt_f16_f32_e32 v14, v14
	global_store_short v[12:13], v14, off
	s_branch .LBB59_3
.LBB59_20:
	s_cbranch_execz .LBB59_22
	s_branch .LBB59_25
.LBB59_21:
.LBB59_22:
	v_mov_b64_e32 v[4:5], 0x10000
	v_cmp_lt_i64_e32 vcc, s[20:21], v[4:5]
	s_and_b64 s[2:3], vcc, exec
	v_mov_b32_e32 v3, 0
	s_cselect_b32 s9, s21, 0
	s_cselect_b32 s8, s20, 0x10000
	v_lshlrev_b32_e32 v2, 2, v0
	s_mov_b32 s7, 0
	v_cmp_gt_i64_e32 vcc, s[8:9], v[2:3]
	s_and_saveexec_b64 s[2:3], vcc
	s_cbranch_execz .LBB59_25
; %bb.23:
	s_load_dword s0, s[0:1], 0xd3c
	v_lshlrev_b32_e32 v2, 3, v0
	v_mov_b32_e32 v1, v3
                                        ; implicit-def: $vgpr6
	s_mov_b32 s11, s7
	s_mov_b64 s[12:13], 0
	s_waitcnt lgkmcnt(0)
	s_and_b32 s6, s0, 0xffff
	s_add_u32 s0, s16, s18
	s_addc_u32 s1, s17, s19
	v_lshl_add_u64 v[2:3], s[0:1], 0, v[2:3]
	s_lshl_b32 s10, s6, 3
	v_lshl_add_u64 v[2:3], v[2:3], 0, 4
	v_mov_b32_e32 v4, s33
	s_mov_b32 s16, 0x3f2aaaab
	v_mov_b32_e32 v5, 0x3e91f4c4
	s_mov_b32 s17, 0x3f317218
	s_movk_i32 s18, 0x204
	s_mov_b32 s19, 0x7f800000
	s_mov_b32 s20, 0x42b17218
	v_mov_b32_e32 v6, 0x37000000
	s_mov_b32 s21, 0x3fb8aa3b
	s_mov_b32 s22, 0xc2ce8ed0
	v_mov_b32_e32 v7, 0x7f800000
	s_brev_b32 s23, -2
	v_mov_b32_e32 v8, 0x7fc00000
	v_mov_b32_e32 v9, 0x3c00
.LBB59_24:                              ; =>This Inner Loop Header: Depth=1
	global_load_dwordx2 v[14:15], v[2:3], off offset:-4
	global_load_dword v12, v[2:3], off offset:-2
	global_load_ushort v10, v[2:3], off offset:2
	v_lshl_add_u64 v[0:1], v[0:1], 0, s[6:7]
	s_waitcnt vmcnt(2)
	v_cvt_f32_f16_e32 v11, v14
	v_cmp_neq_f16_e32 vcc, 1.0, v14
	s_waitcnt vmcnt(1)
	v_cvt_f32_f16_e32 v28, v12
	v_cndmask_b32_e32 v13, 1.0, v4, vcc
	v_trunc_f32_e32 v14, v13
	v_mul_f32_e32 v15, 0.5, v13
	v_cmp_eq_f32_e32 vcc, v14, v13
	v_trunc_f32_e32 v14, v15
	v_cmp_neq_f32_e64 s[4:5], 0, v13
	v_cmp_neq_f32_e64 s[0:1], v14, v15
	v_cmp_gt_f32_e64 s[2:3], 0, v13
	v_cndmask_b32_e64 v11, 1.0, v11, s[4:5]
	v_frexp_mant_f32_e64 v16, |v11|
	s_and_b64 s[4:5], vcc, s[0:1]
	v_cndmask_b32_e64 v29, 1.0, v11, s[4:5]
	v_cmp_eq_f32_e64 s[0:1], 0, v11
	v_cndmask_b32_e64 v17, 0, v11, s[4:5]
	v_cmp_gt_f32_e64 s[4:5], s16, v16
	s_xor_b64 s[2:3], s[2:3], s[0:1]
	v_cndmask_b32_e64 v19, v7, 0, s[2:3]
	v_cndmask_b32_e64 v18, 1.0, 2.0, s[4:5]
	v_mul_f32_e32 v16, v16, v18
	v_cvt_f64_f32_e64 v[14:15], |v11|
	v_bfi_b32 v31, s23, v19, v17
	v_add_f32_e32 v17, 1.0, v16
	v_cmp_neq_f32_e64 s[24:25], v13, |v13|
	v_cmp_lt_f32_e64 s[26:27], |v11|, 1.0
	v_frexp_exp_i32_f64_e32 v14, v[14:15]
	v_rcp_f32_e32 v19, v17
	s_xor_b64 s[24:25], s[24:25], s[26:27]
	v_subbrev_co_u32_e64 v14, s[2:3], 0, v14, s[4:5]
	v_cndmask_b32_e64 v15, v7, 0, s[24:25]
	v_cmp_neq_f32_e64 s[2:3], |v11|, 1.0
	v_cvt_f32_i32_e32 v14, v14
	v_add_f32_e32 v18, -1.0, v17
	v_cndmask_b32_e64 v30, 1.0, v15, s[2:3]
	v_add_f32_e32 v15, -1.0, v16
	v_mul_f32_e32 v24, v15, v19
	v_mul_f32_e32 v20, v17, v24
	v_sub_f32_e32 v21, v16, v18
	v_mul_f32_e32 v16, 0x3f317218, v14
	v_fma_f32 v22, v24, v17, -v20
	v_fma_f32 v18, v14, s17, -v16
	v_fmac_f32_e32 v22, v24, v21
	v_fmac_f32_e32 v18, 0xb102e308, v14
	v_add_f32_e32 v14, v20, v22
	v_sub_f32_e32 v21, v15, v14
	v_mov_b32_e32 v23, v14
	v_pk_add_f32 v[14:15], v[14:15], v[20:21] neg_lo:[0,1] neg_hi:[0,1]
	v_cmp_class_f32_e64 s[14:15], v11, s18
	v_pk_add_f32 v[14:15], v[14:15], v[22:23] neg_lo:[0,1] neg_hi:[0,1]
	s_nop 0
	v_add_f32_e32 v14, v14, v15
	v_add_f32_e32 v14, v21, v14
	v_mul_f32_e32 v15, v19, v14
	v_add_f32_e32 v14, v24, v15
	v_sub_f32_e32 v17, v14, v24
	v_mul_f32_e32 v21, v14, v14
	v_sub_f32_e32 v17, v15, v17
	v_fma_f32 v15, v14, v14, -v21
	v_add_f32_e32 v20, v17, v17
	v_fmac_f32_e32 v15, v14, v20
	v_add_f32_e32 v20, v21, v15
	v_fmamk_f32 v22, v20, 0x3e76c4e1, v5
	v_sub_f32_e32 v21, v20, v21
	v_fmaak_f32 v22, v20, v22, 0x3ecccdef
	v_sub_f32_e32 v33, v15, v21
	v_mul_f32_e32 v15, v20, v22
	v_fma_f32 v21, v20, v22, -v15
	v_fmac_f32_e32 v21, v33, v22
	v_add_f32_e32 v22, v15, v21
	v_add_f32_e32 v23, 0x3f2aaaaa, v22
	v_sub_f32_e32 v15, v22, v15
	v_sub_f32_e32 v15, v21, v15
	v_add_f32_e32 v21, 0xbf2aaaaa, v23
	v_add_f32_e32 v15, 0x31739010, v15
	v_sub_f32_e32 v21, v22, v21
	v_pk_mul_f32 v[24:25], v[14:15], v[20:21]
	v_pk_add_f32 v[26:27], v[14:15], v[20:21]
	v_fma_f32 v22, v20, v14, -v24
	v_fmac_f32_e32 v22, v20, v17
	v_mov_b32_e32 v25, v27
	v_fmac_f32_e32 v22, v33, v14
	v_ldexp_f32 v19, v14, 1
	v_pk_add_f32 v[14:15], v[24:25], v[22:23]
	v_ldexp_f32 v32, v17, 1
	v_sub_f32_e32 v17, v14, v24
	v_sub_f32_e32 v23, v23, v15
	v_pk_mul_f32 v[20:21], v[14:15], v[14:15] op_sel:[0,1] op_sel_hi:[1,0]
	v_sub_f32_e32 v17, v22, v17
	v_add_f32_e32 v23, v27, v23
	v_fma_f32 v22, v14, v15, -v20
	v_fmac_f32_e32 v22, v14, v23
	v_fmac_f32_e32 v22, v17, v15
	v_add_f32_e32 v17, v20, v22
	v_pk_add_f32 v[14:15], v[16:17], v[18:19]
	v_mov_b32_e32 v21, v19
	v_mov_b32_e32 v24, v17
	;; [unrolled: 1-line block ×4, first 2 shown]
	v_pk_add_f32 v[20:21], v[24:25], v[20:21] neg_lo:[0,1] neg_hi:[0,1]
	v_mov_b32_e32 v19, v14
	v_pk_add_f32 v[20:21], v[22:23], v[20:21] neg_lo:[0,1] neg_hi:[0,1]
	v_mov_b32_e32 v27, v14
	v_add_f32_e32 v17, v32, v20
	v_add_f32_e32 v17, v17, v21
	v_pk_add_f32 v[20:21], v[14:15], v[16:17] neg_lo:[0,1] neg_hi:[0,1]
	v_pk_add_f32 v[22:23], v[14:15], v[16:17]
	v_mov_b32_e32 v26, v17
	v_mov_b32_e32 v21, v23
	v_pk_add_f32 v[24:25], v[18:19], v[20:21] neg_lo:[0,1] neg_hi:[0,1]
	v_pk_add_f32 v[18:19], v[18:19], v[20:21]
	v_mov_b32_e32 v16, v23
	v_pk_add_f32 v[20:21], v[18:19], v[14:15] op_sel:[1,0] op_sel_hi:[0,1] neg_lo:[0,1] neg_hi:[0,1]
	v_mov_b32_e32 v17, v19
	v_pk_mov_b32 v[14:15], v[14:15], v[20:21] op_sel:[1,0]
	v_pk_add_f32 v[22:23], v[22:23], v[20:21] op_sel_hi:[1,0] neg_lo:[0,1] neg_hi:[0,1]
	v_pk_add_f32 v[14:15], v[16:17], v[14:15] neg_lo:[0,1] neg_hi:[0,1]
	v_mov_b32_e32 v22, v24
	v_pk_add_f32 v[14:15], v[26:27], v[14:15] neg_lo:[0,1] neg_hi:[0,1]
	v_mov_b32_e32 v25, v19
	v_pk_add_f32 v[16:17], v[22:23], v[14:15]
	s_nop 0
	v_pk_add_f32 v[20:21], v[16:17], v[16:17] op_sel:[0,1] op_sel_hi:[1,0]
	s_nop 0
	v_pk_add_f32 v[18:19], v[18:19], v[20:21] op_sel:[1,0] op_sel_hi:[0,1]
	v_mov_b32_e32 v17, v18
	v_mov_b32_e32 v15, v20
	v_pk_add_f32 v[20:21], v[16:17], v[24:25] neg_lo:[0,1] neg_hi:[0,1]
	s_nop 0
	v_sub_f32_e32 v16, v16, v20
	v_pk_add_f32 v[14:15], v[14:15], v[20:21] neg_lo:[0,1] neg_hi:[0,1]
	v_sub_f32_e32 v16, v24, v16
	v_add_f32_e32 v14, v14, v16
	v_add_f32_e32 v14, v14, v15
	;; [unrolled: 1-line block ×3, first 2 shown]
	v_sub_f32_e32 v16, v15, v18
	v_mul_f32_e32 v17, v13, v15
	v_sub_f32_e32 v14, v14, v16
	v_fma_f32 v15, v13, v15, -v17
	v_fmac_f32_e32 v15, v13, v14
	v_add_f32_e32 v14, v17, v15
	v_cmp_class_f32_e64 s[2:3], v17, s18
	v_sub_f32_e32 v16, v14, v17
	v_sub_f32_e32 v15, v15, v16
	v_cndmask_b32_e64 v14, v14, v17, s[2:3]
	v_cmp_eq_f32_e64 s[2:3], s20, v14
	s_nop 1
	v_cndmask_b32_e64 v16, 0, v6, s[2:3]
	v_sub_f32_e32 v17, v14, v16
	v_mul_f32_e32 v18, 0x3fb8aa3b, v17
	v_fma_f32 v19, v17, s21, -v18
	v_rndne_f32_e32 v20, v18
	v_fmac_f32_e32 v19, 0x32a5705f, v17
	v_sub_f32_e32 v18, v18, v20
	v_add_f32_e32 v18, v18, v19
	v_cvt_i32_f32_e32 v20, v20
	v_exp_f32_e32 v18, v18
	v_cmp_neq_f32_e64 s[2:3], |v14|, s19
	s_nop 1
	v_cndmask_b32_e64 v14, 0, v15, s[2:3]
	v_ldexp_f32 v15, v18, v20
	v_cmp_ngt_f32_e64 s[2:3], s22, v17
	v_add_f32_e32 v14, v16, v14
	s_nop 0
	v_cndmask_b32_e64 v15, 0, v15, s[2:3]
	v_cmp_nlt_f32_e64 s[2:3], s20, v17
	s_nop 1
	v_cndmask_b32_e64 v15, v7, v15, s[2:3]
	v_fma_f32 v14, v15, v14, v15
	v_cmp_class_f32_e64 s[2:3], v15, s18
	s_nop 1
	v_cndmask_b32_e64 v14, v14, v15, s[2:3]
	v_bfi_b32 v14, s23, v14, v29
	v_cndmask_b32_e32 v15, v8, v14, vcc
	v_cmp_gt_f32_e32 vcc, 0, v11
	s_nop 1
	v_cndmask_b32_e32 v14, v14, v15, vcc
	v_cmp_class_f32_e64 vcc, v13, s18
	s_nop 1
	v_cndmask_b32_e32 v14, v14, v30, vcc
	s_or_b64 vcc, s[0:1], s[14:15]
	v_cndmask_b32_e32 v14, v14, v31, vcc
	v_cmp_o_f32_e32 vcc, v11, v13
	s_nop 1
	v_cndmask_b32_e32 v11, v8, v14, vcc
	v_cmp_neq_f16_e32 vcc, 1.0, v12
	s_nop 1
	v_cndmask_b32_e32 v13, 1.0, v4, vcc
	v_cmp_neq_f32_e32 vcc, 0, v13
	v_cmp_neq_f32_e64 s[2:3], v13, |v13|
	s_nop 0
	v_cndmask_b32_e32 v28, 1.0, v28, vcc
	v_frexp_mant_f32_e64 v14, |v28|
	v_cmp_gt_f32_e32 vcc, s16, v14
	v_cmp_lt_f32_e64 s[4:5], |v28|, 1.0
	s_xor_b64 s[2:3], s[2:3], s[4:5]
	v_cndmask_b32_e64 v15, 1.0, 2.0, vcc
	v_mul_f32_e32 v14, v14, v15
	v_add_f32_e32 v17, 1.0, v14
	v_rcp_f32_e32 v22, v17
	v_add_f32_e32 v15, -1.0, v17
	v_sub_f32_e32 v19, v14, v15
	v_add_f32_e32 v15, -1.0, v14
	v_mul_f32_e32 v23, v15, v22
	v_mul_f32_e32 v16, v17, v23
	v_fma_f32 v18, v23, v17, -v16
	v_fmac_f32_e32 v18, v23, v19
	v_add_f32_e32 v14, v16, v18
	v_sub_f32_e32 v17, v15, v14
	v_pk_add_f32 v[20:21], v[14:15], v[16:17] neg_lo:[0,1] neg_hi:[0,1]
	v_mov_b32_e32 v19, v14
	v_pk_add_f32 v[14:15], v[20:21], v[18:19] neg_lo:[0,1] neg_hi:[0,1]
	v_cmp_class_f32_e64 s[4:5], v28, s18
	v_add_f32_e32 v14, v14, v15
	v_add_f32_e32 v14, v17, v14
	v_mul_f32_e32 v15, v22, v14
	v_add_f32_e32 v14, v23, v15
	v_sub_f32_e32 v16, v14, v23
	v_sub_f32_e32 v24, v15, v16
	v_mul_f32_e32 v15, v14, v14
	v_fma_f32 v17, v14, v14, -v15
	v_add_f32_e32 v16, v24, v24
	v_fmac_f32_e32 v17, v14, v16
	v_add_f32_e32 v16, v15, v17
	v_fmamk_f32 v18, v16, 0x3e76c4e1, v5
	v_fmaak_f32 v18, v16, v18, 0x3ecccdef
	v_sub_f32_e32 v15, v16, v15
	v_sub_f32_e32 v25, v17, v15
	v_mul_f32_e32 v15, v16, v18
	v_fma_f32 v17, v16, v18, -v15
	v_fmac_f32_e32 v17, v25, v18
	v_add_f32_e32 v18, v15, v17
	v_add_f32_e32 v19, 0x3f2aaaaa, v18
	v_sub_f32_e32 v15, v18, v15
	v_sub_f32_e32 v15, v17, v15
	v_add_f32_e32 v17, 0xbf2aaaaa, v19
	v_add_f32_e32 v15, 0x31739010, v15
	v_sub_f32_e32 v17, v18, v17
	v_pk_mul_f32 v[20:21], v[14:15], v[16:17]
	v_pk_add_f32 v[22:23], v[14:15], v[16:17]
	v_fma_f32 v18, v16, v14, -v20
	v_fmac_f32_e32 v18, v16, v24
	v_mov_b32_e32 v21, v23
	v_fmac_f32_e32 v18, v25, v14
	v_pk_add_f32 v[16:17], v[20:21], v[18:19]
	v_ldexp_f32 v26, v24, 1
	v_sub_f32_e32 v15, v16, v20
	v_sub_f32_e32 v15, v18, v15
	;; [unrolled: 1-line block ×3, first 2 shown]
	v_add_f32_e32 v22, v23, v18
	v_pk_mul_f32 v[18:19], v[16:17], v[16:17] op_sel:[0,1] op_sel_hi:[1,0]
	v_cvt_f64_f32_e64 v[20:21], |v28|
	v_frexp_exp_i32_f64_e32 v19, v[20:21]
	v_subbrev_co_u32_e32 v19, vcc, 0, v19, vcc
	v_cvt_f32_i32_e32 v19, v19
	v_fma_f32 v20, v16, v17, -v18
	v_fmac_f32_e32 v20, v16, v22
	v_fmac_f32_e32 v20, v15, v17
	v_mul_f32_e32 v16, 0x3f317218, v19
	v_fma_f32 v22, v19, s17, -v16
	v_fmac_f32_e32 v22, 0xb102e308, v19
	v_ldexp_f32 v23, v14, 1
	v_add_f32_e32 v17, v18, v20
	v_pk_add_f32 v[14:15], v[16:17], v[22:23]
	v_mov_b32_e32 v24, v17
	v_mov_b32_e32 v25, v15
	;; [unrolled: 1-line block ×3, first 2 shown]
	v_pk_add_f32 v[18:19], v[24:25], v[18:19] neg_lo:[0,1] neg_hi:[0,1]
	v_mov_b32_e32 v21, v17
	v_pk_add_f32 v[18:19], v[20:21], v[18:19] neg_lo:[0,1] neg_hi:[0,1]
	v_mov_b32_e32 v23, v14
	v_add_f32_e32 v17, v26, v18
	v_add_f32_e32 v17, v17, v19
	v_pk_add_f32 v[18:19], v[14:15], v[16:17] neg_lo:[0,1] neg_hi:[0,1]
	v_pk_add_f32 v[20:21], v[14:15], v[16:17]
	v_mov_b32_e32 v16, v17
	v_mov_b32_e32 v19, v21
	v_pk_add_f32 v[24:25], v[22:23], v[18:19] neg_lo:[0,1] neg_hi:[0,1]
	v_pk_add_f32 v[18:19], v[22:23], v[18:19]
	v_mov_b32_e32 v17, v14
	v_pk_add_f32 v[22:23], v[18:19], v[14:15] op_sel:[1,0] op_sel_hi:[0,1] neg_lo:[0,1] neg_hi:[0,1]
	v_pk_add_f32 v[26:27], v[20:21], v[22:23] op_sel_hi:[1,0] neg_lo:[0,1] neg_hi:[0,1]
	v_mov_b32_e32 v20, v21
	v_mov_b32_e32 v21, v19
	v_pk_mov_b32 v[22:23], v[14:15], v[22:23] op_sel:[1,0]
	v_mov_b32_e32 v26, v24
	v_pk_add_f32 v[20:21], v[20:21], v[22:23] neg_lo:[0,1] neg_hi:[0,1]
	v_mov_b32_e32 v25, v19
	v_pk_add_f32 v[14:15], v[16:17], v[20:21] neg_lo:[0,1] neg_hi:[0,1]
	s_nop 0
	v_pk_add_f32 v[16:17], v[26:27], v[14:15]
	s_nop 0
	v_pk_add_f32 v[20:21], v[16:17], v[16:17] op_sel:[0,1] op_sel_hi:[1,0]
	s_nop 0
	v_pk_add_f32 v[18:19], v[18:19], v[20:21] op_sel:[1,0] op_sel_hi:[0,1]
	v_mov_b32_e32 v17, v18
	v_pk_add_f32 v[22:23], v[16:17], v[24:25] neg_lo:[0,1] neg_hi:[0,1]
	v_mov_b32_e32 v15, v20
	v_sub_f32_e32 v16, v16, v22
	v_pk_add_f32 v[14:15], v[14:15], v[22:23] neg_lo:[0,1] neg_hi:[0,1]
	v_sub_f32_e32 v16, v24, v16
	v_add_f32_e32 v14, v14, v16
	v_add_f32_e32 v14, v14, v15
	;; [unrolled: 1-line block ×3, first 2 shown]
	v_sub_f32_e32 v16, v15, v18
	v_sub_f32_e32 v14, v14, v16
	v_mul_f32_e32 v16, v13, v15
	v_fma_f32 v15, v13, v15, -v16
	v_fmac_f32_e32 v15, v13, v14
	v_add_f32_e32 v14, v16, v15
	v_cmp_class_f32_e64 vcc, v16, s18
	v_sub_f32_e32 v17, v14, v16
	v_sub_f32_e32 v15, v15, v17
	v_cndmask_b32_e32 v14, v14, v16, vcc
	v_cmp_eq_f32_e32 vcc, s20, v14
	s_nop 1
	v_cndmask_b32_e32 v16, 0, v6, vcc
	v_sub_f32_e32 v17, v14, v16
	v_mul_f32_e32 v18, 0x3fb8aa3b, v17
	v_fma_f32 v19, v17, s21, -v18
	v_rndne_f32_e32 v20, v18
	v_fmac_f32_e32 v19, 0x32a5705f, v17
	v_sub_f32_e32 v18, v18, v20
	v_add_f32_e32 v18, v18, v19
	v_exp_f32_e32 v18, v18
	v_cvt_i32_f32_e32 v19, v20
	v_cmp_neq_f32_e64 vcc, |v14|, s19
	s_nop 1
	v_cndmask_b32_e32 v14, 0, v15, vcc
	v_ldexp_f32 v15, v18, v19
	v_cmp_ngt_f32_e32 vcc, s22, v17
	v_add_f32_e32 v14, v16, v14
	s_nop 0
	v_cndmask_b32_e32 v15, 0, v15, vcc
	v_cmp_nlt_f32_e32 vcc, s20, v17
	s_nop 1
	v_cndmask_b32_e32 v15, v7, v15, vcc
	v_fma_f32 v14, v15, v14, v15
	v_cmp_class_f32_e64 vcc, v15, s18
	s_nop 1
	v_cndmask_b32_e32 v14, v14, v15, vcc
	v_trunc_f32_e32 v15, v13
	v_cmp_eq_f32_e32 vcc, v15, v13
	v_mul_f32_e32 v15, 0.5, v13
	v_trunc_f32_e32 v16, v15
	v_cmp_neq_f32_e64 s[0:1], v16, v15
	s_and_b64 s[0:1], vcc, s[0:1]
	s_nop 0
	v_cndmask_b32_e64 v15, 1.0, v28, s[0:1]
	v_bfi_b32 v14, s23, v14, v15
	v_cndmask_b32_e32 v15, v8, v14, vcc
	v_cmp_gt_f32_e32 vcc, 0, v28
	v_cndmask_b32_e64 v16, 0, v28, s[0:1]
	s_nop 0
	v_cndmask_b32_e32 v14, v14, v15, vcc
	v_cndmask_b32_e64 v15, v7, 0, s[2:3]
	v_cmp_neq_f32_e64 vcc, |v28|, 1.0
	v_cmp_gt_f32_e64 s[2:3], 0, v13
	s_nop 0
	v_cndmask_b32_e32 v15, 1.0, v15, vcc
	v_cmp_class_f32_e64 vcc, v13, s18
	s_nop 1
	v_cndmask_b32_e32 v14, v14, v15, vcc
	v_cmp_eq_f32_e32 vcc, 0, v28
	s_xor_b64 s[2:3], s[2:3], vcc
	v_cndmask_b32_e64 v15, v7, 0, s[2:3]
	v_bfi_b32 v15, s23, v15, v16
	s_or_b64 vcc, vcc, s[4:5]
	v_cndmask_b32_e32 v14, v14, v15, vcc
	v_cmp_o_f32_e32 vcc, v28, v13
	v_cvt_f32_f16_sdwa v13, v12 dst_sel:DWORD dst_unused:UNUSED_PAD src0_sel:WORD_1
	s_nop 0
	v_cndmask_b32_e32 v26, v8, v14, vcc
	v_cmp_neq_f16_sdwa vcc, v12, v9 src0_sel:WORD_1 src1_sel:DWORD
	s_nop 1
	v_cndmask_b32_e32 v27, 1.0, v4, vcc
	v_cmp_neq_f32_e32 vcc, 0, v27
	v_cmp_neq_f32_e64 s[2:3], v27, |v27|
	s_nop 0
	v_cndmask_b32_e32 v28, 1.0, v13, vcc
	v_frexp_mant_f32_e64 v12, |v28|
	v_cmp_gt_f32_e32 vcc, s16, v12
	v_cmp_lt_f32_e64 s[4:5], |v28|, 1.0
	s_xor_b64 s[2:3], s[2:3], s[4:5]
	v_cndmask_b32_e64 v13, 1.0, 2.0, vcc
	v_mul_f32_e32 v12, v12, v13
	v_add_f32_e32 v15, 1.0, v12
	v_rcp_f32_e32 v20, v15
	v_add_f32_e32 v13, -1.0, v15
	v_sub_f32_e32 v17, v12, v13
	v_add_f32_e32 v13, -1.0, v12
	v_mul_f32_e32 v21, v13, v20
	v_mul_f32_e32 v14, v15, v21
	v_fma_f32 v16, v21, v15, -v14
	v_fmac_f32_e32 v16, v21, v17
	v_add_f32_e32 v12, v14, v16
	v_sub_f32_e32 v15, v13, v12
	v_pk_add_f32 v[18:19], v[12:13], v[14:15] neg_lo:[0,1] neg_hi:[0,1]
	v_mov_b32_e32 v17, v12
	v_pk_add_f32 v[12:13], v[18:19], v[16:17] neg_lo:[0,1] neg_hi:[0,1]
	v_cmp_class_f32_e64 s[4:5], v28, s18
	v_add_f32_e32 v12, v12, v13
	v_add_f32_e32 v12, v15, v12
	v_mul_f32_e32 v13, v20, v12
	v_add_f32_e32 v12, v21, v13
	v_sub_f32_e32 v14, v12, v21
	v_sub_f32_e32 v22, v13, v14
	v_mul_f32_e32 v13, v12, v12
	v_fma_f32 v15, v12, v12, -v13
	v_add_f32_e32 v14, v22, v22
	v_fmac_f32_e32 v15, v12, v14
	v_add_f32_e32 v14, v13, v15
	v_fmamk_f32 v16, v14, 0x3e76c4e1, v5
	v_fmaak_f32 v16, v14, v16, 0x3ecccdef
	v_sub_f32_e32 v13, v14, v13
	v_sub_f32_e32 v23, v15, v13
	v_mul_f32_e32 v13, v14, v16
	v_fma_f32 v15, v14, v16, -v13
	v_fmac_f32_e32 v15, v23, v16
	v_add_f32_e32 v16, v13, v15
	v_add_f32_e32 v17, 0x3f2aaaaa, v16
	v_sub_f32_e32 v13, v16, v13
	v_sub_f32_e32 v13, v15, v13
	v_add_f32_e32 v15, 0xbf2aaaaa, v17
	v_add_f32_e32 v13, 0x31739010, v13
	v_sub_f32_e32 v15, v16, v15
	v_pk_mul_f32 v[18:19], v[12:13], v[14:15]
	v_pk_add_f32 v[20:21], v[12:13], v[14:15]
	v_fma_f32 v16, v14, v12, -v18
	v_fmac_f32_e32 v16, v14, v22
	v_mov_b32_e32 v19, v21
	v_fmac_f32_e32 v16, v23, v12
	v_pk_add_f32 v[14:15], v[18:19], v[16:17]
	v_ldexp_f32 v24, v22, 1
	v_sub_f32_e32 v13, v14, v18
	v_sub_f32_e32 v13, v16, v13
	;; [unrolled: 1-line block ×3, first 2 shown]
	v_add_f32_e32 v20, v21, v16
	v_pk_mul_f32 v[16:17], v[14:15], v[14:15] op_sel:[0,1] op_sel_hi:[1,0]
	v_cvt_f64_f32_e64 v[18:19], |v28|
	v_frexp_exp_i32_f64_e32 v17, v[18:19]
	v_subbrev_co_u32_e32 v17, vcc, 0, v17, vcc
	v_cvt_f32_i32_e32 v17, v17
	v_fma_f32 v18, v14, v15, -v16
	v_fmac_f32_e32 v18, v14, v20
	v_fmac_f32_e32 v18, v13, v15
	v_mul_f32_e32 v14, 0x3f317218, v17
	v_fma_f32 v20, v17, s17, -v14
	v_fmac_f32_e32 v20, 0xb102e308, v17
	v_ldexp_f32 v21, v12, 1
	v_add_f32_e32 v15, v16, v18
	v_pk_add_f32 v[12:13], v[14:15], v[20:21]
	v_mov_b32_e32 v22, v15
	v_mov_b32_e32 v23, v13
	v_mov_b32_e32 v17, v21
	v_pk_add_f32 v[16:17], v[22:23], v[16:17] neg_lo:[0,1] neg_hi:[0,1]
	v_mov_b32_e32 v19, v15
	v_pk_add_f32 v[16:17], v[18:19], v[16:17] neg_lo:[0,1] neg_hi:[0,1]
	v_mov_b32_e32 v21, v12
	v_add_f32_e32 v15, v24, v16
	v_add_f32_e32 v15, v15, v17
	v_pk_add_f32 v[16:17], v[12:13], v[14:15] neg_lo:[0,1] neg_hi:[0,1]
	v_pk_add_f32 v[18:19], v[12:13], v[14:15]
	v_mov_b32_e32 v14, v15
	v_mov_b32_e32 v17, v19
	v_pk_add_f32 v[22:23], v[20:21], v[16:17] neg_lo:[0,1] neg_hi:[0,1]
	v_pk_add_f32 v[16:17], v[20:21], v[16:17]
	v_mov_b32_e32 v15, v12
	v_pk_add_f32 v[20:21], v[16:17], v[12:13] op_sel:[1,0] op_sel_hi:[0,1] neg_lo:[0,1] neg_hi:[0,1]
	v_pk_add_f32 v[24:25], v[18:19], v[20:21] op_sel_hi:[1,0] neg_lo:[0,1] neg_hi:[0,1]
	v_mov_b32_e32 v18, v19
	v_mov_b32_e32 v19, v17
	v_pk_mov_b32 v[20:21], v[12:13], v[20:21] op_sel:[1,0]
	v_mov_b32_e32 v24, v22
	v_pk_add_f32 v[18:19], v[18:19], v[20:21] neg_lo:[0,1] neg_hi:[0,1]
	v_mov_b32_e32 v23, v17
	v_pk_add_f32 v[12:13], v[14:15], v[18:19] neg_lo:[0,1] neg_hi:[0,1]
	s_nop 0
	v_pk_add_f32 v[14:15], v[24:25], v[12:13]
	s_nop 0
	v_pk_add_f32 v[18:19], v[14:15], v[14:15] op_sel:[0,1] op_sel_hi:[1,0]
	s_nop 0
	v_pk_add_f32 v[16:17], v[16:17], v[18:19] op_sel:[1,0] op_sel_hi:[0,1]
	v_mov_b32_e32 v15, v16
	v_pk_add_f32 v[20:21], v[14:15], v[22:23] neg_lo:[0,1] neg_hi:[0,1]
	v_mov_b32_e32 v13, v18
	v_sub_f32_e32 v14, v14, v20
	v_pk_add_f32 v[12:13], v[12:13], v[20:21] neg_lo:[0,1] neg_hi:[0,1]
	v_sub_f32_e32 v14, v22, v14
	v_add_f32_e32 v12, v12, v14
	v_add_f32_e32 v12, v12, v13
	;; [unrolled: 1-line block ×3, first 2 shown]
	v_sub_f32_e32 v14, v13, v16
	v_sub_f32_e32 v12, v12, v14
	v_mul_f32_e32 v14, v27, v13
	v_fma_f32 v13, v27, v13, -v14
	v_fmac_f32_e32 v13, v27, v12
	v_add_f32_e32 v12, v14, v13
	v_cmp_class_f32_e64 vcc, v14, s18
	v_sub_f32_e32 v15, v12, v14
	v_sub_f32_e32 v13, v13, v15
	v_cndmask_b32_e32 v12, v12, v14, vcc
	v_cmp_eq_f32_e32 vcc, s20, v12
	s_nop 1
	v_cndmask_b32_e32 v14, 0, v6, vcc
	v_sub_f32_e32 v15, v12, v14
	v_mul_f32_e32 v16, 0x3fb8aa3b, v15
	v_fma_f32 v17, v15, s21, -v16
	v_rndne_f32_e32 v18, v16
	v_fmac_f32_e32 v17, 0x32a5705f, v15
	v_sub_f32_e32 v16, v16, v18
	v_add_f32_e32 v16, v16, v17
	v_exp_f32_e32 v16, v16
	v_cvt_i32_f32_e32 v17, v18
	v_cmp_neq_f32_e64 vcc, |v12|, s19
	s_nop 1
	v_cndmask_b32_e32 v12, 0, v13, vcc
	v_ldexp_f32 v13, v16, v17
	v_cmp_ngt_f32_e32 vcc, s22, v15
	v_add_f32_e32 v12, v14, v12
	s_nop 0
	v_cndmask_b32_e32 v13, 0, v13, vcc
	v_cmp_nlt_f32_e32 vcc, s20, v15
	s_nop 1
	v_cndmask_b32_e32 v13, v7, v13, vcc
	v_fma_f32 v12, v13, v12, v13
	v_cmp_class_f32_e64 vcc, v13, s18
	s_nop 1
	v_cndmask_b32_e32 v12, v12, v13, vcc
	v_trunc_f32_e32 v13, v27
	v_cmp_eq_f32_e32 vcc, v13, v27
	v_mul_f32_e32 v13, 0.5, v27
	v_trunc_f32_e32 v14, v13
	v_cmp_neq_f32_e64 s[0:1], v14, v13
	s_and_b64 s[0:1], vcc, s[0:1]
	s_nop 0
	v_cndmask_b32_e64 v13, 1.0, v28, s[0:1]
	v_bfi_b32 v12, s23, v12, v13
	v_cndmask_b32_e32 v13, v8, v12, vcc
	v_cmp_gt_f32_e32 vcc, 0, v28
	v_cndmask_b32_e64 v14, 0, v28, s[0:1]
	s_nop 0
	v_cndmask_b32_e32 v12, v12, v13, vcc
	v_cndmask_b32_e64 v13, v7, 0, s[2:3]
	v_cmp_neq_f32_e64 vcc, |v28|, 1.0
	v_cmp_gt_f32_e64 s[2:3], 0, v27
	s_nop 0
	v_cndmask_b32_e32 v13, 1.0, v13, vcc
	v_cmp_class_f32_e64 vcc, v27, s18
	s_nop 1
	v_cndmask_b32_e32 v12, v12, v13, vcc
	v_cmp_eq_f32_e32 vcc, 0, v28
	s_xor_b64 s[2:3], s[2:3], vcc
	v_cndmask_b32_e64 v13, v7, 0, s[2:3]
	v_bfi_b32 v13, s23, v13, v14
	s_or_b64 vcc, vcc, s[4:5]
	v_cndmask_b32_e32 v12, v12, v13, vcc
	v_cmp_o_f32_e32 vcc, v28, v27
	s_nop 1
	v_cndmask_b32_e32 v27, v8, v12, vcc
	s_waitcnt vmcnt(0)
	v_cvt_f32_f16_e32 v12, v10
	v_cmp_neq_f16_e32 vcc, 1.0, v10
	s_nop 1
	v_cndmask_b32_e32 v10, 1.0, v4, vcc
	v_cmp_neq_f32_e32 vcc, 0, v10
	v_cmp_neq_f32_e64 s[2:3], v10, |v10|
	s_nop 0
	v_cndmask_b32_e32 v28, 1.0, v12, vcc
	v_frexp_mant_f32_e64 v12, |v28|
	v_cmp_gt_f32_e32 vcc, s16, v12
	v_cmp_lt_f32_e64 s[4:5], |v28|, 1.0
	s_xor_b64 s[2:3], s[2:3], s[4:5]
	v_cndmask_b32_e64 v13, 1.0, 2.0, vcc
	v_mul_f32_e32 v12, v12, v13
	v_add_f32_e32 v15, 1.0, v12
	v_rcp_f32_e32 v20, v15
	v_add_f32_e32 v13, -1.0, v15
	v_sub_f32_e32 v17, v12, v13
	v_add_f32_e32 v13, -1.0, v12
	v_mul_f32_e32 v21, v13, v20
	v_mul_f32_e32 v14, v15, v21
	v_fma_f32 v16, v21, v15, -v14
	v_fmac_f32_e32 v16, v21, v17
	v_add_f32_e32 v12, v14, v16
	v_sub_f32_e32 v15, v13, v12
	v_pk_add_f32 v[18:19], v[12:13], v[14:15] neg_lo:[0,1] neg_hi:[0,1]
	v_mov_b32_e32 v17, v12
	v_pk_add_f32 v[12:13], v[18:19], v[16:17] neg_lo:[0,1] neg_hi:[0,1]
	v_cmp_class_f32_e64 s[4:5], v28, s18
	v_add_f32_e32 v12, v12, v13
	v_add_f32_e32 v12, v15, v12
	v_mul_f32_e32 v13, v20, v12
	v_add_f32_e32 v12, v21, v13
	v_sub_f32_e32 v14, v12, v21
	v_sub_f32_e32 v22, v13, v14
	v_mul_f32_e32 v13, v12, v12
	v_fma_f32 v15, v12, v12, -v13
	v_add_f32_e32 v14, v22, v22
	v_fmac_f32_e32 v15, v12, v14
	v_add_f32_e32 v14, v13, v15
	v_fmamk_f32 v16, v14, 0x3e76c4e1, v5
	v_fmaak_f32 v16, v14, v16, 0x3ecccdef
	v_sub_f32_e32 v13, v14, v13
	v_sub_f32_e32 v23, v15, v13
	v_mul_f32_e32 v13, v14, v16
	v_fma_f32 v15, v14, v16, -v13
	v_fmac_f32_e32 v15, v23, v16
	v_add_f32_e32 v16, v13, v15
	v_add_f32_e32 v17, 0x3f2aaaaa, v16
	v_sub_f32_e32 v13, v16, v13
	v_sub_f32_e32 v13, v15, v13
	v_add_f32_e32 v15, 0xbf2aaaaa, v17
	v_add_f32_e32 v13, 0x31739010, v13
	v_sub_f32_e32 v15, v16, v15
	v_pk_mul_f32 v[18:19], v[12:13], v[14:15]
	v_pk_add_f32 v[20:21], v[12:13], v[14:15]
	v_fma_f32 v16, v14, v12, -v18
	v_fmac_f32_e32 v16, v14, v22
	v_mov_b32_e32 v19, v21
	v_fmac_f32_e32 v16, v23, v12
	v_pk_add_f32 v[14:15], v[18:19], v[16:17]
	v_ldexp_f32 v24, v22, 1
	v_sub_f32_e32 v13, v14, v18
	v_sub_f32_e32 v13, v16, v13
	;; [unrolled: 1-line block ×3, first 2 shown]
	v_add_f32_e32 v20, v21, v16
	v_pk_mul_f32 v[16:17], v[14:15], v[14:15] op_sel:[0,1] op_sel_hi:[1,0]
	v_cvt_f64_f32_e64 v[18:19], |v28|
	v_frexp_exp_i32_f64_e32 v17, v[18:19]
	v_subbrev_co_u32_e32 v17, vcc, 0, v17, vcc
	v_cvt_f32_i32_e32 v17, v17
	v_fma_f32 v18, v14, v15, -v16
	v_fmac_f32_e32 v18, v14, v20
	v_fmac_f32_e32 v18, v13, v15
	v_mul_f32_e32 v14, 0x3f317218, v17
	v_fma_f32 v20, v17, s17, -v14
	v_fmac_f32_e32 v20, 0xb102e308, v17
	v_ldexp_f32 v21, v12, 1
	v_add_f32_e32 v15, v16, v18
	v_pk_add_f32 v[12:13], v[14:15], v[20:21]
	v_mov_b32_e32 v22, v15
	v_mov_b32_e32 v23, v13
	;; [unrolled: 1-line block ×3, first 2 shown]
	v_pk_add_f32 v[16:17], v[22:23], v[16:17] neg_lo:[0,1] neg_hi:[0,1]
	v_mov_b32_e32 v19, v15
	v_pk_add_f32 v[16:17], v[18:19], v[16:17] neg_lo:[0,1] neg_hi:[0,1]
	v_mov_b32_e32 v21, v12
	v_add_f32_e32 v15, v24, v16
	v_add_f32_e32 v15, v15, v17
	v_pk_add_f32 v[16:17], v[12:13], v[14:15] neg_lo:[0,1] neg_hi:[0,1]
	v_pk_add_f32 v[18:19], v[12:13], v[14:15]
	v_mov_b32_e32 v14, v15
	v_mov_b32_e32 v17, v19
	v_pk_add_f32 v[22:23], v[20:21], v[16:17] neg_lo:[0,1] neg_hi:[0,1]
	v_pk_add_f32 v[16:17], v[20:21], v[16:17]
	v_mov_b32_e32 v15, v12
	v_pk_add_f32 v[20:21], v[16:17], v[12:13] op_sel:[1,0] op_sel_hi:[0,1] neg_lo:[0,1] neg_hi:[0,1]
	v_pk_add_f32 v[24:25], v[18:19], v[20:21] op_sel_hi:[1,0] neg_lo:[0,1] neg_hi:[0,1]
	v_mov_b32_e32 v18, v19
	v_mov_b32_e32 v19, v17
	v_pk_mov_b32 v[20:21], v[12:13], v[20:21] op_sel:[1,0]
	v_mov_b32_e32 v24, v22
	v_pk_add_f32 v[18:19], v[18:19], v[20:21] neg_lo:[0,1] neg_hi:[0,1]
	v_mov_b32_e32 v23, v17
	v_pk_add_f32 v[12:13], v[14:15], v[18:19] neg_lo:[0,1] neg_hi:[0,1]
	s_nop 0
	v_pk_add_f32 v[14:15], v[24:25], v[12:13]
	s_nop 0
	v_pk_add_f32 v[18:19], v[14:15], v[14:15] op_sel:[0,1] op_sel_hi:[1,0]
	s_nop 0
	v_pk_add_f32 v[16:17], v[16:17], v[18:19] op_sel:[1,0] op_sel_hi:[0,1]
	v_mov_b32_e32 v15, v16
	v_pk_add_f32 v[20:21], v[14:15], v[22:23] neg_lo:[0,1] neg_hi:[0,1]
	v_mov_b32_e32 v13, v18
	v_sub_f32_e32 v14, v14, v20
	v_pk_add_f32 v[12:13], v[12:13], v[20:21] neg_lo:[0,1] neg_hi:[0,1]
	v_sub_f32_e32 v14, v22, v14
	v_add_f32_e32 v12, v12, v14
	v_add_f32_e32 v12, v12, v13
	;; [unrolled: 1-line block ×3, first 2 shown]
	v_sub_f32_e32 v14, v13, v16
	v_sub_f32_e32 v12, v12, v14
	v_mul_f32_e32 v14, v10, v13
	v_fma_f32 v13, v10, v13, -v14
	v_fmac_f32_e32 v13, v10, v12
	v_add_f32_e32 v12, v14, v13
	v_cmp_class_f32_e64 vcc, v14, s18
	v_sub_f32_e32 v15, v12, v14
	v_sub_f32_e32 v13, v13, v15
	v_cndmask_b32_e32 v12, v12, v14, vcc
	v_cmp_eq_f32_e32 vcc, s20, v12
	s_nop 1
	v_cndmask_b32_e32 v14, 0, v6, vcc
	v_sub_f32_e32 v15, v12, v14
	v_mul_f32_e32 v16, 0x3fb8aa3b, v15
	v_fma_f32 v17, v15, s21, -v16
	v_rndne_f32_e32 v18, v16
	v_fmac_f32_e32 v17, 0x32a5705f, v15
	v_sub_f32_e32 v16, v16, v18
	v_add_f32_e32 v16, v16, v17
	v_exp_f32_e32 v16, v16
	v_cvt_i32_f32_e32 v17, v18
	v_cmp_neq_f32_e64 vcc, |v12|, s19
	s_nop 1
	v_cndmask_b32_e32 v12, 0, v13, vcc
	v_ldexp_f32 v13, v16, v17
	v_cmp_ngt_f32_e32 vcc, s22, v15
	v_add_f32_e32 v12, v14, v12
	s_nop 0
	v_cndmask_b32_e32 v13, 0, v13, vcc
	v_cmp_nlt_f32_e32 vcc, s20, v15
	s_nop 1
	v_cndmask_b32_e32 v13, v7, v13, vcc
	v_fma_f32 v12, v13, v12, v13
	v_cmp_class_f32_e64 vcc, v13, s18
	s_nop 1
	v_cndmask_b32_e32 v12, v12, v13, vcc
	v_trunc_f32_e32 v13, v10
	v_cmp_eq_f32_e32 vcc, v13, v10
	v_mul_f32_e32 v13, 0.5, v10
	v_trunc_f32_e32 v14, v13
	v_cmp_neq_f32_e64 s[0:1], v14, v13
	s_and_b64 s[0:1], vcc, s[0:1]
	s_nop 0
	v_cndmask_b32_e64 v13, 1.0, v28, s[0:1]
	v_bfi_b32 v12, s23, v12, v13
	v_cndmask_b32_e32 v13, v8, v12, vcc
	v_cmp_gt_f32_e32 vcc, 0, v28
	v_cndmask_b32_e64 v14, 0, v28, s[0:1]
	s_nop 0
	v_cndmask_b32_e32 v12, v12, v13, vcc
	v_cndmask_b32_e64 v13, v7, 0, s[2:3]
	v_cmp_neq_f32_e64 vcc, |v28|, 1.0
	v_cmp_gt_f32_e64 s[2:3], 0, v10
	s_nop 0
	v_cndmask_b32_e32 v13, 1.0, v13, vcc
	v_cmp_class_f32_e64 vcc, v10, s18
	s_nop 1
	v_cndmask_b32_e32 v12, v12, v13, vcc
	v_cmp_eq_f32_e32 vcc, 0, v28
	s_xor_b64 s[2:3], s[2:3], vcc
	v_cndmask_b32_e64 v13, v7, 0, s[2:3]
	v_bfi_b32 v13, s23, v13, v14
	s_or_b64 vcc, vcc, s[4:5]
	v_cndmask_b32_e32 v12, v12, v13, vcc
	v_cmp_o_f32_e32 vcc, v28, v10
	v_cvt_pk_f16_f32 v10, v11, v26
	s_nop 0
	v_cndmask_b32_e32 v12, v8, v12, vcc
	v_cvt_pk_f16_f32 v11, v27, v12
	global_store_dwordx2 v[2:3], v[10:11], off offset:-4
	v_lshlrev_b64 v[10:11], 2, v[0:1]
	v_cmp_le_i64_e32 vcc, s[8:9], v[10:11]
	s_or_b64 s[12:13], vcc, s[12:13]
	v_lshl_add_u64 v[2:3], v[2:3], 0, s[10:11]
	s_andn2_b64 exec, exec, s[12:13]
	s_cbranch_execnz .LBB59_24
.LBB59_25:
	s_endpgm
	.section	.rodata,"a",@progbits
	.p2align	6, 0x0
	.amdhsa_kernel _ZN2at6native12_GLOBAL__N_125multi_tensor_apply_kernelINS1_18TensorListMetadataILi1EEENS1_21BinaryOpScalarFunctorIN3c104HalfELi1ELi1ELi0EEEJNS1_13power_functorIfEEfEEEvT_T0_DpT1_
		.amdhsa_group_segment_fixed_size 0
		.amdhsa_private_segment_fixed_size 0
		.amdhsa_kernarg_size 3632
		.amdhsa_user_sgpr_count 2
		.amdhsa_user_sgpr_dispatch_ptr 0
		.amdhsa_user_sgpr_queue_ptr 0
		.amdhsa_user_sgpr_kernarg_segment_ptr 1
		.amdhsa_user_sgpr_dispatch_id 0
		.amdhsa_user_sgpr_kernarg_preload_length 0
		.amdhsa_user_sgpr_kernarg_preload_offset 0
		.amdhsa_user_sgpr_private_segment_size 0
		.amdhsa_uses_dynamic_stack 0
		.amdhsa_enable_private_segment 0
		.amdhsa_system_sgpr_workgroup_id_x 1
		.amdhsa_system_sgpr_workgroup_id_y 0
		.amdhsa_system_sgpr_workgroup_id_z 0
		.amdhsa_system_sgpr_workgroup_info 0
		.amdhsa_system_vgpr_workitem_id 0
		.amdhsa_next_free_vgpr 41
		.amdhsa_next_free_sgpr 50
		.amdhsa_accum_offset 44
		.amdhsa_reserve_vcc 1
		.amdhsa_float_round_mode_32 0
		.amdhsa_float_round_mode_16_64 0
		.amdhsa_float_denorm_mode_32 3
		.amdhsa_float_denorm_mode_16_64 3
		.amdhsa_dx10_clamp 1
		.amdhsa_ieee_mode 1
		.amdhsa_fp16_overflow 0
		.amdhsa_tg_split 0
		.amdhsa_exception_fp_ieee_invalid_op 0
		.amdhsa_exception_fp_denorm_src 0
		.amdhsa_exception_fp_ieee_div_zero 0
		.amdhsa_exception_fp_ieee_overflow 0
		.amdhsa_exception_fp_ieee_underflow 0
		.amdhsa_exception_fp_ieee_inexact 0
		.amdhsa_exception_int_div_zero 0
	.end_amdhsa_kernel
	.section	.text._ZN2at6native12_GLOBAL__N_125multi_tensor_apply_kernelINS1_18TensorListMetadataILi1EEENS1_21BinaryOpScalarFunctorIN3c104HalfELi1ELi1ELi0EEEJNS1_13power_functorIfEEfEEEvT_T0_DpT1_,"axG",@progbits,_ZN2at6native12_GLOBAL__N_125multi_tensor_apply_kernelINS1_18TensorListMetadataILi1EEENS1_21BinaryOpScalarFunctorIN3c104HalfELi1ELi1ELi0EEEJNS1_13power_functorIfEEfEEEvT_T0_DpT1_,comdat
.Lfunc_end59:
	.size	_ZN2at6native12_GLOBAL__N_125multi_tensor_apply_kernelINS1_18TensorListMetadataILi1EEENS1_21BinaryOpScalarFunctorIN3c104HalfELi1ELi1ELi0EEEJNS1_13power_functorIfEEfEEEvT_T0_DpT1_, .Lfunc_end59-_ZN2at6native12_GLOBAL__N_125multi_tensor_apply_kernelINS1_18TensorListMetadataILi1EEENS1_21BinaryOpScalarFunctorIN3c104HalfELi1ELi1ELi0EEEJNS1_13power_functorIfEEfEEEvT_T0_DpT1_
                                        ; -- End function
	.set _ZN2at6native12_GLOBAL__N_125multi_tensor_apply_kernelINS1_18TensorListMetadataILi1EEENS1_21BinaryOpScalarFunctorIN3c104HalfELi1ELi1ELi0EEEJNS1_13power_functorIfEEfEEEvT_T0_DpT1_.num_vgpr, 41
	.set _ZN2at6native12_GLOBAL__N_125multi_tensor_apply_kernelINS1_18TensorListMetadataILi1EEENS1_21BinaryOpScalarFunctorIN3c104HalfELi1ELi1ELi0EEEJNS1_13power_functorIfEEfEEEvT_T0_DpT1_.num_agpr, 0
	.set _ZN2at6native12_GLOBAL__N_125multi_tensor_apply_kernelINS1_18TensorListMetadataILi1EEENS1_21BinaryOpScalarFunctorIN3c104HalfELi1ELi1ELi0EEEJNS1_13power_functorIfEEfEEEvT_T0_DpT1_.numbered_sgpr, 50
	.set _ZN2at6native12_GLOBAL__N_125multi_tensor_apply_kernelINS1_18TensorListMetadataILi1EEENS1_21BinaryOpScalarFunctorIN3c104HalfELi1ELi1ELi0EEEJNS1_13power_functorIfEEfEEEvT_T0_DpT1_.num_named_barrier, 0
	.set _ZN2at6native12_GLOBAL__N_125multi_tensor_apply_kernelINS1_18TensorListMetadataILi1EEENS1_21BinaryOpScalarFunctorIN3c104HalfELi1ELi1ELi0EEEJNS1_13power_functorIfEEfEEEvT_T0_DpT1_.private_seg_size, 0
	.set _ZN2at6native12_GLOBAL__N_125multi_tensor_apply_kernelINS1_18TensorListMetadataILi1EEENS1_21BinaryOpScalarFunctorIN3c104HalfELi1ELi1ELi0EEEJNS1_13power_functorIfEEfEEEvT_T0_DpT1_.uses_vcc, 1
	.set _ZN2at6native12_GLOBAL__N_125multi_tensor_apply_kernelINS1_18TensorListMetadataILi1EEENS1_21BinaryOpScalarFunctorIN3c104HalfELi1ELi1ELi0EEEJNS1_13power_functorIfEEfEEEvT_T0_DpT1_.uses_flat_scratch, 0
	.set _ZN2at6native12_GLOBAL__N_125multi_tensor_apply_kernelINS1_18TensorListMetadataILi1EEENS1_21BinaryOpScalarFunctorIN3c104HalfELi1ELi1ELi0EEEJNS1_13power_functorIfEEfEEEvT_T0_DpT1_.has_dyn_sized_stack, 0
	.set _ZN2at6native12_GLOBAL__N_125multi_tensor_apply_kernelINS1_18TensorListMetadataILi1EEENS1_21BinaryOpScalarFunctorIN3c104HalfELi1ELi1ELi0EEEJNS1_13power_functorIfEEfEEEvT_T0_DpT1_.has_recursion, 0
	.set _ZN2at6native12_GLOBAL__N_125multi_tensor_apply_kernelINS1_18TensorListMetadataILi1EEENS1_21BinaryOpScalarFunctorIN3c104HalfELi1ELi1ELi0EEEJNS1_13power_functorIfEEfEEEvT_T0_DpT1_.has_indirect_call, 0
	.section	.AMDGPU.csdata,"",@progbits
; Kernel info:
; codeLenInByte = 9520
; TotalNumSgprs: 56
; NumVgprs: 41
; NumAgprs: 0
; TotalNumVgprs: 41
; ScratchSize: 0
; MemoryBound: 0
; FloatMode: 240
; IeeeMode: 1
; LDSByteSize: 0 bytes/workgroup (compile time only)
; SGPRBlocks: 6
; VGPRBlocks: 5
; NumSGPRsForWavesPerEU: 56
; NumVGPRsForWavesPerEU: 41
; AccumOffset: 44
; Occupancy: 8
; WaveLimiterHint : 0
; COMPUTE_PGM_RSRC2:SCRATCH_EN: 0
; COMPUTE_PGM_RSRC2:USER_SGPR: 2
; COMPUTE_PGM_RSRC2:TRAP_HANDLER: 0
; COMPUTE_PGM_RSRC2:TGID_X_EN: 1
; COMPUTE_PGM_RSRC2:TGID_Y_EN: 0
; COMPUTE_PGM_RSRC2:TGID_Z_EN: 0
; COMPUTE_PGM_RSRC2:TIDIG_COMP_CNT: 0
; COMPUTE_PGM_RSRC3_GFX90A:ACCUM_OFFSET: 10
; COMPUTE_PGM_RSRC3_GFX90A:TG_SPLIT: 0
	.section	.text._ZN2at6native12_GLOBAL__N_125multi_tensor_apply_kernelINS1_18TensorListMetadataILi1EEENS1_21BinaryOpScalarFunctorIN3c108BFloat16ELi1ELi1ELi0EEEJNS1_13power_functorIfEEfEEEvT_T0_DpT1_,"axG",@progbits,_ZN2at6native12_GLOBAL__N_125multi_tensor_apply_kernelINS1_18TensorListMetadataILi1EEENS1_21BinaryOpScalarFunctorIN3c108BFloat16ELi1ELi1ELi0EEEJNS1_13power_functorIfEEfEEEvT_T0_DpT1_,comdat
	.globl	_ZN2at6native12_GLOBAL__N_125multi_tensor_apply_kernelINS1_18TensorListMetadataILi1EEENS1_21BinaryOpScalarFunctorIN3c108BFloat16ELi1ELi1ELi0EEEJNS1_13power_functorIfEEfEEEvT_T0_DpT1_ ; -- Begin function _ZN2at6native12_GLOBAL__N_125multi_tensor_apply_kernelINS1_18TensorListMetadataILi1EEENS1_21BinaryOpScalarFunctorIN3c108BFloat16ELi1ELi1ELi0EEEJNS1_13power_functorIfEEfEEEvT_T0_DpT1_
	.p2align	8
	.type	_ZN2at6native12_GLOBAL__N_125multi_tensor_apply_kernelINS1_18TensorListMetadataILi1EEENS1_21BinaryOpScalarFunctorIN3c108BFloat16ELi1ELi1ELi0EEEJNS1_13power_functorIfEEfEEEvT_T0_DpT1_,@function
_ZN2at6native12_GLOBAL__N_125multi_tensor_apply_kernelINS1_18TensorListMetadataILi1EEENS1_21BinaryOpScalarFunctorIN3c108BFloat16ELi1ELi1ELi0EEEJNS1_13power_functorIfEEfEEEvT_T0_DpT1_: ; @_ZN2at6native12_GLOBAL__N_125multi_tensor_apply_kernelINS1_18TensorListMetadataILi1EEENS1_21BinaryOpScalarFunctorIN3c108BFloat16ELi1ELi1ELi0EEEJNS1_13power_functorIfEEfEEEvT_T0_DpT1_
; %bb.0:
	v_mov_b32_e32 v1, s2
	global_load_ubyte v1, v1, s[0:1] offset:1760
	s_add_u32 s3, s0, s2
	s_mul_hi_u32 s4, s2, 3
	s_mul_i32 s2, s2, 3
	s_addc_u32 s5, s1, 0
	s_add_u32 s2, s3, s2
	s_addc_u32 s3, s5, s4
	s_load_dword s2, s[2:3], 0x820
	s_mov_b32 s7, 0
	s_waitcnt vmcnt(0)
	v_readfirstlane_b32 s3, v1
	s_lshl_b32 s3, s3, 3
	s_load_dword s33, s[0:1], 0xd2c
	s_load_dwordx2 s[4:5], s[0:1], s3 offset:0x370
	s_load_dwordx2 s[20:21], s[0:1], s3 offset:0x0
	s_waitcnt lgkmcnt(0)
	s_ashr_i32 s3, s2, 31
	s_lshl_b64 s[22:23], s[2:3], 17
	s_lshl_b64 s[2:3], s[2:3], 16
	s_and_b32 s6, s20, 7
	s_sub_u32 s24, s4, s2
	s_subb_u32 s25, s5, s3
	s_and_b32 s2, s4, 3
	s_mov_b32 s3, s7
	s_or_b64 s[2:3], s[6:7], s[2:3]
	s_cmp_eq_u64 s[2:3], 0
	s_cbranch_scc1 .LBB60_21
; %bb.1:
	v_cmp_lt_i64_e64 s[2:3], s[24:25], 1
	s_and_b64 vcc, exec, s[2:3]
	s_cbranch_vccnz .LBB60_20
; %bb.2:
	s_load_dword s2, s[0:1], 0xd3c
	v_mov_b64_e32 v[2:3], 0x10000
	v_cmp_lt_i64_e32 vcc, s[24:25], v[2:3]
	s_and_b64 s[4:5], vcc, exec
	s_cselect_b32 s27, s25, 0
	s_cselect_b32 s26, s24, 0x10000
	s_waitcnt lgkmcnt(0)
	s_and_b32 s2, s2, 0xffff
	v_cmp_lt_u64_e32 vcc, s[24:25], v[2:3]
	s_and_b64 s[4:5], vcc, exec
	s_mov_b32 s3, 0
	v_mov_b32_e32 v1, 0
	s_cselect_b32 s29, s25, 0
	s_cselect_b32 s28, s24, 0x10000
	s_lshl_b32 s4, s2, 1
	s_lshl_b32 s30, s2, 2
	s_add_u32 s8, s20, s22
	v_lshl_add_u64 v[8:9], v[0:1], 0, s[2:3]
	s_mov_b32 s5, s3
	s_mul_i32 s6, s2, 3
	s_mov_b32 s7, s3
	v_lshlrev_b32_e32 v2, 1, v0
	v_mov_b32_e32 v3, v1
	s_addc_u32 s9, s21, s23
	v_lshlrev_b32_e32 v10, 1, v8
	v_mov_b32_e32 v11, v1
	s_mov_b32 s42, 0x31739010
	s_mov_b32 s31, s3
	;; [unrolled: 1-line block ×3, first 2 shown]
	v_lshl_add_u64 v[2:3], s[8:9], 0, v[2:3]
	s_lshl_b32 s34, s2, 3
	s_mov_b32 s35, s3
	s_mul_i32 s36, s2, 6
	s_mov_b32 s37, s3
	v_lshl_add_u64 v[4:5], s[6:7], 0, v[0:1]
	v_lshl_add_u64 v[6:7], s[4:5], 0, v[0:1]
	;; [unrolled: 1-line block ×3, first 2 shown]
	s_mov_b64 s[38:39], 0
	s_movk_i32 s46, 0x204
	s_mov_b32 s47, 0x7f800000
	s_brev_b32 s48, -2
	s_mov_b32 s49, 0x3f2aaaab
	s_mov_b32 s50, 0x3f317218
	v_mov_b32_e32 v20, 0x3e91f4c4
	s_mov_b32 s41, 0x3f2aaaaa
	s_mov_b32 s43, 0xbf2aaaaa
	s_mov_b32 s51, 0x42b17218
	s_mov_b32 s52, 0x3fb8aa3b
	s_mov_b32 s53, 0xc2ce8ed0
	s_movk_i32 s54, 0x7fff
	v_mov_b32_e32 v21, 0x204
	v_mov_b32_e32 v22, 0x7f800000
	;; [unrolled: 1-line block ×6, first 2 shown]
                                        ; implicit-def: $vgpr12
	s_branch .LBB60_4
.LBB60_3:                               ;   in Loop: Header=BB60_4 Depth=1
	s_or_b64 exec, exec, s[2:3]
	s_add_u32 s38, s38, s30
	s_addc_u32 s39, s39, 0
	v_mov_b64_e32 v[14:15], s[26:27]
	v_cmp_lt_i64_e32 vcc, s[38:39], v[14:15]
	v_lshl_add_u64 v[2:3], v[2:3], 0, s[34:35]
	v_lshl_add_u64 v[10:11], v[10:11], 0, s[34:35]
	s_cbranch_vccz .LBB60_20
.LBB60_4:                               ; =>This Inner Loop Header: Depth=1
	v_lshl_add_u64 v[14:15], v[0:1], 0, s[38:39]
	v_cmp_gt_u64_e32 vcc, s[28:29], v[14:15]
	v_mov_b32_e32 v18, 0
	s_and_saveexec_b64 s[2:3], vcc
	s_cbranch_execz .LBB60_6
; %bb.5:                                ;   in Loop: Header=BB60_4 Depth=1
	global_load_ushort v12, v[2:3], off
	s_waitcnt vmcnt(0)
	v_lshlrev_b32_e32 v18, 16, v12
.LBB60_6:                               ;   in Loop: Header=BB60_4 Depth=1
	s_or_b64 exec, exec, s[2:3]
	v_lshl_add_u64 v[14:15], v[8:9], 0, s[38:39]
	v_cmp_gt_u64_e64 s[6:7], s[28:29], v[14:15]
	v_mov_b32_e32 v26, 0
	v_mov_b32_e32 v12, 0
	s_and_saveexec_b64 s[2:3], s[6:7]
	s_cbranch_execz .LBB60_8
; %bb.7:                                ;   in Loop: Header=BB60_4 Depth=1
	global_load_ushort v12, v[10:11], off
	s_waitcnt vmcnt(0)
	v_lshlrev_b32_e32 v12, 16, v12
.LBB60_8:                               ;   in Loop: Header=BB60_4 Depth=1
	s_or_b64 exec, exec, s[2:3]
	v_lshl_add_u64 v[14:15], v[6:7], 0, s[38:39]
	v_cmp_gt_u64_e64 s[2:3], s[28:29], v[14:15]
	v_lshl_add_u64 v[14:15], v[2:3], 0, s[30:31]
	s_and_saveexec_b64 s[4:5], s[2:3]
	s_cbranch_execz .LBB60_10
; %bb.9:                                ;   in Loop: Header=BB60_4 Depth=1
	global_load_ushort v16, v[14:15], off
	s_waitcnt vmcnt(0)
	v_lshlrev_b32_e32 v26, 16, v16
.LBB60_10:                              ;   in Loop: Header=BB60_4 Depth=1
	s_or_b64 exec, exec, s[4:5]
	v_lshl_add_u64 v[16:17], v[4:5], 0, s[38:39]
	v_cmp_gt_u64_e64 s[4:5], s[28:29], v[16:17]
	v_mov_b32_e32 v27, 0
	v_lshl_add_u64 v[16:17], v[2:3], 0, s[36:37]
	s_and_saveexec_b64 s[8:9], s[4:5]
	s_cbranch_execnz .LBB60_18
; %bb.11:                               ;   in Loop: Header=BB60_4 Depth=1
	s_or_b64 exec, exec, s[8:9]
	s_and_saveexec_b64 s[16:17], vcc
	s_cbranch_execnz .LBB60_19
.LBB60_12:                              ;   in Loop: Header=BB60_4 Depth=1
	s_or_b64 exec, exec, s[16:17]
	s_and_saveexec_b64 s[10:11], s[6:7]
	s_cbranch_execz .LBB60_14
.LBB60_13:                              ;   in Loop: Header=BB60_4 Depth=1
	v_mov_b32_e32 v18, s33
	v_cmp_neq_f32_e32 vcc, 1.0, v12
	s_nop 1
	v_cndmask_b32_e32 v40, 1.0, v18, vcc
	v_cmp_neq_f32_e32 vcc, 0, v40
	v_cmp_neq_f32_e64 s[8:9], v40, |v40|
	s_nop 0
	v_cndmask_b32_e32 v41, 1.0, v12, vcc
	v_frexp_mant_f32_e64 v12, |v41|
	v_cmp_gt_f32_e32 vcc, s49, v12
	v_cmp_lt_f32_e64 s[12:13], |v41|, 1.0
	s_xor_b64 s[8:9], s[8:9], s[12:13]
	v_cndmask_b32_e64 v18, 1.0, 2.0, vcc
	v_mul_f32_e32 v12, v12, v18
	v_add_f32_e32 v18, 1.0, v12
	v_rcp_f32_e32 v34, v18
	v_add_f32_e32 v19, -1.0, v18
	v_sub_f32_e32 v29, v12, v19
	v_add_f32_e32 v19, -1.0, v12
	v_mul_f32_e32 v12, v19, v34
	v_mul_f32_e32 v28, v18, v12
	v_fma_f32 v30, v12, v18, -v28
	v_fmac_f32_e32 v30, v12, v29
	v_add_f32_e32 v18, v28, v30
	v_sub_f32_e32 v29, v19, v18
	v_pk_add_f32 v[32:33], v[18:19], v[28:29] neg_lo:[0,1] neg_hi:[0,1]
	v_mov_b32_e32 v31, v18
	v_pk_add_f32 v[18:19], v[32:33], v[30:31] neg_lo:[0,1] neg_hi:[0,1]
	v_cmp_class_f32_e64 s[12:13], v41, s46
	v_add_f32_e32 v18, v18, v19
	v_add_f32_e32 v18, v29, v18
	v_mul_f32_e32 v19, v34, v18
	v_add_f32_e32 v18, v12, v19
	v_sub_f32_e32 v12, v18, v12
	v_sub_f32_e32 v36, v19, v12
	v_mul_f32_e32 v12, v18, v18
	v_fma_f32 v19, v18, v18, -v12
	v_add_f32_e32 v28, v36, v36
	v_fmac_f32_e32 v19, v18, v28
	v_add_f32_e32 v28, v12, v19
	v_fmamk_f32 v29, v28, 0x3e76c4e1, v20
	v_fmaak_f32 v29, v28, v29, 0x3ecccdef
	v_sub_f32_e32 v12, v28, v12
	v_sub_f32_e32 v37, v19, v12
	v_mul_f32_e32 v19, v28, v29
	v_fma_f32 v12, v28, v29, -v19
	v_fmac_f32_e32 v12, v37, v29
	v_add_f32_e32 v31, v19, v12
	v_sub_f32_e32 v30, v31, v19
	v_pk_add_f32 v[32:33], v[12:13], v[30:31] neg_lo:[0,1] neg_hi:[0,1]
	v_pk_add_f32 v[34:35], v[30:31], s[40:41]
	s_nop 0
	v_mov_b32_e32 v33, v35
	v_pk_add_f32 v[32:33], v[32:33], s[42:43]
	s_nop 0
	v_sub_f32_e32 v29, v31, v33
	v_mov_b32_e32 v19, v32
	v_pk_mul_f32 v[30:31], v[18:19], v[28:29]
	v_pk_add_f32 v[32:33], v[32:33], v[28:29] op_sel_hi:[0,1]
	v_fma_f32 v34, v28, v18, -v30
	v_fmac_f32_e32 v34, v28, v36
	v_mov_b32_e32 v31, v33
	v_fmac_f32_e32 v34, v37, v18
	v_pk_add_f32 v[28:29], v[30:31], v[34:35]
	s_nop 0
	v_sub_f32_e32 v19, v35, v29
	v_sub_f32_e32 v12, v28, v30
	v_add_f32_e32 v19, v33, v19
	v_pk_mul_f32 v[30:31], v[28:29], v[28:29] op_sel:[0,1] op_sel_hi:[1,0]
	v_cvt_f64_f32_e64 v[32:33], |v41|
	v_frexp_exp_i32_f64_e32 v31, v[32:33]
	v_subbrev_co_u32_e32 v31, vcc, 0, v31, vcc
	v_cvt_f32_i32_e32 v31, v31
	v_fma_f32 v32, v28, v29, -v30
	v_sub_f32_e32 v12, v34, v12
	v_fmac_f32_e32 v32, v28, v19
	v_mul_f32_e32 v28, 0x3f317218, v31
	v_fmac_f32_e32 v32, v12, v29
	v_fma_f32 v34, v31, s50, -v28
	v_fmac_f32_e32 v34, 0xb102e308, v31
	v_ldexp_f32 v35, v18, 1
	v_add_f32_e32 v29, v30, v32
	v_pk_add_f32 v[18:19], v[28:29], v[34:35]
	v_ldexp_f32 v12, v36, 1
	v_mov_b32_e32 v36, v29
	v_mov_b32_e32 v37, v19
	;; [unrolled: 1-line block ×3, first 2 shown]
	v_pk_add_f32 v[30:31], v[36:37], v[30:31] neg_lo:[0,1] neg_hi:[0,1]
	v_mov_b32_e32 v33, v29
	v_pk_add_f32 v[30:31], v[32:33], v[30:31] neg_lo:[0,1] neg_hi:[0,1]
	v_mov_b32_e32 v35, v18
	v_add_f32_e32 v12, v12, v30
	v_add_f32_e32 v29, v12, v31
	v_pk_add_f32 v[30:31], v[18:19], v[28:29] neg_lo:[0,1] neg_hi:[0,1]
	v_pk_add_f32 v[32:33], v[18:19], v[28:29]
	v_mov_b32_e32 v28, v29
	v_mov_b32_e32 v31, v33
	v_pk_add_f32 v[36:37], v[34:35], v[30:31] neg_lo:[0,1] neg_hi:[0,1]
	v_pk_add_f32 v[30:31], v[34:35], v[30:31]
	v_mov_b32_e32 v29, v18
	v_pk_add_f32 v[34:35], v[30:31], v[18:19] op_sel:[1,0] op_sel_hi:[0,1] neg_lo:[0,1] neg_hi:[0,1]
	v_pk_add_f32 v[38:39], v[32:33], v[34:35] op_sel_hi:[1,0] neg_lo:[0,1] neg_hi:[0,1]
	v_mov_b32_e32 v32, v33
	v_mov_b32_e32 v33, v31
	v_pk_mov_b32 v[34:35], v[18:19], v[34:35] op_sel:[1,0]
	v_mov_b32_e32 v38, v36
	v_pk_add_f32 v[32:33], v[32:33], v[34:35] neg_lo:[0,1] neg_hi:[0,1]
	v_mov_b32_e32 v37, v31
	v_pk_add_f32 v[18:19], v[28:29], v[32:33] neg_lo:[0,1] neg_hi:[0,1]
	s_nop 0
	v_pk_add_f32 v[28:29], v[38:39], v[18:19]
	s_nop 0
	v_pk_add_f32 v[32:33], v[28:29], v[28:29] op_sel:[0,1] op_sel_hi:[1,0]
	s_nop 0
	v_pk_add_f32 v[30:31], v[30:31], v[32:33] op_sel:[1,0] op_sel_hi:[0,1]
	v_mov_b32_e32 v29, v30
	v_pk_add_f32 v[34:35], v[28:29], v[36:37] neg_lo:[0,1] neg_hi:[0,1]
	v_mov_b32_e32 v19, v32
	v_sub_f32_e32 v12, v28, v34
	v_pk_add_f32 v[18:19], v[18:19], v[34:35] neg_lo:[0,1] neg_hi:[0,1]
	v_sub_f32_e32 v12, v36, v12
	v_add_f32_e32 v12, v18, v12
	v_add_f32_e32 v12, v12, v19
	;; [unrolled: 1-line block ×3, first 2 shown]
	v_sub_f32_e32 v19, v18, v30
	v_sub_f32_e32 v12, v12, v19
	v_mul_f32_e32 v19, v40, v18
	v_fma_f32 v18, v40, v18, -v19
	v_fmac_f32_e32 v18, v40, v12
	v_add_f32_e32 v12, v19, v18
	v_cmp_class_f32_e64 vcc, v19, s46
	v_sub_f32_e32 v28, v12, v19
	v_sub_f32_e32 v18, v18, v28
	v_cndmask_b32_e32 v12, v12, v19, vcc
	v_cmp_eq_f32_e32 vcc, s51, v12
	s_nop 1
	v_cndmask_b32_e32 v19, 0, v23, vcc
	v_sub_f32_e32 v28, v12, v19
	v_mul_f32_e32 v29, 0x3fb8aa3b, v28
	v_fma_f32 v30, v28, s52, -v29
	v_rndne_f32_e32 v31, v29
	v_fmac_f32_e32 v30, 0x32a5705f, v28
	v_sub_f32_e32 v29, v29, v31
	v_add_f32_e32 v29, v29, v30
	v_exp_f32_e32 v29, v29
	v_cvt_i32_f32_e32 v30, v31
	v_cmp_neq_f32_e64 vcc, |v12|, s47
	s_nop 1
	v_cndmask_b32_e32 v12, 0, v18, vcc
	v_ldexp_f32 v18, v29, v30
	v_cmp_ngt_f32_e32 vcc, s53, v28
	v_add_f32_e32 v12, v19, v12
	s_nop 0
	v_cndmask_b32_e32 v18, 0, v18, vcc
	v_cmp_nlt_f32_e32 vcc, s51, v28
	s_nop 1
	v_cndmask_b32_e32 v18, v22, v18, vcc
	v_fma_f32 v12, v18, v12, v18
	v_cmp_class_f32_e64 vcc, v18, s46
	s_nop 1
	v_cndmask_b32_e32 v12, v12, v18, vcc
	v_trunc_f32_e32 v18, v40
	v_cmp_eq_f32_e32 vcc, v18, v40
	v_mul_f32_e32 v18, 0.5, v40
	v_trunc_f32_e32 v19, v18
	v_cmp_neq_f32_e64 s[6:7], v19, v18
	s_and_b64 s[6:7], vcc, s[6:7]
	s_nop 0
	v_cndmask_b32_e64 v18, 1.0, v41, s[6:7]
	v_bfi_b32 v12, s48, v12, v18
	v_cndmask_b32_e32 v18, v24, v12, vcc
	v_cmp_gt_f32_e32 vcc, 0, v41
	v_cndmask_b32_e64 v19, 0, v41, s[6:7]
	s_nop 0
	v_cndmask_b32_e32 v12, v12, v18, vcc
	v_cndmask_b32_e64 v18, v22, 0, s[8:9]
	v_cmp_neq_f32_e64 vcc, |v41|, 1.0
	v_cmp_gt_f32_e64 s[8:9], 0, v40
	s_nop 0
	v_cndmask_b32_e32 v18, 1.0, v18, vcc
	v_cmp_class_f32_e64 vcc, v40, s46
	s_nop 1
	v_cndmask_b32_e32 v12, v12, v18, vcc
	v_cmp_eq_f32_e32 vcc, 0, v41
	s_xor_b64 s[8:9], s[8:9], vcc
	v_cndmask_b32_e64 v18, v22, 0, s[8:9]
	v_bfi_b32 v18, s48, v18, v19
	s_or_b64 vcc, vcc, s[12:13]
	v_cndmask_b32_e32 v12, v12, v18, vcc
	v_cmp_o_f32_e32 vcc, v41, v40
	s_nop 1
	v_cndmask_b32_e32 v12, v24, v12, vcc
	v_bfe_u32 v18, v12, 16, 1
	v_add3_u32 v18, v12, v18, s54
	v_cmp_o_f32_e32 vcc, v12, v12
	s_nop 1
	v_cndmask_b32_sdwa v12, v25, v18, vcc dst_sel:DWORD dst_unused:UNUSED_PAD src0_sel:DWORD src1_sel:WORD_1
	global_store_short v[10:11], v12, off
.LBB60_14:                              ;   in Loop: Header=BB60_4 Depth=1
	s_or_b64 exec, exec, s[10:11]
	v_mov_b32_e32 v12, s40
	v_cmp_neq_f32_e32 vcc, 1.0, v26
	s_nop 1
	v_cndmask_b32_e32 v19, 1.0, v12, vcc
	v_mov_b32_e32 v12, s33
	v_cmp_neq_f32_e32 vcc, 1.0, v27
	v_cmp_gt_f32_e64 s[18:19], 0, v19
	s_nop 0
	v_cndmask_b32_e32 v18, 1.0, v12, vcc
	v_cmp_neq_f32_e32 vcc, 0, v18
	v_cmp_neq_f32_e64 s[12:13], v18, |v18|
	s_nop 0
	v_cndmask_b32_e32 v40, 1.0, v27, vcc
	v_cmp_neq_f32_e32 vcc, 0, v19
	v_cmp_lt_f32_e64 s[16:17], |v40|, 1.0
	s_nop 0
	v_cndmask_b32_e32 v41, 1.0, v26, vcc
	v_frexp_mant_f32_e64 v12, |v41|
	v_cmp_gt_f32_e32 vcc, s49, v12
	v_cmp_lt_f32_e64 s[14:15], |v41|, 1.0
	s_nop 0
	v_cndmask_b32_e64 v26, 1.0, 2.0, vcc
	v_mul_f32_e32 v12, v12, v26
	v_add_f32_e32 v26, 1.0, v12
	v_rcp_f32_e32 v34, v26
	v_add_f32_e32 v27, -1.0, v26
	v_sub_f32_e32 v29, v12, v27
	v_add_f32_e32 v27, -1.0, v12
	v_mul_f32_e32 v12, v27, v34
	v_mul_f32_e32 v28, v26, v12
	v_fma_f32 v30, v12, v26, -v28
	v_fmac_f32_e32 v30, v12, v29
	v_add_f32_e32 v26, v28, v30
	v_sub_f32_e32 v29, v27, v26
	v_pk_add_f32 v[32:33], v[26:27], v[28:29] neg_lo:[0,1] neg_hi:[0,1]
	v_mov_b32_e32 v31, v26
	v_pk_add_f32 v[26:27], v[32:33], v[30:31] neg_lo:[0,1] neg_hi:[0,1]
	s_nop 0
	v_add_f32_e32 v26, v26, v27
	v_add_f32_e32 v26, v29, v26
	v_mul_f32_e32 v27, v34, v26
	v_add_f32_e32 v26, v12, v27
	v_sub_f32_e32 v12, v26, v12
	v_sub_f32_e32 v36, v27, v12
	v_mul_f32_e32 v12, v26, v26
	v_fma_f32 v27, v26, v26, -v12
	v_add_f32_e32 v28, v36, v36
	v_fmac_f32_e32 v27, v26, v28
	v_add_f32_e32 v28, v12, v27
	v_fmamk_f32 v29, v28, 0x3e76c4e1, v20
	v_fmaak_f32 v29, v28, v29, 0x3ecccdef
	v_sub_f32_e32 v12, v28, v12
	v_sub_f32_e32 v37, v27, v12
	v_mul_f32_e32 v27, v28, v29
	v_fma_f32 v12, v28, v29, -v27
	v_fmac_f32_e32 v12, v37, v29
	v_add_f32_e32 v31, v27, v12
	v_sub_f32_e32 v30, v31, v27
	v_pk_add_f32 v[32:33], v[12:13], v[30:31] neg_lo:[0,1] neg_hi:[0,1]
	v_pk_add_f32 v[34:35], v[30:31], s[40:41]
	s_nop 0
	v_mov_b32_e32 v33, v35
	v_pk_add_f32 v[32:33], v[32:33], s[42:43]
	s_nop 0
	v_sub_f32_e32 v29, v31, v33
	v_mov_b32_e32 v27, v32
	v_pk_mul_f32 v[30:31], v[26:27], v[28:29]
	v_pk_add_f32 v[32:33], v[32:33], v[28:29] op_sel_hi:[0,1]
	v_fma_f32 v34, v28, v26, -v30
	v_fmac_f32_e32 v34, v28, v36
	v_mov_b32_e32 v31, v33
	v_fmac_f32_e32 v34, v37, v26
	v_pk_add_f32 v[28:29], v[30:31], v[34:35]
	s_nop 0
	v_sub_f32_e32 v27, v35, v29
	v_sub_f32_e32 v12, v28, v30
	v_add_f32_e32 v27, v33, v27
	v_pk_mul_f32 v[30:31], v[28:29], v[28:29] op_sel:[0,1] op_sel_hi:[1,0]
	v_cvt_f64_f32_e64 v[32:33], |v41|
	v_frexp_exp_i32_f64_e32 v31, v[32:33]
	v_subbrev_co_u32_e32 v31, vcc, 0, v31, vcc
	v_cvt_f32_i32_e32 v31, v31
	v_fma_f32 v32, v28, v29, -v30
	v_sub_f32_e32 v12, v34, v12
	v_fmac_f32_e32 v32, v28, v27
	v_mul_f32_e32 v28, 0x3f317218, v31
	v_fmac_f32_e32 v32, v12, v29
	v_fma_f32 v34, v31, s50, -v28
	v_fmac_f32_e32 v34, 0xb102e308, v31
	v_ldexp_f32 v35, v26, 1
	v_add_f32_e32 v29, v30, v32
	v_pk_add_f32 v[26:27], v[28:29], v[34:35]
	v_ldexp_f32 v12, v36, 1
	v_mov_b32_e32 v36, v29
	v_mov_b32_e32 v37, v27
	v_mov_b32_e32 v31, v35
	v_pk_add_f32 v[30:31], v[36:37], v[30:31] neg_lo:[0,1] neg_hi:[0,1]
	v_mov_b32_e32 v33, v29
	v_pk_add_f32 v[30:31], v[32:33], v[30:31] neg_lo:[0,1] neg_hi:[0,1]
	v_mov_b32_e32 v35, v26
	v_add_f32_e32 v12, v12, v30
	v_add_f32_e32 v29, v12, v31
	v_pk_add_f32 v[30:31], v[26:27], v[28:29] neg_lo:[0,1] neg_hi:[0,1]
	v_pk_add_f32 v[32:33], v[26:27], v[28:29]
	v_mov_b32_e32 v28, v29
	v_mov_b32_e32 v31, v33
	v_pk_add_f32 v[36:37], v[34:35], v[30:31] neg_lo:[0,1] neg_hi:[0,1]
	v_pk_add_f32 v[30:31], v[34:35], v[30:31]
	v_mov_b32_e32 v29, v26
	v_pk_add_f32 v[34:35], v[30:31], v[26:27] op_sel:[1,0] op_sel_hi:[0,1] neg_lo:[0,1] neg_hi:[0,1]
	v_pk_add_f32 v[38:39], v[32:33], v[34:35] op_sel_hi:[1,0] neg_lo:[0,1] neg_hi:[0,1]
	v_mov_b32_e32 v32, v33
	v_mov_b32_e32 v33, v31
	v_pk_mov_b32 v[34:35], v[26:27], v[34:35] op_sel:[1,0]
	v_mov_b32_e32 v38, v36
	v_pk_add_f32 v[32:33], v[32:33], v[34:35] neg_lo:[0,1] neg_hi:[0,1]
	v_mov_b32_e32 v37, v31
	v_pk_add_f32 v[26:27], v[28:29], v[32:33] neg_lo:[0,1] neg_hi:[0,1]
	s_nop 0
	v_pk_add_f32 v[28:29], v[38:39], v[26:27]
	s_nop 0
	v_pk_add_f32 v[32:33], v[28:29], v[28:29] op_sel:[0,1] op_sel_hi:[1,0]
	s_nop 0
	v_pk_add_f32 v[30:31], v[30:31], v[32:33] op_sel:[1,0] op_sel_hi:[0,1]
	v_mov_b32_e32 v29, v30
	v_pk_add_f32 v[34:35], v[28:29], v[36:37] neg_lo:[0,1] neg_hi:[0,1]
	v_mov_b32_e32 v27, v32
	v_sub_f32_e32 v12, v28, v34
	v_pk_add_f32 v[26:27], v[26:27], v[34:35] neg_lo:[0,1] neg_hi:[0,1]
	v_sub_f32_e32 v12, v36, v12
	v_add_f32_e32 v12, v26, v12
	v_add_f32_e32 v12, v12, v27
	;; [unrolled: 1-line block ×3, first 2 shown]
	v_sub_f32_e32 v27, v26, v30
	v_sub_f32_e32 v12, v12, v27
	v_mul_f32_e32 v27, v19, v26
	v_fma_f32 v26, v19, v26, -v27
	v_fmac_f32_e32 v26, v19, v12
	v_add_f32_e32 v12, v27, v26
	v_cmp_class_f32_e64 vcc, v27, s46
	v_sub_f32_e32 v28, v12, v27
	v_sub_f32_e32 v42, v26, v28
	v_cndmask_b32_e32 v43, v12, v27, vcc
	v_frexp_mant_f32_e64 v12, |v40|
	v_cmp_gt_f32_e32 vcc, s49, v12
	s_nop 1
	v_cndmask_b32_e64 v26, 1.0, 2.0, vcc
	v_mul_f32_e32 v12, v12, v26
	v_add_f32_e32 v26, 1.0, v12
	v_rcp_f32_e32 v34, v26
	v_add_f32_e32 v27, -1.0, v26
	v_sub_f32_e32 v29, v12, v27
	v_add_f32_e32 v27, -1.0, v12
	v_mul_f32_e32 v12, v27, v34
	v_mul_f32_e32 v28, v26, v12
	v_fma_f32 v30, v12, v26, -v28
	v_fmac_f32_e32 v30, v12, v29
	v_add_f32_e32 v26, v28, v30
	v_sub_f32_e32 v29, v27, v26
	v_pk_add_f32 v[32:33], v[26:27], v[28:29] neg_lo:[0,1] neg_hi:[0,1]
	v_mov_b32_e32 v31, v26
	v_pk_add_f32 v[26:27], v[32:33], v[30:31] neg_lo:[0,1] neg_hi:[0,1]
	s_nop 0
	v_add_f32_e32 v26, v26, v27
	v_add_f32_e32 v26, v29, v26
	v_mul_f32_e32 v27, v34, v26
	v_add_f32_e32 v26, v12, v27
	v_sub_f32_e32 v12, v26, v12
	v_sub_f32_e32 v36, v27, v12
	v_mul_f32_e32 v12, v26, v26
	v_fma_f32 v27, v26, v26, -v12
	v_add_f32_e32 v28, v36, v36
	v_fmac_f32_e32 v27, v26, v28
	v_add_f32_e32 v28, v12, v27
	v_fmamk_f32 v29, v28, 0x3e76c4e1, v20
	v_fmaak_f32 v29, v28, v29, 0x3ecccdef
	v_sub_f32_e32 v12, v28, v12
	v_sub_f32_e32 v37, v27, v12
	v_mul_f32_e32 v27, v28, v29
	v_fma_f32 v12, v28, v29, -v27
	v_fmac_f32_e32 v12, v37, v29
	v_add_f32_e32 v31, v27, v12
	v_sub_f32_e32 v30, v31, v27
	v_pk_add_f32 v[32:33], v[12:13], v[30:31] neg_lo:[0,1] neg_hi:[0,1]
	v_pk_add_f32 v[34:35], v[30:31], s[40:41]
	s_nop 0
	v_mov_b32_e32 v33, v35
	v_pk_add_f32 v[32:33], v[32:33], s[42:43]
	s_nop 0
	v_sub_f32_e32 v29, v31, v33
	v_mov_b32_e32 v27, v32
	v_pk_mul_f32 v[30:31], v[26:27], v[28:29]
	v_pk_add_f32 v[32:33], v[32:33], v[28:29] op_sel_hi:[0,1]
	v_fma_f32 v34, v28, v26, -v30
	v_fmac_f32_e32 v34, v28, v36
	v_mov_b32_e32 v31, v33
	v_fmac_f32_e32 v34, v37, v26
	v_pk_add_f32 v[28:29], v[30:31], v[34:35]
	s_nop 0
	v_sub_f32_e32 v27, v35, v29
	v_sub_f32_e32 v12, v28, v30
	v_add_f32_e32 v27, v33, v27
	v_pk_mul_f32 v[30:31], v[28:29], v[28:29] op_sel:[0,1] op_sel_hi:[1,0]
	v_cvt_f64_f32_e64 v[32:33], |v40|
	v_frexp_exp_i32_f64_e32 v31, v[32:33]
	v_subbrev_co_u32_e32 v31, vcc, 0, v31, vcc
	v_cvt_f32_i32_e32 v31, v31
	v_fma_f32 v32, v28, v29, -v30
	v_sub_f32_e32 v12, v34, v12
	v_fmac_f32_e32 v32, v28, v27
	v_mul_f32_e32 v28, 0x3f317218, v31
	v_fmac_f32_e32 v32, v12, v29
	v_fma_f32 v34, v31, s50, -v28
	v_fmac_f32_e32 v34, 0xb102e308, v31
	v_ldexp_f32 v35, v26, 1
	v_add_f32_e32 v29, v30, v32
	v_pk_add_f32 v[26:27], v[28:29], v[34:35]
	v_ldexp_f32 v12, v36, 1
	v_mov_b32_e32 v36, v29
	v_mov_b32_e32 v37, v27
	;; [unrolled: 1-line block ×3, first 2 shown]
	v_pk_add_f32 v[30:31], v[36:37], v[30:31] neg_lo:[0,1] neg_hi:[0,1]
	v_mov_b32_e32 v33, v29
	v_pk_add_f32 v[30:31], v[32:33], v[30:31] neg_lo:[0,1] neg_hi:[0,1]
	v_mov_b32_e32 v35, v26
	v_add_f32_e32 v12, v12, v30
	v_add_f32_e32 v29, v12, v31
	v_pk_add_f32 v[30:31], v[26:27], v[28:29] neg_lo:[0,1] neg_hi:[0,1]
	v_pk_add_f32 v[32:33], v[26:27], v[28:29]
	v_mov_b32_e32 v28, v29
	v_mov_b32_e32 v31, v33
	v_pk_add_f32 v[36:37], v[34:35], v[30:31] neg_lo:[0,1] neg_hi:[0,1]
	v_pk_add_f32 v[30:31], v[34:35], v[30:31]
	v_mov_b32_e32 v29, v26
	v_pk_add_f32 v[34:35], v[30:31], v[26:27] op_sel:[1,0] op_sel_hi:[0,1] neg_lo:[0,1] neg_hi:[0,1]
	v_pk_add_f32 v[38:39], v[32:33], v[34:35] op_sel_hi:[1,0] neg_lo:[0,1] neg_hi:[0,1]
	v_mov_b32_e32 v32, v33
	v_mov_b32_e32 v33, v31
	v_pk_mov_b32 v[34:35], v[26:27], v[34:35] op_sel:[1,0]
	v_mov_b32_e32 v38, v36
	v_pk_add_f32 v[32:33], v[32:33], v[34:35] neg_lo:[0,1] neg_hi:[0,1]
	v_mov_b32_e32 v37, v31
	v_pk_add_f32 v[26:27], v[28:29], v[32:33] neg_lo:[0,1] neg_hi:[0,1]
	v_cmp_eq_f32_e32 vcc, s51, v43
	v_pk_add_f32 v[28:29], v[38:39], v[26:27]
	s_nop 0
	v_pk_add_f32 v[32:33], v[28:29], v[28:29] op_sel:[0,1] op_sel_hi:[1,0]
	s_nop 0
	v_pk_add_f32 v[30:31], v[30:31], v[32:33] op_sel:[1,0] op_sel_hi:[0,1]
	v_mov_b32_e32 v29, v30
	v_pk_add_f32 v[34:35], v[28:29], v[36:37] neg_lo:[0,1] neg_hi:[0,1]
	v_mov_b32_e32 v27, v32
	v_sub_f32_e32 v12, v28, v34
	v_pk_add_f32 v[26:27], v[26:27], v[34:35] neg_lo:[0,1] neg_hi:[0,1]
	v_sub_f32_e32 v12, v36, v12
	v_add_f32_e32 v12, v26, v12
	v_add_f32_e32 v12, v12, v27
	v_add_f32_e32 v26, v30, v12
	v_sub_f32_e32 v27, v26, v30
	v_mul_f32_e32 v28, v18, v26
	v_sub_f32_e32 v12, v12, v27
	v_fma_f32 v26, v18, v26, -v28
	v_fmac_f32_e32 v26, v18, v12
	v_add_f32_e32 v12, v28, v26
	v_sub_f32_e32 v27, v12, v28
	v_sub_f32_e32 v26, v26, v27
	v_cndmask_b32_e32 v27, 0, v23, vcc
	v_sub_f32_e32 v29, v43, v27
	v_mul_f32_e32 v30, 0x3fb8aa3b, v29
	v_fma_f32 v31, v29, s52, -v30
	v_rndne_f32_e32 v32, v30
	v_fmac_f32_e32 v31, 0x32a5705f, v29
	v_sub_f32_e32 v30, v30, v32
	v_add_f32_e32 v30, v30, v31
	v_exp_f32_e32 v30, v30
	v_cvt_i32_f32_e32 v31, v32
	v_cmp_class_f32_e64 vcc, v28, s46
	v_trunc_f32_e32 v34, v19
	s_nop 0
	v_cndmask_b32_e32 v12, v12, v28, vcc
	v_ldexp_f32 v28, v30, v31
	v_cmp_ngt_f32_e32 vcc, s53, v29
	v_cmp_class_f32_e64 s[6:7], v12, s46
	v_pk_mul_f32 v[30:31], v[18:19], 0.5 op_sel_hi:[1,0]
	v_cndmask_b32_e32 v28, 0, v28, vcc
	v_cmp_nlt_f32_e32 vcc, s51, v29
	v_cndmask_b32_e64 v26, v26, 0, s[6:7]
	v_cmp_class_f32_e64 s[6:7], v43, s46
	v_cndmask_b32_e32 v29, v22, v28, vcc
	v_cmp_eq_f32_e32 vcc, s51, v12
	v_trunc_f32_e32 v35, v31
	v_cmp_neq_f32_e64 s[8:9], v35, v31
	v_cndmask_b32_e32 v32, 0, v23, vcc
	v_sub_f32_e32 v12, v12, v32
	v_mul_f32_e32 v28, 0x3fb8aa3b, v12
	v_fma_f32 v33, v12, s52, -v28
	v_rndne_f32_e32 v36, v28
	v_fmac_f32_e32 v33, 0x32a5705f, v12
	v_sub_f32_e32 v28, v28, v36
	v_add_f32_e32 v28, v28, v33
	v_exp_f32_e32 v28, v28
	v_cvt_i32_f32_e32 v36, v36
	v_cmp_ngt_f32_e32 vcc, s53, v12
	v_cndmask_b32_e64 v33, v42, 0, s[6:7]
	v_pk_add_f32 v[26:27], v[26:27], v[32:33]
	v_ldexp_f32 v28, v28, v36
	v_cndmask_b32_e32 v28, 0, v28, vcc
	v_cmp_nlt_f32_e32 vcc, s51, v12
	s_nop 1
	v_cndmask_b32_e32 v28, v22, v28, vcc
	v_pk_fma_f32 v[26:27], v[28:29], v[26:27], v[28:29]
	v_cmp_class_f32_e32 vcc, v29, v21
	s_nop 1
	v_cndmask_b32_e32 v12, v27, v29, vcc
	v_trunc_f32_e32 v27, v18
	v_cmp_class_f32_e32 vcc, v28, v21
	v_cmp_eq_f32_e64 s[6:7], v27, v18
	v_trunc_f32_e32 v27, v30
	v_cndmask_b32_e32 v26, v26, v28, vcc
	v_cmp_eq_f32_e32 vcc, v34, v19
	v_cmp_neq_f32_e64 s[10:11], v27, v30
	s_and_b64 s[8:9], vcc, s[8:9]
	s_and_b64 s[10:11], s[6:7], s[10:11]
	v_cndmask_b32_e64 v27, 1.0, v41, s[8:9]
	v_cndmask_b32_e64 v28, 1.0, v40, s[10:11]
	v_bfi_b32 v26, s48, v26, v28
	v_bfi_b32 v12, s48, v12, v27
	v_cndmask_b32_e32 v27, v24, v12, vcc
	v_cndmask_b32_e64 v28, v24, v26, s[6:7]
	v_cmp_gt_f32_e32 vcc, 0, v40
	v_cmp_neq_f32_e64 s[6:7], v19, |v19|
	s_xor_b64 s[6:7], s[6:7], s[14:15]
	v_cndmask_b32_e32 v26, v26, v28, vcc
	v_cmp_gt_f32_e32 vcc, 0, v41
	v_cmp_eq_f32_e64 s[14:15], 0, v41
	v_cndmask_b32_e64 v29, 0, v40, s[10:11]
	v_cndmask_b32_e32 v12, v12, v27, vcc
	v_cndmask_b32_e64 v27, v22, 0, s[6:7]
	s_xor_b64 s[6:7], s[12:13], s[16:17]
	v_cndmask_b32_e64 v28, v22, 0, s[6:7]
	v_cmp_neq_f32_e64 vcc, |v40|, 1.0
	v_cmp_eq_f32_e64 s[12:13], 0, v40
	v_cmp_gt_f32_e64 s[16:17], 0, v18
	v_cndmask_b32_e32 v28, 1.0, v28, vcc
	v_cmp_neq_f32_e64 vcc, |v41|, 1.0
	s_xor_b64 s[16:17], s[16:17], s[12:13]
	v_cmp_class_f32_e64 s[6:7], v41, v21
	v_cndmask_b32_e32 v27, 1.0, v27, vcc
	v_cmp_class_f32_e32 vcc, v19, v21
	v_cndmask_b32_e64 v30, 0, v41, s[8:9]
	s_nop 0
	v_cndmask_b32_e32 v12, v12, v27, vcc
	v_cmp_class_f32_e32 vcc, v18, v21
	v_cndmask_b32_e64 v27, v22, 0, s[16:17]
	s_xor_b64 s[16:17], s[18:19], s[14:15]
	v_cndmask_b32_e32 v26, v26, v28, vcc
	v_cmp_class_f32_e32 vcc, v40, v21
	v_cndmask_b32_e64 v28, v22, 0, s[16:17]
	v_bfi_b32 v27, s48, v27, v29
	s_or_b64 vcc, s[12:13], vcc
	v_bfi_b32 v28, s48, v28, v30
	v_cndmask_b32_e32 v26, v26, v27, vcc
	s_or_b64 vcc, s[14:15], s[6:7]
	v_cndmask_b32_e32 v12, v12, v28, vcc
	v_cmp_o_f32_e32 vcc, v41, v19
	s_nop 1
	v_cndmask_b32_e32 v19, v24, v12, vcc
	v_cmp_o_f32_e32 vcc, v40, v18
	s_nop 1
	v_cndmask_b32_e32 v12, v24, v26, vcc
	v_cmp_u_f32_e32 vcc, v19, v19
	v_cmp_u_f32_e64 s[6:7], v12, v12
	s_and_saveexec_b64 s[8:9], s[2:3]
	s_cbranch_execz .LBB60_16
; %bb.15:                               ;   in Loop: Header=BB60_4 Depth=1
	v_bfe_u32 v18, v19, 16, 1
	v_add3_u32 v18, v19, v18, s54
	v_cndmask_b32_sdwa v18, v18, v25, vcc dst_sel:DWORD dst_unused:UNUSED_PAD src0_sel:WORD_1 src1_sel:DWORD
	global_store_short v[14:15], v18, off
.LBB60_16:                              ;   in Loop: Header=BB60_4 Depth=1
	s_or_b64 exec, exec, s[8:9]
	s_and_saveexec_b64 s[2:3], s[4:5]
	s_cbranch_execz .LBB60_3
; %bb.17:                               ;   in Loop: Header=BB60_4 Depth=1
	v_bfe_u32 v14, v12, 16, 1
	v_add3_u32 v12, v12, v14, s54
	s_mov_b64 vcc, s[6:7]
	v_cndmask_b32_sdwa v12, v12, v25, vcc dst_sel:DWORD dst_unused:UNUSED_PAD src0_sel:WORD_1 src1_sel:DWORD
	global_store_short v[16:17], v12, off
	s_branch .LBB60_3
.LBB60_18:                              ;   in Loop: Header=BB60_4 Depth=1
	global_load_ushort v19, v[16:17], off
	s_waitcnt vmcnt(0)
	v_lshlrev_b32_e32 v27, 16, v19
	s_or_b64 exec, exec, s[8:9]
	s_and_saveexec_b64 s[16:17], vcc
	s_cbranch_execz .LBB60_12
.LBB60_19:                              ;   in Loop: Header=BB60_4 Depth=1
	v_mov_b32_e32 v19, s33
	v_cmp_neq_f32_e32 vcc, 1.0, v18
	s_nop 1
	v_cndmask_b32_e32 v40, 1.0, v19, vcc
	v_cmp_neq_f32_e32 vcc, 0, v40
	v_cmp_gt_f32_e64 s[8:9], 0, v40
	s_nop 0
	v_cndmask_b32_e32 v41, 1.0, v18, vcc
	v_cmp_eq_f32_e32 vcc, 0, v41
	s_xor_b64 s[8:9], s[8:9], vcc
	v_trunc_f32_e32 v18, v40
	v_cndmask_b32_e64 v28, v22, 0, s[8:9]
	v_cmp_eq_f32_e64 s[8:9], v18, v40
	v_mul_f32_e32 v18, 0.5, v40
	v_trunc_f32_e32 v19, v18
	v_cmp_neq_f32_e64 s[10:11], v19, v18
	v_cvt_f64_f32_e64 v[18:19], |v41|
	v_frexp_exp_i32_f64_e32 v18, v[18:19]
	v_frexp_mant_f32_e64 v19, |v41|
	s_and_b64 s[10:11], s[8:9], s[10:11]
	v_cmp_gt_f32_e64 s[12:13], s49, v19
	v_cndmask_b32_e64 v29, 0, v41, s[10:11]
	v_bfi_b32 v42, s48, v28, v29
	v_subbrev_co_u32_e64 v18, s[14:15], 0, v18, s[12:13]
	v_cvt_f32_i32_e32 v30, v18
	v_cndmask_b32_e64 v29, 1.0, 2.0, s[12:13]
	v_mul_f32_e32 v19, v19, v29
	v_add_f32_e32 v29, 1.0, v19
	v_rcp_f32_e32 v38, v29
	v_mul_f32_e32 v18, 0x3f317218, v30
	v_fma_f32 v28, v30, s50, -v18
	v_fmac_f32_e32 v28, 0xb102e308, v30
	v_add_f32_e32 v30, -1.0, v29
	v_add_f32_e32 v31, -1.0, v19
	v_sub_f32_e32 v30, v19, v30
	v_mul_f32_e32 v19, v31, v38
	v_mul_f32_e32 v32, v29, v19
	v_fma_f32 v34, v19, v29, -v32
	v_fmac_f32_e32 v34, v19, v30
	v_add_f32_e32 v30, v32, v34
	v_sub_f32_e32 v33, v31, v30
	v_pk_add_f32 v[36:37], v[30:31], v[32:33] neg_lo:[0,1] neg_hi:[0,1]
	v_mov_b32_e32 v35, v30
	v_pk_add_f32 v[30:31], v[36:37], v[34:35] neg_lo:[0,1] neg_hi:[0,1]
	v_cmp_neq_f32_e64 s[14:15], v40, |v40|
	v_add_f32_e32 v29, v30, v31
	v_add_f32_e32 v29, v33, v29
	v_mul_f32_e32 v31, v38, v29
	v_add_f32_e32 v30, v19, v31
	v_sub_f32_e32 v19, v30, v19
	v_mul_f32_e32 v33, v30, v30
	v_sub_f32_e32 v43, v31, v19
	v_add_f32_e32 v19, v43, v43
	v_fma_f32 v31, v30, v30, -v33
	v_fmac_f32_e32 v31, v30, v19
	v_add_f32_e32 v32, v33, v31
	v_sub_f32_e32 v19, v32, v33
	v_sub_f32_e32 v19, v31, v19
	v_fmamk_f32 v31, v32, 0x3e76c4e1, v20
	v_fmaak_f32 v31, v32, v31, 0x3ecccdef
	v_mul_f32_e32 v33, v32, v31
	v_fma_f32 v34, v32, v31, -v33
	v_fmac_f32_e32 v34, v19, v31
	v_add_f32_e32 v36, v33, v34
	v_add_f32_e32 v35, 0x3f2aaaaa, v36
	v_sub_f32_e32 v31, v36, v33
	v_sub_f32_e32 v31, v34, v31
	v_add_f32_e32 v33, 0xbf2aaaaa, v35
	v_add_f32_e32 v31, 0x31739010, v31
	v_sub_f32_e32 v33, v36, v33
	v_pk_mul_f32 v[36:37], v[30:31], v[32:33]
	v_pk_add_f32 v[38:39], v[30:31], v[32:33]
	v_fma_f32 v34, v32, v30, -v36
	v_fmac_f32_e32 v34, v32, v43
	v_mov_b32_e32 v37, v39
	v_fmac_f32_e32 v34, v19, v30
	v_ldexp_f32 v29, v30, 1
	v_pk_add_f32 v[30:31], v[36:37], v[34:35]
	v_ldexp_f32 v38, v43, 1
	v_pk_mul_f32 v[32:33], v[30:31], v[30:31] op_sel:[0,1] op_sel_hi:[1,0]
	v_sub_f32_e32 v19, v30, v36
	v_sub_f32_e32 v33, v35, v31
	;; [unrolled: 1-line block ×3, first 2 shown]
	v_add_f32_e32 v33, v39, v33
	v_fma_f32 v34, v30, v31, -v32
	v_fmac_f32_e32 v34, v30, v33
	v_fmac_f32_e32 v34, v19, v31
	v_add_f32_e32 v19, v32, v34
	v_pk_add_f32 v[30:31], v[18:19], v[28:29]
	v_mov_b32_e32 v36, v19
	v_mov_b32_e32 v37, v31
	;; [unrolled: 1-line block ×3, first 2 shown]
	v_pk_add_f32 v[32:33], v[36:37], v[32:33] neg_lo:[0,1] neg_hi:[0,1]
	v_mov_b32_e32 v35, v19
	v_pk_add_f32 v[32:33], v[34:35], v[32:33] neg_lo:[0,1] neg_hi:[0,1]
	v_mov_b32_e32 v29, v30
	v_add_f32_e32 v19, v38, v32
	v_add_f32_e32 v19, v19, v33
	v_pk_add_f32 v[32:33], v[30:31], v[18:19] neg_lo:[0,1] neg_hi:[0,1]
	v_pk_add_f32 v[34:35], v[30:31], v[18:19]
	v_mov_b32_e32 v18, v19
	v_mov_b32_e32 v33, v35
	v_pk_add_f32 v[36:37], v[28:29], v[32:33] neg_lo:[0,1] neg_hi:[0,1]
	v_pk_add_f32 v[28:29], v[28:29], v[32:33]
	v_mov_b32_e32 v19, v30
	v_pk_add_f32 v[32:33], v[28:29], v[30:31] op_sel:[1,0] op_sel_hi:[0,1] neg_lo:[0,1] neg_hi:[0,1]
	v_pk_add_f32 v[38:39], v[34:35], v[32:33] op_sel_hi:[1,0] neg_lo:[0,1] neg_hi:[0,1]
	v_mov_b32_e32 v34, v35
	v_mov_b32_e32 v35, v29
	v_pk_mov_b32 v[32:33], v[30:31], v[32:33] op_sel:[1,0]
	v_mov_b32_e32 v38, v36
	v_pk_add_f32 v[32:33], v[34:35], v[32:33] neg_lo:[0,1] neg_hi:[0,1]
	v_mov_b32_e32 v37, v29
	v_pk_add_f32 v[18:19], v[18:19], v[32:33] neg_lo:[0,1] neg_hi:[0,1]
	v_cmp_lt_f32_e64 s[44:45], |v41|, 1.0
	v_pk_add_f32 v[30:31], v[38:39], v[18:19]
	v_cmp_class_f32_e64 s[18:19], v41, s46
	v_pk_add_f32 v[32:33], v[30:31], v[30:31] op_sel:[0,1] op_sel_hi:[1,0]
	s_or_b64 vcc, vcc, s[18:19]
	v_pk_add_f32 v[28:29], v[28:29], v[32:33] op_sel:[1,0] op_sel_hi:[0,1]
	v_mov_b32_e32 v31, v28
	v_pk_add_f32 v[34:35], v[30:31], v[36:37] neg_lo:[0,1] neg_hi:[0,1]
	v_mov_b32_e32 v19, v32
	v_sub_f32_e32 v29, v30, v34
	v_pk_add_f32 v[18:19], v[18:19], v[34:35] neg_lo:[0,1] neg_hi:[0,1]
	v_sub_f32_e32 v29, v36, v29
	v_add_f32_e32 v18, v18, v29
	v_add_f32_e32 v18, v18, v19
	;; [unrolled: 1-line block ×3, first 2 shown]
	v_mul_f32_e32 v29, v40, v19
	v_sub_f32_e32 v28, v19, v28
	v_sub_f32_e32 v18, v18, v28
	v_fma_f32 v19, v40, v19, -v29
	v_fmac_f32_e32 v19, v40, v18
	v_add_f32_e32 v18, v29, v19
	v_cmp_class_f32_e64 s[12:13], v29, s46
	s_nop 1
	v_cndmask_b32_e64 v28, v18, v29, s[12:13]
	v_cmp_eq_f32_e64 s[12:13], s51, v28
	v_sub_f32_e32 v18, v18, v29
	v_sub_f32_e32 v18, v19, v18
	v_cndmask_b32_e64 v30, 0, v23, s[12:13]
	v_sub_f32_e32 v31, v28, v30
	v_mul_f32_e32 v32, 0x3fb8aa3b, v31
	v_fma_f32 v33, v31, s52, -v32
	v_rndne_f32_e32 v34, v32
	v_fmac_f32_e32 v33, 0x32a5705f, v31
	v_sub_f32_e32 v32, v32, v34
	v_add_f32_e32 v32, v32, v33
	v_exp_f32_e32 v32, v32
	v_cvt_i32_f32_e32 v33, v34
	s_xor_b64 s[12:13], s[14:15], s[44:45]
	v_cndmask_b32_e64 v34, v22, 0, s[12:13]
	v_cmp_neq_f32_e64 s[12:13], |v41|, 1.0
	v_ldexp_f32 v32, v32, v33
	v_cndmask_b32_e64 v19, 1.0, v41, s[10:11]
	v_cndmask_b32_e64 v34, 1.0, v34, s[12:13]
	v_cmp_ngt_f32_e64 s[12:13], s53, v31
	s_nop 1
	v_cndmask_b32_e64 v32, 0, v32, s[12:13]
	v_cmp_nlt_f32_e64 s[12:13], s51, v31
	s_nop 1
	v_cndmask_b32_e64 v31, v22, v32, s[12:13]
	v_cmp_neq_f32_e64 s[12:13], |v28|, s47
	s_nop 1
	v_cndmask_b32_e64 v18, 0, v18, s[12:13]
	v_add_f32_e32 v18, v30, v18
	v_fma_f32 v18, v31, v18, v31
	v_cmp_class_f32_e64 s[12:13], v31, s46
	s_nop 1
	v_cndmask_b32_e64 v18, v18, v31, s[12:13]
	v_bfi_b32 v18, s48, v18, v19
	v_cndmask_b32_e64 v19, v24, v18, s[8:9]
	v_cmp_gt_f32_e64 s[8:9], 0, v41
	s_nop 1
	v_cndmask_b32_e64 v18, v18, v19, s[8:9]
	v_cmp_class_f32_e64 s[8:9], v40, s46
	s_nop 1
	v_cndmask_b32_e64 v18, v18, v34, s[8:9]
	v_cndmask_b32_e32 v18, v18, v42, vcc
	v_cmp_o_f32_e32 vcc, v41, v40
	s_nop 1
	v_cndmask_b32_e32 v18, v24, v18, vcc
	v_bfe_u32 v19, v18, 16, 1
	v_add3_u32 v19, v18, v19, s54
	v_cmp_o_f32_e32 vcc, v18, v18
	s_nop 1
	v_cndmask_b32_sdwa v18, v25, v19, vcc dst_sel:DWORD dst_unused:UNUSED_PAD src0_sel:DWORD src1_sel:WORD_1
	global_store_short v[2:3], v18, off
	s_or_b64 exec, exec, s[16:17]
	s_and_saveexec_b64 s[10:11], s[6:7]
	s_cbranch_execnz .LBB60_13
	s_branch .LBB60_14
.LBB60_20:
	s_cbranch_execz .LBB60_22
	s_branch .LBB60_25
.LBB60_21:
.LBB60_22:
	v_mov_b64_e32 v[4:5], 0x10000
	v_cmp_lt_i64_e32 vcc, s[24:25], v[4:5]
	s_and_b64 s[2:3], vcc, exec
	v_mov_b32_e32 v3, 0
	s_cselect_b32 s17, s25, 0
	s_cselect_b32 s16, s24, 0x10000
	v_lshlrev_b32_e32 v2, 2, v0
	s_mov_b32 s15, 0
	v_cmp_gt_i64_e32 vcc, s[16:17], v[2:3]
	s_and_saveexec_b64 s[2:3], vcc
	s_cbranch_execz .LBB60_25
; %bb.23:
	s_load_dword s0, s[0:1], 0xd3c
	v_lshlrev_b32_e32 v2, 3, v0
	s_mov_b32 s24, 0x31739010
	v_mov_b32_e32 v1, v3
	s_mov_b32 s19, s15
	s_waitcnt lgkmcnt(0)
	s_and_b32 s14, s0, 0xffff
	s_add_u32 s0, s20, s22
	s_addc_u32 s1, s21, s23
	s_lshl_b32 s18, s14, 3
	v_lshl_add_u64 v[2:3], s[0:1], 0, v[2:3]
	s_mov_b64 s[20:21], 0
	v_mov_b32_e32 v10, s33
	v_mov_b32_e32 v11, s33
	s_mov_b32 s22, 0x3f2aaaab
	v_mov_b32_e32 v12, 0x3e91f4c4
	s_mov_b32 s23, 0x3f2aaaaa
	s_mov_b32 s25, 0xbf2aaaaa
	;; [unrolled: 1-line block ×3, first 2 shown]
	s_movk_i32 s27, 0x204
	s_mov_b32 s28, 0x42b17218
	v_mov_b32_e32 v13, 0x37000000
	s_mov_b32 s29, 0x3fb8aa3b
	s_mov_b32 s30, 0xc2ce8ed0
	v_mov_b32_e32 v14, 0x7f800000
	v_mov_b32_e32 v15, 0x204
	s_brev_b32 s31, -2
	v_mov_b32_e32 v16, 0x7fc00000
	s_movk_i32 s33, 0x7fff
	v_mov_b32_e32 v17, 0x7fc0
	v_mov_b32_e32 v5, 0x3f2aaaaa
                                        ; implicit-def: $vgpr4
.LBB60_24:                              ; =>This Inner Loop Header: Depth=1
	global_load_dwordx2 v[6:7], v[2:3], off
	v_lshl_add_u64 v[0:1], v[0:1], 0, s[14:15]
	s_waitcnt vmcnt(0)
	v_lshlrev_b32_e32 v19, 16, v6
	v_and_b32_e32 v4, 0xffff0000, v6
	v_cmp_neq_f32_e32 vcc, 1.0, v19
	s_nop 1
	v_cndmask_b32_e32 v9, 1.0, v10, vcc
	v_cmp_neq_f32_e32 vcc, 1.0, v4
	v_cmp_neq_f32_e64 s[6:7], v9, |v9|
	s_nop 0
	v_cndmask_b32_e32 v8, 1.0, v11, vcc
	v_cmp_neq_f32_e32 vcc, 0, v8
	v_cmp_gt_f32_e64 s[12:13], 0, v8
	s_nop 0
	v_cndmask_b32_e32 v18, 1.0, v4, vcc
	v_cmp_neq_f32_e32 vcc, 0, v9
	v_frexp_mant_f32_e64 v22, |v18|
	v_cmp_lt_f32_e64 s[8:9], |v18|, 1.0
	v_cndmask_b32_e32 v19, 1.0, v19, vcc
	v_frexp_mant_f32_e64 v4, |v19|
	v_cmp_gt_f32_e64 s[0:1], s22, v4
	v_cvt_f64_f32_e64 v[20:21], |v19|
	v_cmp_gt_f32_e32 vcc, s22, v22
	v_cndmask_b32_e64 v23, 1.0, 2.0, s[0:1]
	v_frexp_exp_i32_f64_e32 v20, v[20:21]
	v_cndmask_b32_e64 v21, 1.0, 2.0, vcc
	v_mul_f32_e32 v4, v4, v23
	v_mul_f32_e32 v22, v22, v21
	v_add_f32_e32 v25, 1.0, v4
	v_add_f32_e32 v27, 1.0, v22
	v_rcp_f32_e32 v36, v25
	v_subbrev_co_u32_e64 v20, s[0:1], 0, v20, s[0:1]
	v_rcp_f32_e32 v37, v27
	v_cvt_f32_i32_e32 v20, v20
	v_add_f32_e32 v21, -1.0, v4
	v_add_f32_e32 v23, -1.0, v22
	v_mul_f32_e32 v38, v21, v36
	v_add_f32_e32 v24, -1.0, v25
	v_mul_f32_e32 v39, v23, v37
	v_mul_f32_e32 v28, v25, v38
	v_add_f32_e32 v26, -1.0, v27
	v_sub_f32_e32 v4, v4, v24
	v_mul_f32_e32 v24, 0x3f317218, v20
	v_mul_f32_e32 v30, v27, v39
	v_fma_f32 v32, v38, v25, -v28
	v_sub_f32_e32 v22, v22, v26
	v_fma_f32 v26, v20, s26, -v24
	v_fma_f32 v34, v39, v27, -v30
	v_fmac_f32_e32 v32, v38, v4
	v_fmac_f32_e32 v26, 0xb102e308, v20
	;; [unrolled: 1-line block ×3, first 2 shown]
	v_add_f32_e32 v20, v28, v32
	v_add_f32_e32 v22, v30, v34
	v_sub_f32_e32 v29, v21, v20
	v_mov_b32_e32 v33, v20
	v_sub_f32_e32 v31, v23, v22
	v_pk_add_f32 v[20:21], v[20:21], v[28:29] neg_lo:[0,1] neg_hi:[0,1]
	v_mov_b32_e32 v35, v22
	v_pk_add_f32 v[22:23], v[22:23], v[30:31] neg_lo:[0,1] neg_hi:[0,1]
	v_pk_add_f32 v[20:21], v[20:21], v[32:33] neg_lo:[0,1] neg_hi:[0,1]
	;; [unrolled: 1-line block ×3, first 2 shown]
	v_add_f32_e32 v4, v20, v21
	v_add_f32_e32 v20, v22, v23
	;; [unrolled: 1-line block ×4, first 2 shown]
	v_mul_f32_e32 v4, v36, v4
	v_mul_f32_e32 v21, v37, v20
	v_add_f32_e32 v20, v38, v4
	v_add_f32_e32 v22, v39, v21
	v_sub_f32_e32 v23, v20, v38
	v_mul_f32_e32 v25, v20, v20
	v_sub_f32_e32 v28, v22, v39
	v_sub_f32_e32 v23, v4, v23
	v_mul_f32_e32 v31, v22, v22
	v_fma_f32 v4, v20, v20, -v25
	v_sub_f32_e32 v38, v21, v28
	v_add_f32_e32 v21, v23, v23
	v_fma_f32 v39, v22, v22, -v31
	v_add_f32_e32 v28, v38, v38
	v_fmac_f32_e32 v4, v20, v21
	v_fmac_f32_e32 v39, v22, v28
	v_add_f32_e32 v28, v25, v4
	v_fmamk_f32 v21, v28, 0x3e76c4e1, v12
	v_fmaak_f32 v21, v28, v21, 0x3ecccdef
	v_sub_f32_e32 v25, v28, v25
	v_mul_f32_e32 v29, v28, v21
	v_sub_f32_e32 v25, v4, v25
	v_fma_f32 v4, v28, v21, -v29
	v_fmac_f32_e32 v4, v25, v21
	v_add_f32_e32 v33, v29, v4
	v_sub_f32_e32 v32, v33, v29
	v_pk_add_f32 v[34:35], v[4:5], v[32:33] neg_lo:[0,1] neg_hi:[0,1]
	v_pk_add_f32 v[36:37], v[32:33], s[22:23]
	v_ldexp_f32 v27, v20, 1
	v_mov_b32_e32 v35, v37
	v_pk_add_f32 v[34:35], v[34:35], s[24:25]
	v_ldexp_f32 v40, v23, 1
	v_sub_f32_e32 v29, v33, v35
	v_mov_b32_e32 v21, v34
	v_pk_mul_f32 v[32:33], v[20:21], v[28:29]
	v_pk_add_f32 v[34:35], v[34:35], v[28:29] op_sel_hi:[0,1]
	v_fma_f32 v36, v28, v20, -v32
	v_fmac_f32_e32 v36, v28, v23
	v_mov_b32_e32 v33, v35
	v_fmac_f32_e32 v36, v25, v20
	v_pk_add_f32 v[20:21], v[32:33], v[36:37]
	v_add_f32_e32 v30, v31, v39
	v_sub_f32_e32 v23, v37, v21
	v_pk_mul_f32 v[28:29], v[20:21], v[20:21] op_sel:[0,1] op_sel_hi:[1,0]
	v_sub_f32_e32 v4, v20, v32
	v_add_f32_e32 v23, v35, v23
	v_fma_f32 v32, v20, v21, -v28
	v_sub_f32_e32 v4, v36, v4
	v_fmac_f32_e32 v32, v20, v23
	v_fmac_f32_e32 v32, v4, v21
	v_add_f32_e32 v25, v28, v32
	v_pk_add_f32 v[20:21], v[24:25], v[26:27]
	v_mov_b32_e32 v29, v27
	v_mov_b32_e32 v34, v25
	;; [unrolled: 1-line block ×4, first 2 shown]
	v_pk_add_f32 v[28:29], v[34:35], v[28:29] neg_lo:[0,1] neg_hi:[0,1]
	v_mov_b32_e32 v27, v20
	v_pk_add_f32 v[28:29], v[32:33], v[28:29] neg_lo:[0,1] neg_hi:[0,1]
	v_mov_b32_e32 v37, v20
	v_add_f32_e32 v4, v40, v28
	v_add_f32_e32 v25, v4, v29
	v_pk_add_f32 v[28:29], v[20:21], v[24:25] neg_lo:[0,1] neg_hi:[0,1]
	v_pk_add_f32 v[32:33], v[20:21], v[24:25]
	v_mov_b32_e32 v36, v25
	v_mov_b32_e32 v29, v33
	v_pk_add_f32 v[34:35], v[26:27], v[28:29] neg_lo:[0,1] neg_hi:[0,1]
	v_pk_add_f32 v[26:27], v[26:27], v[28:29]
	v_mov_b32_e32 v24, v33
	v_pk_add_f32 v[28:29], v[26:27], v[20:21] op_sel:[1,0] op_sel_hi:[0,1] neg_lo:[0,1] neg_hi:[0,1]
	v_mov_b32_e32 v25, v27
	v_pk_mov_b32 v[20:21], v[20:21], v[28:29] op_sel:[1,0]
	v_pk_add_f32 v[32:33], v[32:33], v[28:29] op_sel_hi:[1,0] neg_lo:[0,1] neg_hi:[0,1]
	v_pk_add_f32 v[20:21], v[24:25], v[20:21] neg_lo:[0,1] neg_hi:[0,1]
	v_mov_b32_e32 v32, v34
	v_pk_add_f32 v[20:21], v[36:37], v[20:21] neg_lo:[0,1] neg_hi:[0,1]
	v_mov_b32_e32 v35, v27
	v_pk_add_f32 v[24:25], v[32:33], v[20:21]
	v_cmp_lt_f32_e64 s[10:11], |v19|, 1.0
	v_pk_add_f32 v[28:29], v[24:25], v[24:25] op_sel:[0,1] op_sel_hi:[1,0]
	s_nop 0
	v_pk_add_f32 v[26:27], v[26:27], v[28:29] op_sel:[1,0] op_sel_hi:[0,1]
	v_mov_b32_e32 v25, v26
	v_mov_b32_e32 v21, v28
	v_pk_add_f32 v[28:29], v[24:25], v[34:35] neg_lo:[0,1] neg_hi:[0,1]
	s_nop 0
	v_sub_f32_e32 v4, v24, v28
	v_pk_add_f32 v[20:21], v[20:21], v[28:29] neg_lo:[0,1] neg_hi:[0,1]
	v_sub_f32_e32 v4, v34, v4
	v_add_f32_e32 v4, v20, v4
	v_add_f32_e32 v4, v4, v21
	;; [unrolled: 1-line block ×3, first 2 shown]
	v_sub_f32_e32 v21, v20, v26
	v_mul_f32_e32 v23, v9, v20
	v_sub_f32_e32 v4, v4, v21
	v_fma_f32 v20, v9, v20, -v23
	v_fmac_f32_e32 v20, v9, v4
	v_add_f32_e32 v4, v23, v20
	v_cmp_class_f32_e64 s[0:1], v23, s27
	v_sub_f32_e32 v21, v4, v23
	v_sub_f32_e32 v35, v20, v21
	v_cndmask_b32_e64 v34, v4, v23, s[0:1]
	v_fmamk_f32 v4, v30, 0x3e76c4e1, v12
	v_fmaak_f32 v20, v30, v4, 0x3ecccdef
	v_sub_f32_e32 v4, v30, v31
	v_mul_f32_e32 v23, v30, v20
	v_sub_f32_e32 v28, v39, v4
	v_fma_f32 v4, v30, v20, -v23
	v_fmac_f32_e32 v4, v28, v20
	v_add_f32_e32 v21, v23, v4
	v_sub_f32_e32 v20, v21, v23
	v_pk_add_f32 v[24:25], v[4:5], v[20:21] neg_lo:[0,1] neg_hi:[0,1]
	v_pk_add_f32 v[26:27], v[20:21], s[22:23]
	s_nop 0
	v_mov_b32_e32 v25, v27
	v_pk_add_f32 v[24:25], v[24:25], s[24:25]
	s_nop 0
	v_sub_f32_e32 v31, v21, v25
	v_mov_b32_e32 v23, v24
	v_pk_mul_f32 v[20:21], v[22:23], v[30:31]
	v_pk_add_f32 v[24:25], v[24:25], v[30:31] op_sel_hi:[0,1]
	v_fma_f32 v26, v30, v22, -v20
	v_fmac_f32_e32 v26, v30, v38
	v_mov_b32_e32 v21, v25
	v_fmac_f32_e32 v26, v28, v22
	v_pk_add_f32 v[28:29], v[20:21], v[26:27]
	s_nop 0
	v_sub_f32_e32 v4, v28, v20
	v_sub_f32_e32 v20, v27, v29
	v_add_f32_e32 v23, v25, v20
	v_pk_mul_f32 v[20:21], v[28:29], v[28:29] op_sel:[0,1] op_sel_hi:[1,0]
	v_cvt_f64_f32_e64 v[24:25], |v18|
	v_frexp_exp_i32_f64_e32 v21, v[24:25]
	v_subbrev_co_u32_e32 v21, vcc, 0, v21, vcc
	v_cvt_f32_i32_e32 v21, v21
	v_fma_f32 v24, v28, v29, -v20
	v_sub_f32_e32 v4, v26, v4
	v_fmac_f32_e32 v24, v28, v23
	v_mul_f32_e32 v26, 0x3f317218, v21
	v_fmac_f32_e32 v24, v4, v29
	v_fma_f32 v28, v21, s26, -v26
	v_fmac_f32_e32 v28, 0xb102e308, v21
	v_ldexp_f32 v29, v22, 1
	v_add_f32_e32 v27, v20, v24
	v_pk_add_f32 v[22:23], v[26:27], v[28:29]
	v_mov_b32_e32 v30, v27
	v_mov_b32_e32 v31, v23
	;; [unrolled: 1-line block ×3, first 2 shown]
	v_pk_add_f32 v[20:21], v[30:31], v[20:21] neg_lo:[0,1] neg_hi:[0,1]
	v_mov_b32_e32 v25, v27
	v_ldexp_f32 v4, v38, 1
	v_pk_add_f32 v[20:21], v[24:25], v[20:21] neg_lo:[0,1] neg_hi:[0,1]
	v_mov_b32_e32 v29, v22
	v_add_f32_e32 v4, v4, v20
	v_add_f32_e32 v27, v4, v21
	v_pk_add_f32 v[20:21], v[22:23], v[26:27] neg_lo:[0,1] neg_hi:[0,1]
	v_pk_add_f32 v[24:25], v[22:23], v[26:27]
	v_mov_b32_e32 v26, v27
	v_mov_b32_e32 v21, v25
	v_pk_add_f32 v[30:31], v[28:29], v[20:21] neg_lo:[0,1] neg_hi:[0,1]
	v_pk_add_f32 v[20:21], v[28:29], v[20:21]
	v_mov_b32_e32 v27, v22
	v_pk_add_f32 v[28:29], v[20:21], v[22:23] op_sel:[1,0] op_sel_hi:[0,1] neg_lo:[0,1] neg_hi:[0,1]
	v_pk_add_f32 v[32:33], v[24:25], v[28:29] op_sel_hi:[1,0] neg_lo:[0,1] neg_hi:[0,1]
	v_mov_b32_e32 v24, v25
	v_mov_b32_e32 v25, v21
	v_pk_mov_b32 v[28:29], v[22:23], v[28:29] op_sel:[1,0]
	v_mov_b32_e32 v32, v30
	v_pk_add_f32 v[24:25], v[24:25], v[28:29] neg_lo:[0,1] neg_hi:[0,1]
	v_mov_b32_e32 v31, v21
	v_pk_add_f32 v[22:23], v[26:27], v[24:25] neg_lo:[0,1] neg_hi:[0,1]
	v_cmp_eq_f32_e32 vcc, s28, v34
	v_pk_add_f32 v[24:25], v[32:33], v[22:23]
	s_nop 0
	v_pk_add_f32 v[26:27], v[24:25], v[24:25] op_sel:[0,1] op_sel_hi:[1,0]
	s_nop 0
	v_pk_add_f32 v[20:21], v[20:21], v[26:27] op_sel:[1,0] op_sel_hi:[0,1]
	v_mov_b32_e32 v25, v20
	v_pk_add_f32 v[28:29], v[24:25], v[30:31] neg_lo:[0,1] neg_hi:[0,1]
	v_mov_b32_e32 v23, v26
	v_sub_f32_e32 v4, v24, v28
	v_pk_add_f32 v[22:23], v[22:23], v[28:29] neg_lo:[0,1] neg_hi:[0,1]
	v_sub_f32_e32 v4, v30, v4
	v_add_f32_e32 v4, v22, v4
	v_add_f32_e32 v4, v4, v23
	;; [unrolled: 1-line block ×3, first 2 shown]
	v_sub_f32_e32 v20, v21, v20
	v_sub_f32_e32 v4, v4, v20
	v_mul_f32_e32 v20, v8, v21
	v_fma_f32 v21, v8, v21, -v20
	v_fmac_f32_e32 v21, v8, v4
	v_add_f32_e32 v4, v20, v21
	v_sub_f32_e32 v22, v4, v20
	v_sub_f32_e32 v22, v21, v22
	v_cndmask_b32_e32 v21, 0, v13, vcc
	v_sub_f32_e32 v23, v34, v21
	v_mul_f32_e32 v24, 0x3fb8aa3b, v23
	v_fma_f32 v25, v23, s29, -v24
	v_rndne_f32_e32 v26, v24
	v_fmac_f32_e32 v25, 0x32a5705f, v23
	v_sub_f32_e32 v24, v24, v26
	v_add_f32_e32 v24, v24, v25
	v_exp_f32_e32 v24, v24
	v_cvt_i32_f32_e32 v25, v26
	v_cmp_class_f32_e64 vcc, v20, s27
	v_trunc_f32_e32 v28, v9
	s_nop 0
	v_cndmask_b32_e32 v4, v4, v20, vcc
	v_cmp_class_f32_e64 s[0:1], v4, s27
	v_cmp_ngt_f32_e32 vcc, s30, v23
	s_nop 0
	v_cndmask_b32_e64 v20, v22, 0, s[0:1]
	v_ldexp_f32 v22, v24, v25
	v_cndmask_b32_e32 v22, 0, v22, vcc
	v_cmp_nlt_f32_e32 vcc, s28, v23
	v_cmp_class_f32_e64 s[0:1], v34, s27
	v_pk_mul_f32 v[24:25], v[8:9], 0.5 op_sel_hi:[1,0]
	v_cndmask_b32_e32 v23, v14, v22, vcc
	v_cmp_eq_f32_e32 vcc, s28, v4
	v_trunc_f32_e32 v29, v25
	v_cmp_neq_f32_e64 s[4:5], v29, v25
	v_cndmask_b32_e32 v26, 0, v13, vcc
	v_sub_f32_e32 v4, v4, v26
	v_mul_f32_e32 v22, 0x3fb8aa3b, v4
	v_fma_f32 v27, v4, s29, -v22
	v_rndne_f32_e32 v30, v22
	v_fmac_f32_e32 v27, 0x32a5705f, v4
	v_sub_f32_e32 v22, v22, v30
	v_add_f32_e32 v22, v22, v27
	v_exp_f32_e32 v22, v22
	v_cvt_i32_f32_e32 v30, v30
	v_cmp_ngt_f32_e32 vcc, s30, v4
	v_cndmask_b32_e64 v27, v35, 0, s[0:1]
	v_pk_add_f32 v[20:21], v[20:21], v[26:27]
	v_ldexp_f32 v22, v22, v30
	v_cndmask_b32_e32 v22, 0, v22, vcc
	v_cmp_nlt_f32_e32 vcc, s28, v4
	v_cmp_eq_f32_e64 s[0:1], v28, v9
	s_and_b64 s[4:5], s[0:1], s[4:5]
	v_cndmask_b32_e32 v22, v14, v22, vcc
	v_pk_fma_f32 v[20:21], v[22:23], v[20:21], v[22:23]
	v_cmp_class_f32_e32 vcc, v22, v15
	s_nop 1
	v_cndmask_b32_e32 v4, v20, v22, vcc
	v_cmp_class_f32_e32 vcc, v23, v15
	v_cndmask_b32_e64 v22, 1.0, v19, s[4:5]
	s_nop 0
	v_cndmask_b32_e32 v20, v21, v23, vcc
	v_trunc_f32_e32 v21, v8
	v_cmp_eq_f32_e32 vcc, v21, v8
	v_trunc_f32_e32 v21, v24
	v_cmp_neq_f32_e64 s[2:3], v21, v24
	s_and_b64 s[2:3], vcc, s[2:3]
	v_bfi_b32 v20, s31, v20, v22
	v_cndmask_b32_e64 v21, 1.0, v18, s[2:3]
	v_bfi_b32 v4, s31, v4, v21
	v_cndmask_b32_e32 v21, v16, v4, vcc
	v_cndmask_b32_e64 v22, v16, v20, s[0:1]
	v_cmp_gt_f32_e32 vcc, 0, v19
	v_cmp_neq_f32_e64 s[0:1], v8, |v8|
	s_xor_b64 s[0:1], s[0:1], s[8:9]
	v_cndmask_b32_e32 v20, v20, v22, vcc
	v_cmp_gt_f32_e32 vcc, 0, v18
	v_cmp_eq_f32_e64 s[8:9], 0, v18
	v_cndmask_b32_e64 v23, 0, v19, s[4:5]
	v_cndmask_b32_e32 v4, v4, v21, vcc
	v_cndmask_b32_e64 v21, v14, 0, s[0:1]
	s_xor_b64 s[0:1], s[6:7], s[10:11]
	v_cndmask_b32_e64 v22, v14, 0, s[0:1]
	v_cmp_neq_f32_e64 vcc, |v19|, 1.0
	v_cmp_eq_f32_e64 s[6:7], 0, v19
	v_cmp_gt_f32_e64 s[10:11], 0, v9
	v_cndmask_b32_e32 v22, 1.0, v22, vcc
	v_cmp_neq_f32_e64 vcc, |v18|, 1.0
	s_xor_b64 s[10:11], s[10:11], s[6:7]
	v_cmp_class_f32_e64 s[0:1], v18, v15
	v_cndmask_b32_e32 v21, 1.0, v21, vcc
	v_cmp_class_f32_e32 vcc, v8, v15
	v_cndmask_b32_e64 v24, 0, v18, s[2:3]
	s_nop 0
	v_cndmask_b32_e32 v4, v4, v21, vcc
	v_cmp_class_f32_e32 vcc, v9, v15
	v_cndmask_b32_e64 v21, v14, 0, s[10:11]
	s_xor_b64 s[10:11], s[12:13], s[8:9]
	v_cndmask_b32_e32 v20, v20, v22, vcc
	v_cmp_class_f32_e32 vcc, v19, v15
	v_cndmask_b32_e64 v22, v14, 0, s[10:11]
	v_bfi_b32 v21, s31, v21, v23
	s_or_b64 vcc, s[6:7], vcc
	v_bfi_b32 v22, s31, v22, v24
	v_cndmask_b32_e32 v20, v20, v21, vcc
	s_or_b64 vcc, s[8:9], s[0:1]
	v_cndmask_b32_e32 v4, v4, v22, vcc
	v_cmp_o_f32_e32 vcc, v18, v8
	v_and_b32_e32 v8, 0xffff0000, v7
	s_nop 0
	v_cndmask_b32_e32 v30, v16, v4, vcc
	v_cmp_o_f32_e32 vcc, v19, v9
	s_nop 1
	v_cndmask_b32_e32 v31, v16, v20, vcc
	v_bfe_u32 v4, v31, 16, 1
	v_add3_u32 v4, v31, v4, s33
	v_lshrrev_b32_e32 v32, 16, v4
	v_bfe_u32 v4, v30, 16, 1
	v_add3_u32 v4, v30, v4, s33
	v_and_b32_e32 v33, 0xffff0000, v4
	v_alignbit_b32 v4, v7, v6, 16
	v_and_b32_e32 v4, 0xffff0000, v4
	v_cmp_neq_f32_e32 vcc, 1.0, v4
	s_nop 1
	v_cndmask_b32_e32 v7, 1.0, v10, vcc
	v_cmp_neq_f32_e32 vcc, 1.0, v8
	v_cmp_neq_f32_e64 s[6:7], v7, |v7|
	s_nop 0
	v_cndmask_b32_e32 v6, 1.0, v11, vcc
	v_cmp_neq_f32_e32 vcc, 0, v6
	v_cmp_gt_f32_e64 s[12:13], 0, v6
	s_nop 0
	v_cndmask_b32_e32 v34, 1.0, v8, vcc
	v_cmp_neq_f32_e32 vcc, 0, v7
	v_cmp_lt_f32_e64 s[8:9], |v34|, 1.0
	s_nop 0
	v_cndmask_b32_e32 v35, 1.0, v4, vcc
	v_frexp_mant_f32_e64 v4, |v35|
	v_cmp_gt_f32_e32 vcc, s22, v4
	v_cmp_lt_f32_e64 s[10:11], |v35|, 1.0
	s_nop 0
	v_cndmask_b32_e64 v8, 1.0, 2.0, vcc
	v_mul_f32_e32 v4, v4, v8
	v_add_f32_e32 v8, 1.0, v4
	v_rcp_f32_e32 v24, v8
	v_add_f32_e32 v9, -1.0, v8
	v_sub_f32_e32 v19, v4, v9
	v_add_f32_e32 v9, -1.0, v4
	v_mul_f32_e32 v4, v9, v24
	v_mul_f32_e32 v18, v8, v4
	v_fma_f32 v20, v4, v8, -v18
	v_fmac_f32_e32 v20, v4, v19
	v_add_f32_e32 v8, v18, v20
	v_sub_f32_e32 v19, v9, v8
	v_pk_add_f32 v[22:23], v[8:9], v[18:19] neg_lo:[0,1] neg_hi:[0,1]
	v_mov_b32_e32 v21, v8
	v_pk_add_f32 v[8:9], v[22:23], v[20:21] neg_lo:[0,1] neg_hi:[0,1]
	s_nop 0
	v_add_f32_e32 v8, v8, v9
	v_add_f32_e32 v8, v19, v8
	v_mul_f32_e32 v9, v24, v8
	v_add_f32_e32 v8, v4, v9
	v_sub_f32_e32 v4, v8, v4
	v_sub_f32_e32 v26, v9, v4
	v_mul_f32_e32 v4, v8, v8
	v_fma_f32 v9, v8, v8, -v4
	v_add_f32_e32 v18, v26, v26
	v_fmac_f32_e32 v9, v8, v18
	v_add_f32_e32 v18, v4, v9
	v_fmamk_f32 v19, v18, 0x3e76c4e1, v12
	v_fmaak_f32 v19, v18, v19, 0x3ecccdef
	v_sub_f32_e32 v4, v18, v4
	v_sub_f32_e32 v27, v9, v4
	v_mul_f32_e32 v9, v18, v19
	v_fma_f32 v4, v18, v19, -v9
	v_fmac_f32_e32 v4, v27, v19
	v_add_f32_e32 v21, v9, v4
	v_sub_f32_e32 v20, v21, v9
	v_pk_add_f32 v[22:23], v[4:5], v[20:21] neg_lo:[0,1] neg_hi:[0,1]
	v_pk_add_f32 v[24:25], v[20:21], s[22:23]
	s_nop 0
	v_mov_b32_e32 v23, v25
	v_pk_add_f32 v[22:23], v[22:23], s[24:25]
	s_nop 0
	v_sub_f32_e32 v19, v21, v23
	v_mov_b32_e32 v9, v22
	v_pk_mul_f32 v[20:21], v[8:9], v[18:19]
	v_pk_add_f32 v[22:23], v[22:23], v[18:19] op_sel_hi:[0,1]
	v_fma_f32 v24, v18, v8, -v20
	v_fmac_f32_e32 v24, v18, v26
	v_mov_b32_e32 v21, v23
	v_fmac_f32_e32 v24, v27, v8
	v_pk_add_f32 v[18:19], v[20:21], v[24:25]
	s_nop 0
	v_sub_f32_e32 v9, v25, v19
	v_sub_f32_e32 v4, v18, v20
	v_add_f32_e32 v9, v23, v9
	v_pk_mul_f32 v[20:21], v[18:19], v[18:19] op_sel:[0,1] op_sel_hi:[1,0]
	v_cvt_f64_f32_e64 v[22:23], |v35|
	v_frexp_exp_i32_f64_e32 v21, v[22:23]
	v_subbrev_co_u32_e32 v21, vcc, 0, v21, vcc
	v_cvt_f32_i32_e32 v21, v21
	v_fma_f32 v22, v18, v19, -v20
	v_sub_f32_e32 v4, v24, v4
	v_fmac_f32_e32 v22, v18, v9
	v_mul_f32_e32 v18, 0x3f317218, v21
	v_fmac_f32_e32 v22, v4, v19
	v_fma_f32 v24, v21, s26, -v18
	v_fmac_f32_e32 v24, 0xb102e308, v21
	v_ldexp_f32 v25, v8, 1
	v_add_f32_e32 v19, v20, v22
	v_pk_add_f32 v[8:9], v[18:19], v[24:25]
	v_ldexp_f32 v4, v26, 1
	v_mov_b32_e32 v26, v19
	v_mov_b32_e32 v27, v9
	;; [unrolled: 1-line block ×3, first 2 shown]
	v_pk_add_f32 v[20:21], v[26:27], v[20:21] neg_lo:[0,1] neg_hi:[0,1]
	v_mov_b32_e32 v23, v19
	v_pk_add_f32 v[20:21], v[22:23], v[20:21] neg_lo:[0,1] neg_hi:[0,1]
	v_mov_b32_e32 v25, v8
	v_add_f32_e32 v4, v4, v20
	v_add_f32_e32 v19, v4, v21
	v_pk_add_f32 v[20:21], v[8:9], v[18:19] neg_lo:[0,1] neg_hi:[0,1]
	v_pk_add_f32 v[22:23], v[8:9], v[18:19]
	v_mov_b32_e32 v18, v19
	v_mov_b32_e32 v21, v23
	v_pk_add_f32 v[26:27], v[24:25], v[20:21] neg_lo:[0,1] neg_hi:[0,1]
	v_pk_add_f32 v[20:21], v[24:25], v[20:21]
	v_mov_b32_e32 v19, v8
	v_pk_add_f32 v[24:25], v[20:21], v[8:9] op_sel:[1,0] op_sel_hi:[0,1] neg_lo:[0,1] neg_hi:[0,1]
	v_pk_add_f32 v[28:29], v[22:23], v[24:25] op_sel_hi:[1,0] neg_lo:[0,1] neg_hi:[0,1]
	v_mov_b32_e32 v22, v23
	v_mov_b32_e32 v23, v21
	v_pk_mov_b32 v[24:25], v[8:9], v[24:25] op_sel:[1,0]
	v_mov_b32_e32 v28, v26
	v_pk_add_f32 v[22:23], v[22:23], v[24:25] neg_lo:[0,1] neg_hi:[0,1]
	v_mov_b32_e32 v27, v21
	v_pk_add_f32 v[8:9], v[18:19], v[22:23] neg_lo:[0,1] neg_hi:[0,1]
	s_nop 0
	v_pk_add_f32 v[18:19], v[28:29], v[8:9]
	s_nop 0
	v_pk_add_f32 v[22:23], v[18:19], v[18:19] op_sel:[0,1] op_sel_hi:[1,0]
	s_nop 0
	v_pk_add_f32 v[20:21], v[20:21], v[22:23] op_sel:[1,0] op_sel_hi:[0,1]
	v_mov_b32_e32 v19, v20
	v_pk_add_f32 v[24:25], v[18:19], v[26:27] neg_lo:[0,1] neg_hi:[0,1]
	v_mov_b32_e32 v9, v22
	v_sub_f32_e32 v4, v18, v24
	v_pk_add_f32 v[8:9], v[8:9], v[24:25] neg_lo:[0,1] neg_hi:[0,1]
	v_sub_f32_e32 v4, v26, v4
	v_add_f32_e32 v4, v8, v4
	v_add_f32_e32 v4, v4, v9
	;; [unrolled: 1-line block ×3, first 2 shown]
	v_sub_f32_e32 v9, v8, v20
	v_sub_f32_e32 v4, v4, v9
	v_mul_f32_e32 v9, v7, v8
	v_fma_f32 v8, v7, v8, -v9
	v_fmac_f32_e32 v8, v7, v4
	v_add_f32_e32 v4, v9, v8
	v_cmp_class_f32_e64 vcc, v9, s27
	v_sub_f32_e32 v18, v4, v9
	v_sub_f32_e32 v36, v8, v18
	v_cndmask_b32_e32 v37, v4, v9, vcc
	v_frexp_mant_f32_e64 v4, |v34|
	v_cmp_gt_f32_e32 vcc, s22, v4
	s_nop 1
	v_cndmask_b32_e64 v8, 1.0, 2.0, vcc
	v_mul_f32_e32 v4, v4, v8
	v_add_f32_e32 v8, 1.0, v4
	v_rcp_f32_e32 v24, v8
	v_add_f32_e32 v9, -1.0, v8
	v_sub_f32_e32 v19, v4, v9
	v_add_f32_e32 v9, -1.0, v4
	v_mul_f32_e32 v4, v9, v24
	v_mul_f32_e32 v18, v8, v4
	v_fma_f32 v20, v4, v8, -v18
	v_fmac_f32_e32 v20, v4, v19
	v_add_f32_e32 v8, v18, v20
	v_sub_f32_e32 v19, v9, v8
	v_pk_add_f32 v[22:23], v[8:9], v[18:19] neg_lo:[0,1] neg_hi:[0,1]
	v_mov_b32_e32 v21, v8
	v_pk_add_f32 v[8:9], v[22:23], v[20:21] neg_lo:[0,1] neg_hi:[0,1]
	s_nop 0
	v_add_f32_e32 v8, v8, v9
	v_add_f32_e32 v8, v19, v8
	v_mul_f32_e32 v9, v24, v8
	v_add_f32_e32 v8, v4, v9
	v_sub_f32_e32 v4, v8, v4
	v_sub_f32_e32 v26, v9, v4
	v_mul_f32_e32 v4, v8, v8
	v_fma_f32 v9, v8, v8, -v4
	v_add_f32_e32 v18, v26, v26
	v_fmac_f32_e32 v9, v8, v18
	v_add_f32_e32 v18, v4, v9
	v_fmamk_f32 v19, v18, 0x3e76c4e1, v12
	v_fmaak_f32 v19, v18, v19, 0x3ecccdef
	v_sub_f32_e32 v4, v18, v4
	v_sub_f32_e32 v27, v9, v4
	v_mul_f32_e32 v9, v18, v19
	v_fma_f32 v4, v18, v19, -v9
	v_fmac_f32_e32 v4, v27, v19
	v_add_f32_e32 v21, v9, v4
	v_sub_f32_e32 v20, v21, v9
	v_pk_add_f32 v[22:23], v[4:5], v[20:21] neg_lo:[0,1] neg_hi:[0,1]
	v_pk_add_f32 v[24:25], v[20:21], s[22:23]
	s_nop 0
	v_mov_b32_e32 v23, v25
	v_pk_add_f32 v[22:23], v[22:23], s[24:25]
	s_nop 0
	v_sub_f32_e32 v19, v21, v23
	v_mov_b32_e32 v9, v22
	v_pk_mul_f32 v[20:21], v[8:9], v[18:19]
	v_pk_add_f32 v[22:23], v[22:23], v[18:19] op_sel_hi:[0,1]
	v_fma_f32 v24, v18, v8, -v20
	v_fmac_f32_e32 v24, v18, v26
	v_mov_b32_e32 v21, v23
	v_fmac_f32_e32 v24, v27, v8
	v_pk_add_f32 v[18:19], v[20:21], v[24:25]
	s_nop 0
	v_sub_f32_e32 v9, v25, v19
	v_sub_f32_e32 v4, v18, v20
	v_add_f32_e32 v9, v23, v9
	v_pk_mul_f32 v[20:21], v[18:19], v[18:19] op_sel:[0,1] op_sel_hi:[1,0]
	v_cvt_f64_f32_e64 v[22:23], |v34|
	v_frexp_exp_i32_f64_e32 v21, v[22:23]
	v_subbrev_co_u32_e32 v21, vcc, 0, v21, vcc
	v_cvt_f32_i32_e32 v21, v21
	v_fma_f32 v22, v18, v19, -v20
	v_sub_f32_e32 v4, v24, v4
	v_fmac_f32_e32 v22, v18, v9
	v_mul_f32_e32 v18, 0x3f317218, v21
	v_fmac_f32_e32 v22, v4, v19
	v_fma_f32 v24, v21, s26, -v18
	v_fmac_f32_e32 v24, 0xb102e308, v21
	v_ldexp_f32 v25, v8, 1
	v_add_f32_e32 v19, v20, v22
	v_pk_add_f32 v[8:9], v[18:19], v[24:25]
	v_ldexp_f32 v4, v26, 1
	v_mov_b32_e32 v26, v19
	v_mov_b32_e32 v27, v9
	;; [unrolled: 1-line block ×3, first 2 shown]
	v_pk_add_f32 v[20:21], v[26:27], v[20:21] neg_lo:[0,1] neg_hi:[0,1]
	v_mov_b32_e32 v23, v19
	v_pk_add_f32 v[20:21], v[22:23], v[20:21] neg_lo:[0,1] neg_hi:[0,1]
	v_mov_b32_e32 v25, v8
	v_add_f32_e32 v4, v4, v20
	v_add_f32_e32 v19, v4, v21
	v_pk_add_f32 v[20:21], v[8:9], v[18:19] neg_lo:[0,1] neg_hi:[0,1]
	v_pk_add_f32 v[22:23], v[8:9], v[18:19]
	v_mov_b32_e32 v18, v19
	v_mov_b32_e32 v21, v23
	v_pk_add_f32 v[26:27], v[24:25], v[20:21] neg_lo:[0,1] neg_hi:[0,1]
	v_pk_add_f32 v[20:21], v[24:25], v[20:21]
	v_mov_b32_e32 v19, v8
	v_pk_add_f32 v[24:25], v[20:21], v[8:9] op_sel:[1,0] op_sel_hi:[0,1] neg_lo:[0,1] neg_hi:[0,1]
	v_pk_add_f32 v[28:29], v[22:23], v[24:25] op_sel_hi:[1,0] neg_lo:[0,1] neg_hi:[0,1]
	v_mov_b32_e32 v22, v23
	v_mov_b32_e32 v23, v21
	v_pk_mov_b32 v[24:25], v[8:9], v[24:25] op_sel:[1,0]
	v_mov_b32_e32 v28, v26
	v_pk_add_f32 v[22:23], v[22:23], v[24:25] neg_lo:[0,1] neg_hi:[0,1]
	v_mov_b32_e32 v27, v21
	v_pk_add_f32 v[8:9], v[18:19], v[22:23] neg_lo:[0,1] neg_hi:[0,1]
	v_cmp_eq_f32_e32 vcc, s28, v37
	v_pk_add_f32 v[18:19], v[28:29], v[8:9]
	s_nop 0
	v_pk_add_f32 v[22:23], v[18:19], v[18:19] op_sel:[0,1] op_sel_hi:[1,0]
	s_nop 0
	v_pk_add_f32 v[20:21], v[20:21], v[22:23] op_sel:[1,0] op_sel_hi:[0,1]
	v_mov_b32_e32 v19, v20
	v_pk_add_f32 v[24:25], v[18:19], v[26:27] neg_lo:[0,1] neg_hi:[0,1]
	v_mov_b32_e32 v9, v22
	v_sub_f32_e32 v4, v18, v24
	v_pk_add_f32 v[8:9], v[8:9], v[24:25] neg_lo:[0,1] neg_hi:[0,1]
	v_sub_f32_e32 v4, v26, v4
	v_add_f32_e32 v4, v8, v4
	v_add_f32_e32 v4, v4, v9
	v_add_f32_e32 v8, v20, v4
	v_sub_f32_e32 v9, v8, v20
	v_mul_f32_e32 v18, v6, v8
	v_sub_f32_e32 v4, v4, v9
	v_fma_f32 v8, v6, v8, -v18
	v_fmac_f32_e32 v8, v6, v4
	v_add_f32_e32 v4, v18, v8
	v_sub_f32_e32 v9, v4, v18
	v_sub_f32_e32 v8, v8, v9
	v_cndmask_b32_e32 v9, 0, v13, vcc
	v_sub_f32_e32 v19, v37, v9
	v_mul_f32_e32 v20, 0x3fb8aa3b, v19
	v_fma_f32 v21, v19, s29, -v20
	v_rndne_f32_e32 v22, v20
	v_fmac_f32_e32 v21, 0x32a5705f, v19
	v_sub_f32_e32 v20, v20, v22
	v_add_f32_e32 v20, v20, v21
	v_exp_f32_e32 v20, v20
	v_cvt_i32_f32_e32 v21, v22
	v_cmp_class_f32_e64 vcc, v18, s27
	v_trunc_f32_e32 v24, v7
	s_nop 0
	v_cndmask_b32_e32 v4, v4, v18, vcc
	v_ldexp_f32 v18, v20, v21
	v_cmp_ngt_f32_e32 vcc, s30, v19
	v_cmp_class_f32_e64 s[0:1], v4, s27
	v_pk_mul_f32 v[20:21], v[6:7], 0.5 op_sel_hi:[1,0]
	v_cndmask_b32_e32 v18, 0, v18, vcc
	v_cmp_nlt_f32_e32 vcc, s28, v19
	v_cndmask_b32_e64 v8, v8, 0, s[0:1]
	v_cmp_class_f32_e64 s[0:1], v37, s27
	v_cndmask_b32_e32 v19, v14, v18, vcc
	v_cmp_eq_f32_e32 vcc, s28, v4
	v_trunc_f32_e32 v25, v21
	v_cmp_neq_f32_e64 s[4:5], v25, v21
	v_cndmask_b32_e32 v22, 0, v13, vcc
	v_sub_f32_e32 v4, v4, v22
	v_mul_f32_e32 v18, 0x3fb8aa3b, v4
	v_fma_f32 v23, v4, s29, -v18
	v_rndne_f32_e32 v26, v18
	v_fmac_f32_e32 v23, 0x32a5705f, v4
	v_sub_f32_e32 v18, v18, v26
	v_add_f32_e32 v18, v18, v23
	v_exp_f32_e32 v18, v18
	v_cvt_i32_f32_e32 v26, v26
	v_cmp_ngt_f32_e32 vcc, s30, v4
	v_cndmask_b32_e64 v23, v36, 0, s[0:1]
	v_pk_add_f32 v[8:9], v[8:9], v[22:23]
	v_ldexp_f32 v18, v18, v26
	v_cndmask_b32_e32 v18, 0, v18, vcc
	v_cmp_nlt_f32_e32 vcc, s28, v4
	v_cmp_eq_f32_e64 s[0:1], v24, v7
	s_and_b64 s[4:5], s[0:1], s[4:5]
	v_cndmask_b32_e32 v18, v14, v18, vcc
	v_pk_fma_f32 v[8:9], v[18:19], v[8:9], v[18:19]
	v_cmp_class_f32_e32 vcc, v18, v15
	s_nop 1
	v_cndmask_b32_e32 v4, v8, v18, vcc
	v_cmp_class_f32_e32 vcc, v19, v15
	v_cndmask_b32_e64 v18, 1.0, v35, s[4:5]
	s_nop 0
	v_cndmask_b32_e32 v8, v9, v19, vcc
	v_trunc_f32_e32 v9, v6
	v_cmp_eq_f32_e32 vcc, v9, v6
	v_trunc_f32_e32 v9, v20
	v_cmp_neq_f32_e64 s[2:3], v9, v20
	s_and_b64 s[2:3], vcc, s[2:3]
	v_bfi_b32 v8, s31, v8, v18
	v_cndmask_b32_e64 v9, 1.0, v34, s[2:3]
	v_bfi_b32 v4, s31, v4, v9
	v_cndmask_b32_e32 v9, v16, v4, vcc
	v_cndmask_b32_e64 v18, v16, v8, s[0:1]
	v_cmp_gt_f32_e32 vcc, 0, v35
	v_cmp_neq_f32_e64 s[0:1], v6, |v6|
	s_xor_b64 s[0:1], s[0:1], s[8:9]
	v_cndmask_b32_e32 v8, v8, v18, vcc
	v_cmp_gt_f32_e32 vcc, 0, v34
	v_cmp_eq_f32_e64 s[8:9], 0, v34
	v_cndmask_b32_e64 v19, 0, v35, s[4:5]
	v_cndmask_b32_e32 v4, v4, v9, vcc
	v_cndmask_b32_e64 v9, v14, 0, s[0:1]
	s_xor_b64 s[0:1], s[6:7], s[10:11]
	v_cndmask_b32_e64 v18, v14, 0, s[0:1]
	v_cmp_neq_f32_e64 vcc, |v35|, 1.0
	v_cmp_eq_f32_e64 s[6:7], 0, v35
	v_cmp_gt_f32_e64 s[10:11], 0, v7
	v_cndmask_b32_e32 v18, 1.0, v18, vcc
	v_cmp_neq_f32_e64 vcc, |v34|, 1.0
	s_xor_b64 s[10:11], s[10:11], s[6:7]
	v_cmp_class_f32_e64 s[0:1], v34, v15
	v_cndmask_b32_e32 v9, 1.0, v9, vcc
	v_cmp_class_f32_e32 vcc, v6, v15
	v_cndmask_b32_e64 v20, 0, v34, s[2:3]
	s_nop 0
	v_cndmask_b32_e32 v4, v4, v9, vcc
	v_cmp_class_f32_e32 vcc, v7, v15
	v_cndmask_b32_e64 v9, v14, 0, s[10:11]
	s_xor_b64 s[10:11], s[12:13], s[8:9]
	v_cndmask_b32_e32 v8, v8, v18, vcc
	v_cmp_class_f32_e32 vcc, v35, v15
	v_cndmask_b32_e64 v18, v14, 0, s[10:11]
	v_bfi_b32 v9, s31, v9, v19
	s_or_b64 vcc, s[6:7], vcc
	v_bfi_b32 v18, s31, v18, v20
	v_cndmask_b32_e32 v8, v8, v9, vcc
	s_or_b64 vcc, s[8:9], s[0:1]
	v_cndmask_b32_e32 v4, v4, v18, vcc
	v_cmp_o_f32_e32 vcc, v34, v6
	s_nop 1
	v_cndmask_b32_e32 v4, v16, v4, vcc
	v_cmp_o_f32_e32 vcc, v35, v7
	s_nop 1
	v_cndmask_b32_e32 v6, v16, v8, vcc
	v_bfe_u32 v8, v4, 16, 1
	v_bfe_u32 v7, v6, 16, 1
	v_add3_u32 v8, v4, v8, s33
	v_add3_u32 v7, v6, v7, s33
	v_and_b32_e32 v8, 0xffff0000, v8
	v_cmp_o_f32_e32 vcc, v4, v4
	v_lshrrev_b32_e32 v7, 16, v7
	s_nop 0
	v_cndmask_b32_e32 v4, v16, v8, vcc
	v_cmp_o_f32_e32 vcc, v6, v6
	s_nop 1
	v_cndmask_b32_e32 v6, v17, v7, vcc
	v_cmp_o_f32_e32 vcc, v30, v30
	;; [unrolled: 3-line block ×3, first 2 shown]
	s_nop 1
	v_cndmask_b32_e32 v8, v17, v32, vcc
	v_or_b32_e32 v8, v8, v7
	v_or3_b32 v7, 0, v6, v4
	v_or3_b32 v6, v8, 0, 0
	global_store_dwordx2 v[2:3], v[6:7], off
	v_lshlrev_b64 v[6:7], 2, v[0:1]
	v_cmp_le_i64_e32 vcc, s[16:17], v[6:7]
	s_or_b64 s[20:21], vcc, s[20:21]
	v_lshl_add_u64 v[2:3], v[2:3], 0, s[18:19]
	s_andn2_b64 exec, exec, s[20:21]
	s_cbranch_execnz .LBB60_24
.LBB60_25:
	s_endpgm
	.section	.rodata,"a",@progbits
	.p2align	6, 0x0
	.amdhsa_kernel _ZN2at6native12_GLOBAL__N_125multi_tensor_apply_kernelINS1_18TensorListMetadataILi1EEENS1_21BinaryOpScalarFunctorIN3c108BFloat16ELi1ELi1ELi0EEEJNS1_13power_functorIfEEfEEEvT_T0_DpT1_
		.amdhsa_group_segment_fixed_size 0
		.amdhsa_private_segment_fixed_size 0
		.amdhsa_kernarg_size 3632
		.amdhsa_user_sgpr_count 2
		.amdhsa_user_sgpr_dispatch_ptr 0
		.amdhsa_user_sgpr_queue_ptr 0
		.amdhsa_user_sgpr_kernarg_segment_ptr 1
		.amdhsa_user_sgpr_dispatch_id 0
		.amdhsa_user_sgpr_kernarg_preload_length 0
		.amdhsa_user_sgpr_kernarg_preload_offset 0
		.amdhsa_user_sgpr_private_segment_size 0
		.amdhsa_uses_dynamic_stack 0
		.amdhsa_enable_private_segment 0
		.amdhsa_system_sgpr_workgroup_id_x 1
		.amdhsa_system_sgpr_workgroup_id_y 0
		.amdhsa_system_sgpr_workgroup_id_z 0
		.amdhsa_system_sgpr_workgroup_info 0
		.amdhsa_system_vgpr_workitem_id 0
		.amdhsa_next_free_vgpr 44
		.amdhsa_next_free_sgpr 55
		.amdhsa_accum_offset 44
		.amdhsa_reserve_vcc 1
		.amdhsa_float_round_mode_32 0
		.amdhsa_float_round_mode_16_64 0
		.amdhsa_float_denorm_mode_32 3
		.amdhsa_float_denorm_mode_16_64 3
		.amdhsa_dx10_clamp 1
		.amdhsa_ieee_mode 1
		.amdhsa_fp16_overflow 0
		.amdhsa_tg_split 0
		.amdhsa_exception_fp_ieee_invalid_op 0
		.amdhsa_exception_fp_denorm_src 0
		.amdhsa_exception_fp_ieee_div_zero 0
		.amdhsa_exception_fp_ieee_overflow 0
		.amdhsa_exception_fp_ieee_underflow 0
		.amdhsa_exception_fp_ieee_inexact 0
		.amdhsa_exception_int_div_zero 0
	.end_amdhsa_kernel
	.section	.text._ZN2at6native12_GLOBAL__N_125multi_tensor_apply_kernelINS1_18TensorListMetadataILi1EEENS1_21BinaryOpScalarFunctorIN3c108BFloat16ELi1ELi1ELi0EEEJNS1_13power_functorIfEEfEEEvT_T0_DpT1_,"axG",@progbits,_ZN2at6native12_GLOBAL__N_125multi_tensor_apply_kernelINS1_18TensorListMetadataILi1EEENS1_21BinaryOpScalarFunctorIN3c108BFloat16ELi1ELi1ELi0EEEJNS1_13power_functorIfEEfEEEvT_T0_DpT1_,comdat
.Lfunc_end60:
	.size	_ZN2at6native12_GLOBAL__N_125multi_tensor_apply_kernelINS1_18TensorListMetadataILi1EEENS1_21BinaryOpScalarFunctorIN3c108BFloat16ELi1ELi1ELi0EEEJNS1_13power_functorIfEEfEEEvT_T0_DpT1_, .Lfunc_end60-_ZN2at6native12_GLOBAL__N_125multi_tensor_apply_kernelINS1_18TensorListMetadataILi1EEENS1_21BinaryOpScalarFunctorIN3c108BFloat16ELi1ELi1ELi0EEEJNS1_13power_functorIfEEfEEEvT_T0_DpT1_
                                        ; -- End function
	.set _ZN2at6native12_GLOBAL__N_125multi_tensor_apply_kernelINS1_18TensorListMetadataILi1EEENS1_21BinaryOpScalarFunctorIN3c108BFloat16ELi1ELi1ELi0EEEJNS1_13power_functorIfEEfEEEvT_T0_DpT1_.num_vgpr, 44
	.set _ZN2at6native12_GLOBAL__N_125multi_tensor_apply_kernelINS1_18TensorListMetadataILi1EEENS1_21BinaryOpScalarFunctorIN3c108BFloat16ELi1ELi1ELi0EEEJNS1_13power_functorIfEEfEEEvT_T0_DpT1_.num_agpr, 0
	.set _ZN2at6native12_GLOBAL__N_125multi_tensor_apply_kernelINS1_18TensorListMetadataILi1EEENS1_21BinaryOpScalarFunctorIN3c108BFloat16ELi1ELi1ELi0EEEJNS1_13power_functorIfEEfEEEvT_T0_DpT1_.numbered_sgpr, 55
	.set _ZN2at6native12_GLOBAL__N_125multi_tensor_apply_kernelINS1_18TensorListMetadataILi1EEENS1_21BinaryOpScalarFunctorIN3c108BFloat16ELi1ELi1ELi0EEEJNS1_13power_functorIfEEfEEEvT_T0_DpT1_.num_named_barrier, 0
	.set _ZN2at6native12_GLOBAL__N_125multi_tensor_apply_kernelINS1_18TensorListMetadataILi1EEENS1_21BinaryOpScalarFunctorIN3c108BFloat16ELi1ELi1ELi0EEEJNS1_13power_functorIfEEfEEEvT_T0_DpT1_.private_seg_size, 0
	.set _ZN2at6native12_GLOBAL__N_125multi_tensor_apply_kernelINS1_18TensorListMetadataILi1EEENS1_21BinaryOpScalarFunctorIN3c108BFloat16ELi1ELi1ELi0EEEJNS1_13power_functorIfEEfEEEvT_T0_DpT1_.uses_vcc, 1
	.set _ZN2at6native12_GLOBAL__N_125multi_tensor_apply_kernelINS1_18TensorListMetadataILi1EEENS1_21BinaryOpScalarFunctorIN3c108BFloat16ELi1ELi1ELi0EEEJNS1_13power_functorIfEEfEEEvT_T0_DpT1_.uses_flat_scratch, 0
	.set _ZN2at6native12_GLOBAL__N_125multi_tensor_apply_kernelINS1_18TensorListMetadataILi1EEENS1_21BinaryOpScalarFunctorIN3c108BFloat16ELi1ELi1ELi0EEEJNS1_13power_functorIfEEfEEEvT_T0_DpT1_.has_dyn_sized_stack, 0
	.set _ZN2at6native12_GLOBAL__N_125multi_tensor_apply_kernelINS1_18TensorListMetadataILi1EEENS1_21BinaryOpScalarFunctorIN3c108BFloat16ELi1ELi1ELi0EEEJNS1_13power_functorIfEEfEEEvT_T0_DpT1_.has_recursion, 0
	.set _ZN2at6native12_GLOBAL__N_125multi_tensor_apply_kernelINS1_18TensorListMetadataILi1EEENS1_21BinaryOpScalarFunctorIN3c108BFloat16ELi1ELi1ELi0EEEJNS1_13power_functorIfEEfEEEvT_T0_DpT1_.has_indirect_call, 0
	.section	.AMDGPU.csdata,"",@progbits
; Kernel info:
; codeLenInByte = 9484
; TotalNumSgprs: 61
; NumVgprs: 44
; NumAgprs: 0
; TotalNumVgprs: 44
; ScratchSize: 0
; MemoryBound: 0
; FloatMode: 240
; IeeeMode: 1
; LDSByteSize: 0 bytes/workgroup (compile time only)
; SGPRBlocks: 7
; VGPRBlocks: 5
; NumSGPRsForWavesPerEU: 61
; NumVGPRsForWavesPerEU: 44
; AccumOffset: 44
; Occupancy: 8
; WaveLimiterHint : 0
; COMPUTE_PGM_RSRC2:SCRATCH_EN: 0
; COMPUTE_PGM_RSRC2:USER_SGPR: 2
; COMPUTE_PGM_RSRC2:TRAP_HANDLER: 0
; COMPUTE_PGM_RSRC2:TGID_X_EN: 1
; COMPUTE_PGM_RSRC2:TGID_Y_EN: 0
; COMPUTE_PGM_RSRC2:TGID_Z_EN: 0
; COMPUTE_PGM_RSRC2:TIDIG_COMP_CNT: 0
; COMPUTE_PGM_RSRC3_GFX90A:ACCUM_OFFSET: 10
; COMPUTE_PGM_RSRC3_GFX90A:TG_SPLIT: 0
	.section	.text._ZN2at6native12_GLOBAL__N_125multi_tensor_apply_kernelINS1_18TensorListMetadataILi2EEENS1_21BinaryOpScalarFunctorIhLi2ELi1ELi1EEEJNS1_13power_functorIhEEhEEEvT_T0_DpT1_,"axG",@progbits,_ZN2at6native12_GLOBAL__N_125multi_tensor_apply_kernelINS1_18TensorListMetadataILi2EEENS1_21BinaryOpScalarFunctorIhLi2ELi1ELi1EEEJNS1_13power_functorIhEEhEEEvT_T0_DpT1_,comdat
	.globl	_ZN2at6native12_GLOBAL__N_125multi_tensor_apply_kernelINS1_18TensorListMetadataILi2EEENS1_21BinaryOpScalarFunctorIhLi2ELi1ELi1EEEJNS1_13power_functorIhEEhEEEvT_T0_DpT1_ ; -- Begin function _ZN2at6native12_GLOBAL__N_125multi_tensor_apply_kernelINS1_18TensorListMetadataILi2EEENS1_21BinaryOpScalarFunctorIhLi2ELi1ELi1EEEJNS1_13power_functorIhEEhEEEvT_T0_DpT1_
	.p2align	8
	.type	_ZN2at6native12_GLOBAL__N_125multi_tensor_apply_kernelINS1_18TensorListMetadataILi2EEENS1_21BinaryOpScalarFunctorIhLi2ELi1ELi1EEEJNS1_13power_functorIhEEhEEEvT_T0_DpT1_,@function
_ZN2at6native12_GLOBAL__N_125multi_tensor_apply_kernelINS1_18TensorListMetadataILi2EEENS1_21BinaryOpScalarFunctorIhLi2ELi1ELi1EEEJNS1_13power_functorIhEEhEEEvT_T0_DpT1_: ; @_ZN2at6native12_GLOBAL__N_125multi_tensor_apply_kernelINS1_18TensorListMetadataILi2EEENS1_21BinaryOpScalarFunctorIhLi2ELi1ELi1EEEJNS1_13power_functorIhEEhEEEvT_T0_DpT1_
; %bb.0:
	v_mov_b32_e32 v1, s2
	global_load_ubyte v1, v1, s[0:1] offset:1536
	s_load_dword s31, s[0:1], 0xc48
	s_mul_hi_u32 s3, s2, 3
	s_mul_i32 s4, s2, 3
	s_waitcnt lgkmcnt(0)
	s_lshr_b32 s30, s31, 16
	s_add_u32 s2, s0, s2
	s_addc_u32 s5, s1, 0
	s_add_u32 s2, s2, s4
	s_addc_u32 s3, s5, s3
	s_load_dword s2, s[2:3], 0x740
	s_waitcnt vmcnt(0)
	v_readfirstlane_b32 s3, v1
	s_lshl_b32 s3, s3, 3
	s_load_dwordx2 s[4:5], s[0:1], s3 offset:0x0
	s_load_dwordx2 s[6:7], s[0:1], s3 offset:0x400
	;; [unrolled: 1-line block ×3, first 2 shown]
	s_waitcnt lgkmcnt(0)
	s_ashr_i32 s3, s2, 31
	s_lshl_b64 s[2:3], s[2:3], 16
	s_add_u32 s12, s4, s2
	s_addc_u32 s13, s5, s3
	s_add_u32 s14, s8, s2
	s_addc_u32 s15, s9, s3
	s_sub_u32 s16, s6, s2
	s_subb_u32 s17, s7, s3
	s_or_b32 s2, s6, s14
	s_or_b32 s2, s2, s12
	s_and_b32 s2, s2, 3
	s_cmp_eq_u32 s2, 0
	s_mov_b64 s[2:3], -1
	s_cbranch_scc1 .LBB61_33
; %bb.1:
	v_cmp_lt_i64_e64 s[2:3], s[16:17], 1
	s_and_b64 vcc, exec, s[2:3]
	s_cbranch_vccnz .LBB61_32
; %bb.2:
	s_load_dword s6, s[0:1], 0xc5c
	v_mov_b64_e32 v[2:3], 0x10000
	v_cmp_lt_i64_e32 vcc, s[16:17], v[2:3]
	s_and_b64 s[2:3], vcc, exec
	s_cselect_b32 s5, s17, 0
	s_cselect_b32 s4, s16, 0x10000
	s_waitcnt lgkmcnt(0)
	s_and_b32 s18, s6, 0xffff
	v_cmp_lt_u64_e32 vcc, s[16:17], v[2:3]
	s_and_b64 s[2:3], vcc, exec
	s_cselect_b32 s21, s17, 0
	s_cselect_b32 s20, s16, 0x10000
	s_lshl_b32 s22, s18, 1
	s_bfe_u32 s2, s31, 0x80010
	s_cmp_lg_u32 s2, 0
	s_cselect_b64 s[2:3], -1, 0
	s_mov_b32 s19, 0
	v_cndmask_b32_e64 v2, 0, 1, s[2:3]
	v_mov_b32_e32 v1, 0
	s_mov_b32 s23, s19
	s_mul_i32 s24, s18, 3
	s_mov_b32 s25, s19
	s_lshl_b32 s33, s18, 2
	s_mov_b64 s[26:27], 0
	v_cmp_ne_u32_e64 s[2:3], 1, v2
	v_mov_b64_e32 v[2:3], s[4:5]
	s_branch .LBB61_4
.LBB61_3:                               ;   in Loop: Header=BB61_4 Depth=1
	s_or_b64 exec, exec, s[4:5]
	s_add_u32 s26, s26, s33
	s_addc_u32 s27, s27, 0
	v_cmp_ge_i64_e32 vcc, s[26:27], v[2:3]
	s_cbranch_vccnz .LBB61_32
.LBB61_4:                               ; =>This Loop Header: Depth=1
                                        ;     Child Loop BB61_14 Depth 2
                                        ;     Child Loop BB61_17 Depth 2
	;; [unrolled: 1-line block ×4, first 2 shown]
	v_lshl_add_u64 v[4:5], s[26:27], 0, v[0:1]
	v_cmp_gt_u64_e64 s[4:5], s[20:21], v[4:5]
	v_mov_b32_e32 v15, 0
	s_and_saveexec_b64 s[6:7], s[4:5]
	s_cbranch_execz .LBB61_6
; %bb.5:                                ;   in Loop: Header=BB61_4 Depth=1
	v_lshl_add_u64 v[6:7], s[12:13], 0, v[4:5]
	global_load_ubyte v15, v[6:7], off
.LBB61_6:                               ;   in Loop: Header=BB61_4 Depth=1
	s_or_b64 exec, exec, s[6:7]
	v_lshl_add_u64 v[6:7], v[4:5], 0, s[18:19]
	v_cmp_gt_u64_e64 s[6:7], s[20:21], v[6:7]
	v_mov_b32_e32 v14, 0
	v_mov_b32_e32 v16, 0
	s_and_saveexec_b64 s[8:9], s[6:7]
	s_cbranch_execz .LBB61_8
; %bb.7:                                ;   in Loop: Header=BB61_4 Depth=1
	v_lshl_add_u64 v[8:9], s[12:13], 0, v[6:7]
	global_load_ubyte v16, v[8:9], off
.LBB61_8:                               ;   in Loop: Header=BB61_4 Depth=1
	s_or_b64 exec, exec, s[8:9]
	v_lshl_add_u64 v[8:9], v[4:5], 0, s[22:23]
	v_cmp_gt_u64_e64 s[8:9], s[20:21], v[8:9]
	s_and_saveexec_b64 s[10:11], s[8:9]
	s_cbranch_execz .LBB61_10
; %bb.9:                                ;   in Loop: Header=BB61_4 Depth=1
	v_lshl_add_u64 v[10:11], s[12:13], 0, v[8:9]
	global_load_ubyte v14, v[10:11], off
.LBB61_10:                              ;   in Loop: Header=BB61_4 Depth=1
	s_or_b64 exec, exec, s[10:11]
	v_lshl_add_u64 v[10:11], v[4:5], 0, s[24:25]
	v_cmp_gt_u64_e64 s[10:11], s[20:21], v[10:11]
	v_mov_b32_e32 v13, 0
	s_and_saveexec_b64 s[28:29], s[10:11]
	s_cbranch_execz .LBB61_12
; %bb.11:                               ;   in Loop: Header=BB61_4 Depth=1
	v_lshl_add_u64 v[12:13], s[12:13], 0, v[10:11]
	global_load_ubyte v13, v[12:13], off
.LBB61_12:                              ;   in Loop: Header=BB61_4 Depth=1
	s_or_b64 exec, exec, s[28:29]
	v_mov_b32_e32 v12, 1
	s_and_b64 vcc, exec, s[2:3]
	s_cbranch_vccnz .LBB61_15
; %bb.13:                               ;   in Loop: Header=BB61_4 Depth=1
	s_mov_b32 s28, s30
.LBB61_14:                              ;   Parent Loop BB61_4 Depth=1
                                        ; =>  This Inner Loop Header: Depth=2
	s_and_b32 s29, s28, 0xff
	s_bitcmp1_b32 s28, 0
	s_cselect_b64 vcc, -1, 0
	s_waitcnt vmcnt(0)
	v_cndmask_b32_e32 v17, 1, v15, vcc
	s_bfe_u32 s28, s28, 0x70001
	v_mul_lo_u16_e32 v15, v15, v15
	s_cmp_gt_u32 s29, 1
	v_mul_lo_u16_e32 v12, v17, v12
	s_cbranch_scc1 .LBB61_14
.LBB61_15:                              ;   in Loop: Header=BB61_4 Depth=1
	s_and_b64 vcc, exec, s[2:3]
	s_cbranch_vccnz .LBB61_21
; %bb.16:                               ;   in Loop: Header=BB61_4 Depth=1
	s_waitcnt vmcnt(0)
	v_mov_b32_e32 v15, 1
	s_mov_b32 s28, s30
.LBB61_17:                              ;   Parent Loop BB61_4 Depth=1
                                        ; =>  This Inner Loop Header: Depth=2
	s_and_b32 s29, s28, 0xff
	s_bitcmp1_b32 s28, 0
	s_cselect_b64 vcc, -1, 0
	v_cndmask_b32_e32 v17, 1, v16, vcc
	s_bfe_u32 s28, s28, 0x70001
	v_mul_lo_u16_e32 v16, v16, v16
	s_cmp_gt_u32 s29, 1
	v_mul_lo_u16_e32 v15, v17, v15
	s_cbranch_scc1 .LBB61_17
; %bb.18:                               ;   in Loop: Header=BB61_4 Depth=1
	v_mov_b32_e32 v16, 1
	s_mov_b32 s28, s30
.LBB61_19:                              ;   Parent Loop BB61_4 Depth=1
                                        ; =>  This Inner Loop Header: Depth=2
	s_and_b32 s29, s28, 0xff
	s_bitcmp1_b32 s28, 0
	s_cselect_b64 vcc, -1, 0
	v_cndmask_b32_e32 v17, 1, v14, vcc
	s_bfe_u32 s28, s28, 0x70001
	v_mul_lo_u16_e32 v14, v14, v14
	s_cmp_gt_u32 s29, 1
	v_mul_lo_u16_e32 v16, v17, v16
	s_cbranch_scc1 .LBB61_19
; %bb.20:                               ;   in Loop: Header=BB61_4 Depth=1
	v_mov_b32_e32 v14, 1
	s_and_b64 vcc, exec, s[2:3]
	s_cbranch_vccz .LBB61_22
	s_branch .LBB61_24
.LBB61_21:                              ;   in Loop: Header=BB61_4 Depth=1
	s_waitcnt vmcnt(0)
	v_mov_b32_e32 v16, 1
	v_mov_b32_e32 v15, 1
	;; [unrolled: 1-line block ×3, first 2 shown]
	s_and_b64 vcc, exec, s[2:3]
	s_cbranch_vccnz .LBB61_24
.LBB61_22:                              ;   in Loop: Header=BB61_4 Depth=1
	s_mov_b32 s28, s30
.LBB61_23:                              ;   Parent Loop BB61_4 Depth=1
                                        ; =>  This Inner Loop Header: Depth=2
	s_and_b32 s29, s28, 0xff
	s_bitcmp1_b32 s28, 0
	s_cselect_b64 vcc, -1, 0
	v_cndmask_b32_e32 v17, 1, v13, vcc
	s_bfe_u32 s28, s28, 0x70001
	v_mul_lo_u16_e32 v13, v13, v13
	s_cmp_gt_u32 s29, 1
	v_mul_lo_u16_e32 v14, v17, v14
	s_cbranch_scc1 .LBB61_23
.LBB61_24:                              ;   in Loop: Header=BB61_4 Depth=1
	s_and_saveexec_b64 s[28:29], s[4:5]
	s_xor_b64 s[4:5], exec, s[28:29]
	s_cbranch_execz .LBB61_26
; %bb.25:                               ;   in Loop: Header=BB61_4 Depth=1
	v_lshl_add_u64 v[4:5], s[14:15], 0, v[4:5]
	global_store_byte v[4:5], v12, off
.LBB61_26:                              ;   in Loop: Header=BB61_4 Depth=1
	s_or_b64 exec, exec, s[4:5]
	s_and_saveexec_b64 s[4:5], s[6:7]
	s_cbranch_execnz .LBB61_29
; %bb.27:                               ;   in Loop: Header=BB61_4 Depth=1
	s_or_b64 exec, exec, s[4:5]
	s_and_saveexec_b64 s[4:5], s[8:9]
	s_cbranch_execnz .LBB61_30
.LBB61_28:                              ;   in Loop: Header=BB61_4 Depth=1
	s_or_b64 exec, exec, s[4:5]
	s_and_saveexec_b64 s[4:5], s[10:11]
	s_cbranch_execz .LBB61_3
	s_branch .LBB61_31
.LBB61_29:                              ;   in Loop: Header=BB61_4 Depth=1
	v_lshl_add_u64 v[4:5], s[14:15], 0, v[6:7]
	global_store_byte v[4:5], v15, off
	s_or_b64 exec, exec, s[4:5]
	s_and_saveexec_b64 s[4:5], s[8:9]
	s_cbranch_execz .LBB61_28
.LBB61_30:                              ;   in Loop: Header=BB61_4 Depth=1
	v_lshl_add_u64 v[4:5], s[14:15], 0, v[8:9]
	global_store_byte v[4:5], v16, off
	s_or_b64 exec, exec, s[4:5]
	s_and_saveexec_b64 s[4:5], s[10:11]
	s_cbranch_execz .LBB61_3
.LBB61_31:                              ;   in Loop: Header=BB61_4 Depth=1
	v_lshl_add_u64 v[4:5], s[14:15], 0, v[10:11]
	global_store_byte v[4:5], v14, off
	s_branch .LBB61_3
.LBB61_32:
	s_mov_b64 s[2:3], 0
.LBB61_33:
	s_andn2_b64 vcc, exec, s[2:3]
	s_cbranch_vccnz .LBB61_49
; %bb.34:
	v_mov_b64_e32 v[4:5], 0x10000
	v_cmp_lt_i64_e32 vcc, s[16:17], v[4:5]
	s_and_b64 s[4:5], vcc, exec
	v_mov_b32_e32 v3, 0
	s_cselect_b32 s5, s17, 0
	s_cselect_b32 s4, s16, 0x10000
	v_lshlrev_b32_e32 v2, 2, v0
	s_mov_b32 s3, 0
	v_cmp_gt_i64_e32 vcc, s[4:5], v[2:3]
	s_and_saveexec_b64 s[6:7], vcc
	s_cbranch_execz .LBB61_49
; %bb.35:
	s_load_dword s2, s[0:1], 0xc5c
	s_bfe_u32 s0, s31, 0x80010
	s_cmp_lg_u32 s0, 0
	s_cselect_b64 s[0:1], -1, 0
	v_cndmask_b32_e64 v2, 0, 1, s[0:1]
	v_mov_b32_e32 v1, v3
	s_waitcnt lgkmcnt(0)
	s_and_b32 s2, s2, 0xffff
	s_mov_b64 s[6:7], 0
	v_cmp_ne_u32_e64 s[0:1], 1, v2
	s_mov_b32 s8, 0xc0c0004
	s_branch .LBB61_38
.LBB61_36:                              ;   in Loop: Header=BB61_38 Depth=1
	s_waitcnt vmcnt(0)
	v_mov_b32_e32 v4, 1
	v_mov_b32_e32 v5, 1
.LBB61_37:                              ;   in Loop: Header=BB61_38 Depth=1
	v_perm_b32 v2, v2, v3, s8
	v_perm_b32 v3, v5, v4, s8
	v_lshl_or_b32 v6, v3, 16, v2
	v_lshl_add_u64 v[2:3], v[0:1], 2, s[14:15]
	v_lshl_add_u64 v[0:1], v[0:1], 0, s[2:3]
	v_lshlrev_b64 v[4:5], 2, v[0:1]
	v_cmp_le_i64_e32 vcc, s[4:5], v[4:5]
	s_or_b64 s[6:7], vcc, s[6:7]
	global_store_dword v[2:3], v6, off
	s_andn2_b64 exec, exec, s[6:7]
	s_cbranch_execz .LBB61_49
.LBB61_38:                              ; =>This Loop Header: Depth=1
                                        ;     Child Loop BB61_40 Depth 2
                                        ;     Child Loop BB61_42 Depth 2
	;; [unrolled: 1-line block ×4, first 2 shown]
	v_lshl_add_u64 v[2:3], v[0:1], 2, s[12:13]
	global_load_dword v4, v[2:3], off
	s_and_b64 vcc, exec, s[0:1]
	s_cbranch_vccnz .LBB61_44
; %bb.39:                               ;   in Loop: Header=BB61_38 Depth=1
	v_mov_b32_e32 v2, 1
	s_mov_b32 s9, s30
	s_waitcnt vmcnt(0)
	v_mov_b32_e32 v3, v4
.LBB61_40:                              ;   Parent Loop BB61_38 Depth=1
                                        ; =>  This Inner Loop Header: Depth=2
	s_and_b32 s10, s9, 0xff
	s_bitcmp1_b32 s9, 0
	s_cselect_b64 vcc, -1, 0
	v_cndmask_b32_e32 v5, 1, v3, vcc
	s_bfe_u32 s9, s9, 0x70001
	v_mul_lo_u16_e32 v3, v3, v3
	s_cmp_gt_u32 s10, 1
	v_mul_lo_u16_e32 v2, v5, v2
	s_cbranch_scc1 .LBB61_40
; %bb.41:                               ;   in Loop: Header=BB61_38 Depth=1
	v_lshrrev_b32_e32 v5, 8, v4
	v_mov_b32_e32 v3, 1
	s_mov_b32 s9, s30
.LBB61_42:                              ;   Parent Loop BB61_38 Depth=1
                                        ; =>  This Inner Loop Header: Depth=2
	s_and_b32 s10, s9, 0xff
	s_bitcmp1_b32 s9, 0
	s_cselect_b64 vcc, -1, 0
	v_cndmask_b32_e32 v6, 1, v5, vcc
	s_bfe_u32 s9, s9, 0x70001
	v_mul_lo_u16_e32 v5, v5, v5
	s_cmp_gt_u32 s10, 1
	v_mul_lo_u16_e32 v3, v6, v3
	s_cbranch_scc1 .LBB61_42
; %bb.43:                               ;   in Loop: Header=BB61_38 Depth=1
	s_and_b64 vcc, exec, s[0:1]
	s_cbranch_vccz .LBB61_45
	s_branch .LBB61_36
.LBB61_44:                              ;   in Loop: Header=BB61_38 Depth=1
	v_mov_b32_e32 v3, 1
	v_mov_b32_e32 v2, 1
	s_and_b64 vcc, exec, s[0:1]
	s_cbranch_vccnz .LBB61_36
.LBB61_45:                              ;   in Loop: Header=BB61_38 Depth=1
	s_waitcnt vmcnt(0)
	v_lshrrev_b32_e32 v6, 16, v4
	v_mov_b32_e32 v5, 1
	s_mov_b32 s9, s30
.LBB61_46:                              ;   Parent Loop BB61_38 Depth=1
                                        ; =>  This Inner Loop Header: Depth=2
	s_and_b32 s10, s9, 0xff
	s_bitcmp1_b32 s9, 0
	s_cselect_b64 vcc, -1, 0
	v_cndmask_b32_e32 v7, 1, v6, vcc
	s_bfe_u32 s9, s9, 0x70001
	v_mul_lo_u16_e32 v6, v6, v6
	s_cmp_gt_u32 s10, 1
	v_mul_lo_u16_e32 v5, v7, v5
	s_cbranch_scc1 .LBB61_46
; %bb.47:                               ;   in Loop: Header=BB61_38 Depth=1
	v_lshrrev_b32_e32 v6, 24, v4
	v_mov_b32_e32 v4, 1
	s_mov_b32 s9, s30
.LBB61_48:                              ;   Parent Loop BB61_38 Depth=1
                                        ; =>  This Inner Loop Header: Depth=2
	s_and_b32 s10, s9, 0xff
	s_bitcmp1_b32 s9, 0
	s_cselect_b64 vcc, -1, 0
	v_cndmask_b32_e32 v7, 1, v6, vcc
	s_bfe_u32 s9, s9, 0x70001
	v_mul_lo_u16_e32 v6, v6, v6
	s_cmp_gt_u32 s10, 1
	v_mul_lo_u16_e32 v4, v7, v4
	s_cbranch_scc1 .LBB61_48
	s_branch .LBB61_37
.LBB61_49:
	s_endpgm
	.section	.rodata,"a",@progbits
	.p2align	6, 0x0
	.amdhsa_kernel _ZN2at6native12_GLOBAL__N_125multi_tensor_apply_kernelINS1_18TensorListMetadataILi2EEENS1_21BinaryOpScalarFunctorIhLi2ELi1ELi1EEEJNS1_13power_functorIhEEhEEEvT_T0_DpT1_
		.amdhsa_group_segment_fixed_size 0
		.amdhsa_private_segment_fixed_size 0
		.amdhsa_kernarg_size 3408
		.amdhsa_user_sgpr_count 2
		.amdhsa_user_sgpr_dispatch_ptr 0
		.amdhsa_user_sgpr_queue_ptr 0
		.amdhsa_user_sgpr_kernarg_segment_ptr 1
		.amdhsa_user_sgpr_dispatch_id 0
		.amdhsa_user_sgpr_kernarg_preload_length 0
		.amdhsa_user_sgpr_kernarg_preload_offset 0
		.amdhsa_user_sgpr_private_segment_size 0
		.amdhsa_uses_dynamic_stack 0
		.amdhsa_enable_private_segment 0
		.amdhsa_system_sgpr_workgroup_id_x 1
		.amdhsa_system_sgpr_workgroup_id_y 0
		.amdhsa_system_sgpr_workgroup_id_z 0
		.amdhsa_system_sgpr_workgroup_info 0
		.amdhsa_system_vgpr_workitem_id 0
		.amdhsa_next_free_vgpr 18
		.amdhsa_next_free_sgpr 34
		.amdhsa_accum_offset 20
		.amdhsa_reserve_vcc 1
		.amdhsa_float_round_mode_32 0
		.amdhsa_float_round_mode_16_64 0
		.amdhsa_float_denorm_mode_32 3
		.amdhsa_float_denorm_mode_16_64 3
		.amdhsa_dx10_clamp 1
		.amdhsa_ieee_mode 1
		.amdhsa_fp16_overflow 0
		.amdhsa_tg_split 0
		.amdhsa_exception_fp_ieee_invalid_op 0
		.amdhsa_exception_fp_denorm_src 0
		.amdhsa_exception_fp_ieee_div_zero 0
		.amdhsa_exception_fp_ieee_overflow 0
		.amdhsa_exception_fp_ieee_underflow 0
		.amdhsa_exception_fp_ieee_inexact 0
		.amdhsa_exception_int_div_zero 0
	.end_amdhsa_kernel
	.section	.text._ZN2at6native12_GLOBAL__N_125multi_tensor_apply_kernelINS1_18TensorListMetadataILi2EEENS1_21BinaryOpScalarFunctorIhLi2ELi1ELi1EEEJNS1_13power_functorIhEEhEEEvT_T0_DpT1_,"axG",@progbits,_ZN2at6native12_GLOBAL__N_125multi_tensor_apply_kernelINS1_18TensorListMetadataILi2EEENS1_21BinaryOpScalarFunctorIhLi2ELi1ELi1EEEJNS1_13power_functorIhEEhEEEvT_T0_DpT1_,comdat
.Lfunc_end61:
	.size	_ZN2at6native12_GLOBAL__N_125multi_tensor_apply_kernelINS1_18TensorListMetadataILi2EEENS1_21BinaryOpScalarFunctorIhLi2ELi1ELi1EEEJNS1_13power_functorIhEEhEEEvT_T0_DpT1_, .Lfunc_end61-_ZN2at6native12_GLOBAL__N_125multi_tensor_apply_kernelINS1_18TensorListMetadataILi2EEENS1_21BinaryOpScalarFunctorIhLi2ELi1ELi1EEEJNS1_13power_functorIhEEhEEEvT_T0_DpT1_
                                        ; -- End function
	.set _ZN2at6native12_GLOBAL__N_125multi_tensor_apply_kernelINS1_18TensorListMetadataILi2EEENS1_21BinaryOpScalarFunctorIhLi2ELi1ELi1EEEJNS1_13power_functorIhEEhEEEvT_T0_DpT1_.num_vgpr, 18
	.set _ZN2at6native12_GLOBAL__N_125multi_tensor_apply_kernelINS1_18TensorListMetadataILi2EEENS1_21BinaryOpScalarFunctorIhLi2ELi1ELi1EEEJNS1_13power_functorIhEEhEEEvT_T0_DpT1_.num_agpr, 0
	.set _ZN2at6native12_GLOBAL__N_125multi_tensor_apply_kernelINS1_18TensorListMetadataILi2EEENS1_21BinaryOpScalarFunctorIhLi2ELi1ELi1EEEJNS1_13power_functorIhEEhEEEvT_T0_DpT1_.numbered_sgpr, 34
	.set _ZN2at6native12_GLOBAL__N_125multi_tensor_apply_kernelINS1_18TensorListMetadataILi2EEENS1_21BinaryOpScalarFunctorIhLi2ELi1ELi1EEEJNS1_13power_functorIhEEhEEEvT_T0_DpT1_.num_named_barrier, 0
	.set _ZN2at6native12_GLOBAL__N_125multi_tensor_apply_kernelINS1_18TensorListMetadataILi2EEENS1_21BinaryOpScalarFunctorIhLi2ELi1ELi1EEEJNS1_13power_functorIhEEhEEEvT_T0_DpT1_.private_seg_size, 0
	.set _ZN2at6native12_GLOBAL__N_125multi_tensor_apply_kernelINS1_18TensorListMetadataILi2EEENS1_21BinaryOpScalarFunctorIhLi2ELi1ELi1EEEJNS1_13power_functorIhEEhEEEvT_T0_DpT1_.uses_vcc, 1
	.set _ZN2at6native12_GLOBAL__N_125multi_tensor_apply_kernelINS1_18TensorListMetadataILi2EEENS1_21BinaryOpScalarFunctorIhLi2ELi1ELi1EEEJNS1_13power_functorIhEEhEEEvT_T0_DpT1_.uses_flat_scratch, 0
	.set _ZN2at6native12_GLOBAL__N_125multi_tensor_apply_kernelINS1_18TensorListMetadataILi2EEENS1_21BinaryOpScalarFunctorIhLi2ELi1ELi1EEEJNS1_13power_functorIhEEhEEEvT_T0_DpT1_.has_dyn_sized_stack, 0
	.set _ZN2at6native12_GLOBAL__N_125multi_tensor_apply_kernelINS1_18TensorListMetadataILi2EEENS1_21BinaryOpScalarFunctorIhLi2ELi1ELi1EEEJNS1_13power_functorIhEEhEEEvT_T0_DpT1_.has_recursion, 0
	.set _ZN2at6native12_GLOBAL__N_125multi_tensor_apply_kernelINS1_18TensorListMetadataILi2EEENS1_21BinaryOpScalarFunctorIhLi2ELi1ELi1EEEJNS1_13power_functorIhEEhEEEvT_T0_DpT1_.has_indirect_call, 0
	.section	.AMDGPU.csdata,"",@progbits
; Kernel info:
; codeLenInByte = 1448
; TotalNumSgprs: 40
; NumVgprs: 18
; NumAgprs: 0
; TotalNumVgprs: 18
; ScratchSize: 0
; MemoryBound: 0
; FloatMode: 240
; IeeeMode: 1
; LDSByteSize: 0 bytes/workgroup (compile time only)
; SGPRBlocks: 4
; VGPRBlocks: 2
; NumSGPRsForWavesPerEU: 40
; NumVGPRsForWavesPerEU: 18
; AccumOffset: 20
; Occupancy: 8
; WaveLimiterHint : 0
; COMPUTE_PGM_RSRC2:SCRATCH_EN: 0
; COMPUTE_PGM_RSRC2:USER_SGPR: 2
; COMPUTE_PGM_RSRC2:TRAP_HANDLER: 0
; COMPUTE_PGM_RSRC2:TGID_X_EN: 1
; COMPUTE_PGM_RSRC2:TGID_Y_EN: 0
; COMPUTE_PGM_RSRC2:TGID_Z_EN: 0
; COMPUTE_PGM_RSRC2:TIDIG_COMP_CNT: 0
; COMPUTE_PGM_RSRC3_GFX90A:ACCUM_OFFSET: 4
; COMPUTE_PGM_RSRC3_GFX90A:TG_SPLIT: 0
	.section	.text._ZN2at6native12_GLOBAL__N_125multi_tensor_apply_kernelINS1_18TensorListMetadataILi2EEENS1_21BinaryOpScalarFunctorIaLi2ELi1ELi1EEEJNS1_13power_functorIaEEaEEEvT_T0_DpT1_,"axG",@progbits,_ZN2at6native12_GLOBAL__N_125multi_tensor_apply_kernelINS1_18TensorListMetadataILi2EEENS1_21BinaryOpScalarFunctorIaLi2ELi1ELi1EEEJNS1_13power_functorIaEEaEEEvT_T0_DpT1_,comdat
	.globl	_ZN2at6native12_GLOBAL__N_125multi_tensor_apply_kernelINS1_18TensorListMetadataILi2EEENS1_21BinaryOpScalarFunctorIaLi2ELi1ELi1EEEJNS1_13power_functorIaEEaEEEvT_T0_DpT1_ ; -- Begin function _ZN2at6native12_GLOBAL__N_125multi_tensor_apply_kernelINS1_18TensorListMetadataILi2EEENS1_21BinaryOpScalarFunctorIaLi2ELi1ELi1EEEJNS1_13power_functorIaEEaEEEvT_T0_DpT1_
	.p2align	8
	.type	_ZN2at6native12_GLOBAL__N_125multi_tensor_apply_kernelINS1_18TensorListMetadataILi2EEENS1_21BinaryOpScalarFunctorIaLi2ELi1ELi1EEEJNS1_13power_functorIaEEaEEEvT_T0_DpT1_,@function
_ZN2at6native12_GLOBAL__N_125multi_tensor_apply_kernelINS1_18TensorListMetadataILi2EEENS1_21BinaryOpScalarFunctorIaLi2ELi1ELi1EEEJNS1_13power_functorIaEEaEEEvT_T0_DpT1_: ; @_ZN2at6native12_GLOBAL__N_125multi_tensor_apply_kernelINS1_18TensorListMetadataILi2EEENS1_21BinaryOpScalarFunctorIaLi2ELi1ELi1EEEJNS1_13power_functorIaEEaEEEvT_T0_DpT1_
; %bb.0:
	v_mov_b32_e32 v1, s2
	global_load_ubyte v1, v1, s[0:1] offset:1536
	s_load_dword s40, s[0:1], 0xc48
	s_mul_hi_u32 s3, s2, 3
	s_mul_i32 s4, s2, 3
	s_waitcnt lgkmcnt(0)
	s_lshr_b32 s33, s40, 16
	s_add_u32 s2, s0, s2
	s_addc_u32 s5, s1, 0
	s_add_u32 s2, s2, s4
	s_addc_u32 s3, s5, s3
	s_load_dword s2, s[2:3], 0x740
	s_waitcnt vmcnt(0)
	v_readfirstlane_b32 s3, v1
	s_lshl_b32 s3, s3, 3
	s_load_dwordx2 s[4:5], s[0:1], s3 offset:0x0
	s_load_dwordx2 s[6:7], s[0:1], s3 offset:0x400
	s_load_dwordx2 s[8:9], s[0:1], s3 offset:0x200
	s_waitcnt lgkmcnt(0)
	s_ashr_i32 s3, s2, 31
	s_lshl_b64 s[2:3], s[2:3], 16
	s_add_u32 s14, s4, s2
	s_addc_u32 s15, s5, s3
	s_add_u32 s16, s8, s2
	s_addc_u32 s17, s9, s3
	s_sub_u32 s18, s6, s2
	s_subb_u32 s19, s7, s3
	s_or_b32 s2, s6, s16
	s_or_b32 s2, s2, s14
	s_and_b32 s2, s2, 3
	s_cmp_eq_u32 s2, 0
	s_mov_b64 s[2:3], -1
	s_cbranch_scc1 .LBB62_73
; %bb.1:
	v_cmp_lt_i64_e64 s[2:3], s[18:19], 1
	s_and_b64 vcc, exec, s[2:3]
	s_cbranch_vccnz .LBB62_72
; %bb.2:
	s_load_dword s4, s[0:1], 0xc5c
	v_mov_b64_e32 v[2:3], 0x10000
	v_cmp_lt_i64_e32 vcc, s[18:19], v[2:3]
	s_and_b64 s[2:3], vcc, exec
	s_cselect_b32 s23, s19, 0
	s_cselect_b32 s22, s18, 0x10000
	s_waitcnt lgkmcnt(0)
	s_and_b32 s20, s4, 0xffff
	v_cmp_lt_u64_e32 vcc, s[18:19], v[2:3]
	s_and_b64 s[2:3], vcc, exec
	s_cselect_b32 s25, s19, 0
	s_cselect_b32 s24, s18, 0x10000
	s_lshl_b32 s26, s20, 1
	s_bfe_i32 s2, s40, 0x80010
	s_cmp_gt_i32 s2, -1
	s_cselect_b64 s[30:31], -1, 0
	s_bfe_u32 s2, s40, 0x80010
	s_cmp_lg_u32 s2, 0
	s_cselect_b64 s[2:3], -1, 0
	s_bfe_u32 s4, s40, 0x10010
	v_cndmask_b32_e64 v2, 0, 1, s[2:3]
	s_mov_b32 s21, 0
	s_cmp_eq_u32 s4, 0
	v_cmp_ne_u32_e64 s[2:3], 1, v2
	v_cndmask_b32_e64 v2, 0, 1, s[30:31]
	v_mov_b32_e32 v1, 0
	s_mov_b32 s27, s21
	s_mul_i32 s28, s20, 3
	s_mov_b32 s29, s21
	s_cselect_b32 s41, 1, 0xffff
	s_lshl_b32 s42, s20, 2
	s_mov_b64 s[34:35], 0
	s_movk_i32 s43, 0xfe
	v_cmp_ne_u32_e64 s[4:5], 1, v2
	v_mov_b32_e32 v10, 1
	s_branch .LBB62_4
.LBB62_3:                               ;   in Loop: Header=BB62_4 Depth=1
	s_or_b64 exec, exec, s[6:7]
	s_add_u32 s34, s34, s42
	s_addc_u32 s35, s35, 0
	v_mov_b64_e32 v[2:3], s[22:23]
	v_cmp_ge_i64_e32 vcc, s[34:35], v[2:3]
	s_cbranch_vccnz .LBB62_72
.LBB62_4:                               ; =>This Loop Header: Depth=1
                                        ;     Child Loop BB62_15 Depth 2
                                        ;     Child Loop BB62_20 Depth 2
	;; [unrolled: 1-line block ×4, first 2 shown]
	v_lshl_add_u64 v[2:3], s[34:35], 0, v[0:1]
	v_cmp_gt_u64_e64 s[6:7], s[24:25], v[2:3]
	s_waitcnt vmcnt(0)
	v_mov_b32_e32 v14, 0
	s_and_saveexec_b64 s[8:9], s[6:7]
	s_cbranch_execz .LBB62_6
; %bb.5:                                ;   in Loop: Header=BB62_4 Depth=1
	v_lshl_add_u64 v[4:5], s[14:15], 0, v[2:3]
	global_load_ubyte v14, v[4:5], off
.LBB62_6:                               ;   in Loop: Header=BB62_4 Depth=1
	s_or_b64 exec, exec, s[8:9]
	v_lshl_add_u64 v[4:5], v[2:3], 0, s[20:21]
	v_cmp_gt_u64_e64 s[8:9], s[24:25], v[4:5]
	v_mov_b32_e32 v13, 0
	v_mov_b32_e32 v15, 0
	s_and_saveexec_b64 s[10:11], s[8:9]
	s_cbranch_execz .LBB62_8
; %bb.7:                                ;   in Loop: Header=BB62_4 Depth=1
	v_lshl_add_u64 v[6:7], s[14:15], 0, v[4:5]
	global_load_ubyte v15, v[6:7], off
.LBB62_8:                               ;   in Loop: Header=BB62_4 Depth=1
	s_or_b64 exec, exec, s[10:11]
	v_lshl_add_u64 v[6:7], v[2:3], 0, s[26:27]
	v_cmp_gt_u64_e64 s[10:11], s[24:25], v[6:7]
	s_and_saveexec_b64 s[12:13], s[10:11]
	s_cbranch_execz .LBB62_10
; %bb.9:                                ;   in Loop: Header=BB62_4 Depth=1
	v_lshl_add_u64 v[8:9], s[14:15], 0, v[6:7]
	global_load_ubyte v13, v[8:9], off
.LBB62_10:                              ;   in Loop: Header=BB62_4 Depth=1
	s_or_b64 exec, exec, s[12:13]
	v_lshl_add_u64 v[8:9], v[2:3], 0, s[28:29]
	v_cmp_gt_u64_e64 s[12:13], s[24:25], v[8:9]
	v_mov_b32_e32 v11, 0
	s_and_saveexec_b64 s[36:37], s[12:13]
	s_cbranch_execz .LBB62_12
; %bb.11:                               ;   in Loop: Header=BB62_4 Depth=1
	v_lshl_add_u64 v[16:17], s[14:15], 0, v[8:9]
	global_load_ubyte v11, v[16:17], off
.LBB62_12:                              ;   in Loop: Header=BB62_4 Depth=1
	s_or_b64 exec, exec, s[36:37]
	s_mov_b64 s[36:37], -1
	s_and_b64 vcc, exec, s[30:31]
                                        ; implicit-def: $vgpr12
	s_cbranch_vccz .LBB62_36
; %bb.13:                               ;   in Loop: Header=BB62_4 Depth=1
	v_mov_b32_e32 v12, 1
	s_and_b64 vcc, exec, s[2:3]
	s_cbranch_vccnz .LBB62_16
; %bb.14:                               ;   in Loop: Header=BB62_4 Depth=1
	s_mov_b32 s36, s33
	s_waitcnt vmcnt(0)
	v_mov_b32_e32 v16, v14
.LBB62_15:                              ;   Parent Loop BB62_4 Depth=1
                                        ; =>  This Inner Loop Header: Depth=2
	s_bfe_i32 s37, s36, 0x80000
	s_bitcmp1_b32 s36, 0
	s_cselect_b64 vcc, -1, 0
	s_sext_i32_i16 s37, s37
	v_cndmask_b32_e32 v17, 1, v16, vcc
	s_bfe_u32 s36, s36, 0x70001
	v_mul_lo_u16_e32 v16, v16, v16
	s_cmp_gt_i32 s37, 1
	v_mul_lo_u16_e32 v12, v17, v12
	s_cbranch_scc1 .LBB62_15
.LBB62_16:                              ;   in Loop: Header=BB62_4 Depth=1
	s_cbranch_execz .LBB62_37
.LBB62_17:                              ;   in Loop: Header=BB62_4 Depth=1
	s_and_b64 vcc, exec, s[4:5]
	s_mov_b64 s[36:37], -1
                                        ; implicit-def: $vgpr14
	s_cbranch_vccnz .LBB62_44
.LBB62_18:                              ;   in Loop: Header=BB62_4 Depth=1
	s_waitcnt vmcnt(0)
	v_mov_b32_e32 v14, 1
	s_and_b64 vcc, exec, s[2:3]
	s_cbranch_vccnz .LBB62_21
; %bb.19:                               ;   in Loop: Header=BB62_4 Depth=1
	s_mov_b32 s36, s33
	v_mov_b32_e32 v16, v15
.LBB62_20:                              ;   Parent Loop BB62_4 Depth=1
                                        ; =>  This Inner Loop Header: Depth=2
	s_bfe_i32 s37, s36, 0x80000
	s_bitcmp1_b32 s36, 0
	s_cselect_b64 vcc, -1, 0
	s_sext_i32_i16 s37, s37
	v_cndmask_b32_e32 v17, 1, v16, vcc
	s_bfe_u32 s36, s36, 0x70001
	v_mul_lo_u16_e32 v16, v16, v16
	s_cmp_lt_i32 s37, 2
	v_mul_lo_u16_e32 v14, v17, v14
	s_cbranch_scc0 .LBB62_20
.LBB62_21:                              ;   in Loop: Header=BB62_4 Depth=1
	s_cbranch_execz .LBB62_45
.LBB62_22:                              ;   in Loop: Header=BB62_4 Depth=1
	s_and_b64 vcc, exec, s[4:5]
	s_mov_b64 s[36:37], -1
                                        ; implicit-def: $vgpr15
	s_cbranch_vccnz .LBB62_52
.LBB62_23:                              ;   in Loop: Header=BB62_4 Depth=1
	s_waitcnt vmcnt(0)
	v_mov_b32_e32 v15, 1
	s_and_b64 vcc, exec, s[2:3]
	s_cbranch_vccnz .LBB62_26
; %bb.24:                               ;   in Loop: Header=BB62_4 Depth=1
	s_mov_b32 s36, s33
	v_mov_b32_e32 v16, v13
.LBB62_25:                              ;   Parent Loop BB62_4 Depth=1
                                        ; =>  This Inner Loop Header: Depth=2
	s_bfe_i32 s37, s36, 0x80000
	s_bitcmp1_b32 s36, 0
	s_cselect_b64 vcc, -1, 0
	s_sext_i32_i16 s37, s37
	v_cndmask_b32_e32 v17, 1, v16, vcc
	s_bfe_u32 s36, s36, 0x70001
	v_mul_lo_u16_e32 v16, v16, v16
	s_cmp_lt_i32 s37, 2
	v_mul_lo_u16_e32 v15, v17, v15
	s_cbranch_scc0 .LBB62_25
.LBB62_26:                              ;   in Loop: Header=BB62_4 Depth=1
	s_cbranch_execz .LBB62_53
.LBB62_27:                              ;   in Loop: Header=BB62_4 Depth=1
	s_and_b64 vcc, exec, s[4:5]
	s_mov_b64 s[36:37], -1
                                        ; implicit-def: $vgpr13
	s_cbranch_vccnz .LBB62_60
.LBB62_28:                              ;   in Loop: Header=BB62_4 Depth=1
	s_waitcnt vmcnt(0)
	v_mov_b32_e32 v13, 1
	s_and_b64 vcc, exec, s[2:3]
	s_cbranch_vccnz .LBB62_31
; %bb.29:                               ;   in Loop: Header=BB62_4 Depth=1
	s_mov_b32 s36, s33
	v_mov_b32_e32 v16, v11
.LBB62_30:                              ;   Parent Loop BB62_4 Depth=1
                                        ; =>  This Inner Loop Header: Depth=2
	s_bfe_i32 s37, s36, 0x80000
	s_bitcmp1_b32 s36, 0
	s_cselect_b64 vcc, -1, 0
	s_sext_i32_i16 s37, s37
	v_cndmask_b32_e32 v17, 1, v16, vcc
	s_bfe_u32 s36, s36, 0x70001
	v_mul_lo_u16_e32 v16, v16, v16
	s_cmp_lt_i32 s37, 2
	v_mul_lo_u16_e32 v13, v17, v13
	s_cbranch_scc0 .LBB62_30
.LBB62_31:                              ;   in Loop: Header=BB62_4 Depth=1
	s_cbranch_execz .LBB62_61
.LBB62_32:                              ;   in Loop: Header=BB62_4 Depth=1
	s_and_saveexec_b64 s[36:37], s[6:7]
	s_xor_b64 s[6:7], exec, s[36:37]
	s_cbranch_execz .LBB62_68
.LBB62_33:                              ;   in Loop: Header=BB62_4 Depth=1
	v_lshl_add_u64 v[2:3], s[16:17], 0, v[2:3]
	global_store_byte v[2:3], v12, off
	s_or_b64 exec, exec, s[6:7]
	s_and_saveexec_b64 s[6:7], s[8:9]
	s_cbranch_execnz .LBB62_69
.LBB62_34:                              ;   in Loop: Header=BB62_4 Depth=1
	s_or_b64 exec, exec, s[6:7]
	s_and_saveexec_b64 s[6:7], s[10:11]
	s_cbranch_execz .LBB62_70
.LBB62_35:                              ;   in Loop: Header=BB62_4 Depth=1
	v_lshl_add_u64 v[2:3], s[16:17], 0, v[6:7]
	s_waitcnt vmcnt(0)
	global_store_byte v[2:3], v15, off
	s_or_b64 exec, exec, s[6:7]
	s_and_saveexec_b64 s[6:7], s[12:13]
	s_cbranch_execz .LBB62_3
	s_branch .LBB62_71
.LBB62_36:                              ;   in Loop: Header=BB62_4 Depth=1
	s_andn2_b64 vcc, exec, s[36:37]
	s_cbranch_vccnz .LBB62_17
.LBB62_37:                              ;   in Loop: Header=BB62_4 Depth=1
	s_waitcnt vmcnt(0)
	v_cmp_gt_i16_sdwa s[36:37], v14, s43 src0_sel:BYTE_0 src1_sel:DWORD
	s_and_saveexec_b64 s[38:39], s[36:37]
	s_xor_b64 s[36:37], exec, s[38:39]
; %bb.38:                               ;   in Loop: Header=BB62_4 Depth=1
                                        ; implicit-def: $vgpr14
; %bb.39:                               ;   in Loop: Header=BB62_4 Depth=1
	s_or_saveexec_b64 s[36:37], s[36:37]
	v_mov_b32_e32 v12, s41
	s_xor_b64 exec, exec, s[36:37]
	s_cbranch_execz .LBB62_43
; %bb.40:                               ;   in Loop: Header=BB62_4 Depth=1
	v_mov_b32_e32 v12, 1
	v_cmp_ne_u16_sdwa s[44:45], v14, v10 src0_sel:BYTE_0 src1_sel:DWORD
	s_and_saveexec_b64 s[38:39], s[44:45]
; %bb.41:                               ;   in Loop: Header=BB62_4 Depth=1
	v_mov_b32_e32 v12, 0
; %bb.42:                               ;   in Loop: Header=BB62_4 Depth=1
	s_or_b64 exec, exec, s[38:39]
.LBB62_43:                              ;   in Loop: Header=BB62_4 Depth=1
	s_or_b64 exec, exec, s[36:37]
	s_and_b64 vcc, exec, s[4:5]
	s_mov_b64 s[36:37], -1
                                        ; implicit-def: $vgpr14
	s_cbranch_vccz .LBB62_18
.LBB62_44:                              ;   in Loop: Header=BB62_4 Depth=1
	s_andn2_b64 vcc, exec, s[36:37]
	s_cbranch_vccnz .LBB62_22
.LBB62_45:                              ;   in Loop: Header=BB62_4 Depth=1
	s_waitcnt vmcnt(0)
	v_cmp_gt_i16_sdwa s[36:37], v15, s43 src0_sel:BYTE_0 src1_sel:DWORD
	s_and_saveexec_b64 s[38:39], s[36:37]
	s_xor_b64 s[36:37], exec, s[38:39]
; %bb.46:                               ;   in Loop: Header=BB62_4 Depth=1
                                        ; implicit-def: $vgpr15
; %bb.47:                               ;   in Loop: Header=BB62_4 Depth=1
	s_or_saveexec_b64 s[36:37], s[36:37]
	v_mov_b32_e32 v14, s41
	s_xor_b64 exec, exec, s[36:37]
	s_cbranch_execz .LBB62_51
; %bb.48:                               ;   in Loop: Header=BB62_4 Depth=1
	v_mov_b32_e32 v14, 1
	v_cmp_ne_u16_sdwa s[44:45], v15, v10 src0_sel:BYTE_0 src1_sel:DWORD
	s_and_saveexec_b64 s[38:39], s[44:45]
; %bb.49:                               ;   in Loop: Header=BB62_4 Depth=1
	v_mov_b32_e32 v14, 0
; %bb.50:                               ;   in Loop: Header=BB62_4 Depth=1
	s_or_b64 exec, exec, s[38:39]
.LBB62_51:                              ;   in Loop: Header=BB62_4 Depth=1
	s_or_b64 exec, exec, s[36:37]
	s_and_b64 vcc, exec, s[4:5]
	s_mov_b64 s[36:37], -1
                                        ; implicit-def: $vgpr15
	s_cbranch_vccz .LBB62_23
.LBB62_52:                              ;   in Loop: Header=BB62_4 Depth=1
	s_andn2_b64 vcc, exec, s[36:37]
	s_cbranch_vccnz .LBB62_27
.LBB62_53:                              ;   in Loop: Header=BB62_4 Depth=1
	s_waitcnt vmcnt(0)
	v_cmp_gt_i16_sdwa s[36:37], v13, s43 src0_sel:BYTE_0 src1_sel:DWORD
	s_and_saveexec_b64 s[38:39], s[36:37]
	s_xor_b64 s[36:37], exec, s[38:39]
; %bb.54:                               ;   in Loop: Header=BB62_4 Depth=1
                                        ; implicit-def: $vgpr13
; %bb.55:                               ;   in Loop: Header=BB62_4 Depth=1
	s_or_saveexec_b64 s[36:37], s[36:37]
	v_mov_b32_e32 v15, s41
	s_xor_b64 exec, exec, s[36:37]
	s_cbranch_execz .LBB62_59
; %bb.56:                               ;   in Loop: Header=BB62_4 Depth=1
	v_mov_b32_e32 v15, 1
	v_cmp_ne_u16_sdwa s[44:45], v13, v10 src0_sel:BYTE_0 src1_sel:DWORD
	s_and_saveexec_b64 s[38:39], s[44:45]
; %bb.57:                               ;   in Loop: Header=BB62_4 Depth=1
	v_mov_b32_e32 v15, 0
; %bb.58:                               ;   in Loop: Header=BB62_4 Depth=1
	s_or_b64 exec, exec, s[38:39]
.LBB62_59:                              ;   in Loop: Header=BB62_4 Depth=1
	s_or_b64 exec, exec, s[36:37]
	s_and_b64 vcc, exec, s[4:5]
	s_mov_b64 s[36:37], -1
                                        ; implicit-def: $vgpr13
	s_cbranch_vccz .LBB62_28
.LBB62_60:                              ;   in Loop: Header=BB62_4 Depth=1
	s_andn2_b64 vcc, exec, s[36:37]
	s_cbranch_vccnz .LBB62_32
.LBB62_61:                              ;   in Loop: Header=BB62_4 Depth=1
	s_waitcnt vmcnt(0)
	v_cmp_gt_i16_sdwa s[36:37], v11, s43 src0_sel:BYTE_0 src1_sel:DWORD
	s_and_saveexec_b64 s[38:39], s[36:37]
	s_xor_b64 s[36:37], exec, s[38:39]
; %bb.62:                               ;   in Loop: Header=BB62_4 Depth=1
                                        ; implicit-def: $vgpr11
; %bb.63:                               ;   in Loop: Header=BB62_4 Depth=1
	s_or_saveexec_b64 s[36:37], s[36:37]
	v_mov_b32_e32 v13, s41
	s_xor_b64 exec, exec, s[36:37]
	s_cbranch_execz .LBB62_67
; %bb.64:                               ;   in Loop: Header=BB62_4 Depth=1
	v_mov_b32_e32 v13, 1
	v_cmp_ne_u16_sdwa s[44:45], v11, v10 src0_sel:BYTE_0 src1_sel:DWORD
	s_and_saveexec_b64 s[38:39], s[44:45]
; %bb.65:                               ;   in Loop: Header=BB62_4 Depth=1
	v_mov_b32_e32 v13, 0
; %bb.66:                               ;   in Loop: Header=BB62_4 Depth=1
	s_or_b64 exec, exec, s[38:39]
.LBB62_67:                              ;   in Loop: Header=BB62_4 Depth=1
	s_or_b64 exec, exec, s[36:37]
	s_and_saveexec_b64 s[36:37], s[6:7]
	s_xor_b64 s[6:7], exec, s[36:37]
	s_cbranch_execnz .LBB62_33
.LBB62_68:                              ;   in Loop: Header=BB62_4 Depth=1
	s_or_b64 exec, exec, s[6:7]
	s_and_saveexec_b64 s[6:7], s[8:9]
	s_cbranch_execz .LBB62_34
.LBB62_69:                              ;   in Loop: Header=BB62_4 Depth=1
	v_lshl_add_u64 v[2:3], s[16:17], 0, v[4:5]
	s_waitcnt vmcnt(0)
	global_store_byte v[2:3], v14, off
	s_or_b64 exec, exec, s[6:7]
	s_and_saveexec_b64 s[6:7], s[10:11]
	s_cbranch_execnz .LBB62_35
.LBB62_70:                              ;   in Loop: Header=BB62_4 Depth=1
	s_or_b64 exec, exec, s[6:7]
	s_and_saveexec_b64 s[6:7], s[12:13]
	s_cbranch_execz .LBB62_3
.LBB62_71:                              ;   in Loop: Header=BB62_4 Depth=1
	v_lshl_add_u64 v[2:3], s[16:17], 0, v[8:9]
	s_waitcnt vmcnt(0)
	global_store_byte v[2:3], v13, off
	s_branch .LBB62_3
.LBB62_72:
	s_mov_b64 s[2:3], 0
.LBB62_73:
	s_andn2_b64 vcc, exec, s[2:3]
	s_cbranch_vccnz .LBB62_127
; %bb.74:
	v_mov_b64_e32 v[4:5], 0x10000
	v_cmp_lt_i64_e32 vcc, s[18:19], v[4:5]
	s_and_b64 s[2:3], vcc, exec
	v_mov_b32_e32 v3, 0
	s_cselect_b32 s7, s19, 0
	s_cselect_b32 s6, s18, 0x10000
	v_lshlrev_b32_e32 v2, 2, v0
	s_mov_b32 s5, 0
	v_cmp_gt_i64_e32 vcc, s[6:7], v[2:3]
	s_and_saveexec_b64 s[2:3], vcc
	s_cbranch_execz .LBB62_127
; %bb.75:
	s_bfe_i32 s2, s40, 0x80010
	s_cmp_gt_i32 s2, -1
	s_cselect_b64 s[8:9], -1, 0
	s_bfe_u32 s2, s40, 0x80010
	s_cmp_lg_u32 s2, 0
	s_load_dword s2, s[0:1], 0xc5c
	s_cselect_b64 s[0:1], -1, 0
	s_bfe_u32 s3, s40, 0x10010
	v_cndmask_b32_e64 v2, 0, 1, s[0:1]
	s_cmp_eq_u32 s3, 0
	v_cmp_ne_u32_e64 s[0:1], 1, v2
	v_cndmask_b32_e64 v2, 0, 1, s[8:9]
	v_mov_b32_e32 v1, v3
	s_cselect_b32 s20, 1, 0xffff
	s_waitcnt lgkmcnt(0)
	s_and_b32 s4, s2, 0xffff
	s_mov_b64 s[10:11], 0
	s_movk_i32 s21, 0xfe
	v_cmp_ne_u32_e64 s[2:3], 1, v2
	s_mov_b32 s22, 0xc0c0004
	v_mov_b32_e32 v2, 1
	s_branch .LBB62_79
.LBB62_76:                              ;   in Loop: Header=BB62_79 Depth=1
	s_or_b64 exec, exec, s[18:19]
.LBB62_77:                              ;   in Loop: Header=BB62_79 Depth=1
	s_or_b64 exec, exec, s[12:13]
.LBB62_78:                              ;   in Loop: Header=BB62_79 Depth=1
	v_perm_b32 v3, v3, v5, s22
	v_perm_b32 v4, v6, v7, s22
	v_lshl_or_b32 v3, v4, 16, v3
	v_lshl_add_u64 v[4:5], v[0:1], 2, s[16:17]
	v_lshl_add_u64 v[0:1], v[0:1], 0, s[4:5]
	v_lshlrev_b64 v[6:7], 2, v[0:1]
	v_cmp_le_i64_e32 vcc, s[6:7], v[6:7]
	s_or_b64 s[10:11], vcc, s[10:11]
	global_store_dword v[4:5], v3, off
	s_andn2_b64 exec, exec, s[10:11]
	s_cbranch_execz .LBB62_127
.LBB62_79:                              ; =>This Loop Header: Depth=1
                                        ;     Child Loop BB62_82 Depth 2
                                        ;     Child Loop BB62_87 Depth 2
	;; [unrolled: 1-line block ×4, first 2 shown]
	v_lshl_add_u64 v[4:5], v[0:1], 2, s[14:15]
	global_load_dword v4, v[4:5], off
	s_mov_b64 s[12:13], -1
	s_and_b64 vcc, exec, s[8:9]
                                        ; implicit-def: $vgpr3
	s_cbranch_vccz .LBB62_99
; %bb.80:                               ;   in Loop: Header=BB62_79 Depth=1
	v_mov_b32_e32 v3, 1
	s_and_b64 vcc, exec, s[0:1]
	s_cbranch_vccnz .LBB62_83
; %bb.81:                               ;   in Loop: Header=BB62_79 Depth=1
	s_mov_b32 s12, s33
	s_waitcnt vmcnt(0)
	v_mov_b32_e32 v5, v4
.LBB62_82:                              ;   Parent Loop BB62_79 Depth=1
                                        ; =>  This Inner Loop Header: Depth=2
	s_bfe_i32 s13, s12, 0x80000
	s_bitcmp1_b32 s12, 0
	s_cselect_b64 vcc, -1, 0
	s_sext_i32_i16 s13, s13
	v_cndmask_b32_e32 v6, 1, v5, vcc
	s_bfe_u32 s12, s12, 0x70001
	v_mul_lo_u16_e32 v5, v5, v5
	s_cmp_gt_i32 s13, 1
	v_mul_lo_u16_e32 v3, v6, v3
	s_cbranch_scc1 .LBB62_82
.LBB62_83:                              ;   in Loop: Header=BB62_79 Depth=1
	s_cbranch_execz .LBB62_100
.LBB62_84:                              ;   in Loop: Header=BB62_79 Depth=1
	s_waitcnt vmcnt(0)
	v_lshrrev_b32_e32 v6, 8, v4
	s_and_b64 vcc, exec, s[2:3]
	s_mov_b64 s[12:13], -1
                                        ; implicit-def: $vgpr5
	s_cbranch_vccnz .LBB62_105
.LBB62_85:                              ;   in Loop: Header=BB62_79 Depth=1
	v_mov_b32_e32 v5, 1
	s_and_b64 vcc, exec, s[0:1]
	s_cbranch_vccnz .LBB62_88
; %bb.86:                               ;   in Loop: Header=BB62_79 Depth=1
	s_mov_b32 s12, s33
	v_mov_b32_e32 v7, v6
.LBB62_87:                              ;   Parent Loop BB62_79 Depth=1
                                        ; =>  This Inner Loop Header: Depth=2
	s_bfe_i32 s13, s12, 0x80000
	s_bitcmp1_b32 s12, 0
	s_cselect_b64 vcc, -1, 0
	s_sext_i32_i16 s13, s13
	v_cndmask_b32_e32 v8, 1, v7, vcc
	s_bfe_u32 s12, s12, 0x70001
	v_mul_lo_u16_e32 v7, v7, v7
	s_cmp_lt_i32 s13, 2
	v_mul_lo_u16_e32 v5, v8, v5
	s_cbranch_scc0 .LBB62_87
.LBB62_88:                              ;   in Loop: Header=BB62_79 Depth=1
	s_cbranch_execz .LBB62_106
.LBB62_89:                              ;   in Loop: Header=BB62_79 Depth=1
	v_lshrrev_b32_e32 v7, 16, v4
	s_and_b64 vcc, exec, s[2:3]
	s_mov_b64 s[12:13], -1
                                        ; implicit-def: $vgpr6
	s_cbranch_vccnz .LBB62_113
.LBB62_90:                              ;   in Loop: Header=BB62_79 Depth=1
	v_mov_b32_e32 v6, 1
	s_and_b64 vcc, exec, s[0:1]
	s_cbranch_vccnz .LBB62_93
; %bb.91:                               ;   in Loop: Header=BB62_79 Depth=1
	s_mov_b32 s12, s33
	v_mov_b32_e32 v8, v7
.LBB62_92:                              ;   Parent Loop BB62_79 Depth=1
                                        ; =>  This Inner Loop Header: Depth=2
	s_bfe_i32 s13, s12, 0x80000
	s_bitcmp1_b32 s12, 0
	s_cselect_b64 vcc, -1, 0
	s_sext_i32_i16 s13, s13
	v_cndmask_b32_e32 v9, 1, v8, vcc
	s_bfe_u32 s12, s12, 0x70001
	v_mul_lo_u16_e32 v8, v8, v8
	s_cmp_lt_i32 s13, 2
	v_mul_lo_u16_e32 v6, v9, v6
	s_cbranch_scc0 .LBB62_92
.LBB62_93:                              ;   in Loop: Header=BB62_79 Depth=1
	s_cbranch_execz .LBB62_114
.LBB62_94:                              ;   in Loop: Header=BB62_79 Depth=1
	v_lshrrev_b32_e32 v4, 24, v4
	s_and_b64 vcc, exec, s[2:3]
	s_mov_b64 s[12:13], -1
                                        ; implicit-def: $vgpr7
	s_cbranch_vccnz .LBB62_121
.LBB62_95:                              ;   in Loop: Header=BB62_79 Depth=1
	v_mov_b32_e32 v7, 1
	s_and_b64 vcc, exec, s[0:1]
	s_cbranch_vccnz .LBB62_98
; %bb.96:                               ;   in Loop: Header=BB62_79 Depth=1
	s_mov_b32 s12, s33
	v_mov_b32_e32 v8, v4
.LBB62_97:                              ;   Parent Loop BB62_79 Depth=1
                                        ; =>  This Inner Loop Header: Depth=2
	s_bfe_i32 s13, s12, 0x80000
	s_bitcmp1_b32 s12, 0
	s_cselect_b64 vcc, -1, 0
	s_sext_i32_i16 s13, s13
	v_cndmask_b32_e32 v9, 1, v8, vcc
	s_bfe_u32 s12, s12, 0x70001
	v_mul_lo_u16_e32 v8, v8, v8
	s_cmp_lt_i32 s13, 2
	v_mul_lo_u16_e32 v7, v9, v7
	s_cbranch_scc0 .LBB62_97
.LBB62_98:                              ;   in Loop: Header=BB62_79 Depth=1
	s_cbranch_execnz .LBB62_78
	s_branch .LBB62_122
.LBB62_99:                              ;   in Loop: Header=BB62_79 Depth=1
	s_andn2_b64 vcc, exec, s[12:13]
	s_cbranch_vccnz .LBB62_84
.LBB62_100:                             ;   in Loop: Header=BB62_79 Depth=1
	s_waitcnt vmcnt(0)
	v_cmp_gt_i16_sdwa s[12:13], v4, s21 src0_sel:BYTE_0 src1_sel:DWORD
	s_and_saveexec_b64 s[18:19], s[12:13]
	s_xor_b64 s[12:13], exec, s[18:19]
	s_or_saveexec_b64 s[12:13], s[12:13]
	v_mov_b32_e32 v3, s20
	s_xor_b64 exec, exec, s[12:13]
	s_cbranch_execz .LBB62_104
; %bb.101:                              ;   in Loop: Header=BB62_79 Depth=1
	v_mov_b32_e32 v3, 1
	v_cmp_ne_u16_sdwa s[24:25], v4, v2 src0_sel:BYTE_0 src1_sel:DWORD
	s_and_saveexec_b64 s[18:19], s[24:25]
; %bb.102:                              ;   in Loop: Header=BB62_79 Depth=1
	v_mov_b32_e32 v3, 0
; %bb.103:                              ;   in Loop: Header=BB62_79 Depth=1
	s_or_b64 exec, exec, s[18:19]
.LBB62_104:                             ;   in Loop: Header=BB62_79 Depth=1
	s_or_b64 exec, exec, s[12:13]
	v_lshrrev_b32_e32 v6, 8, v4
	s_and_b64 vcc, exec, s[2:3]
	s_mov_b64 s[12:13], -1
                                        ; implicit-def: $vgpr5
	s_cbranch_vccz .LBB62_85
.LBB62_105:                             ;   in Loop: Header=BB62_79 Depth=1
	s_andn2_b64 vcc, exec, s[12:13]
	s_cbranch_vccnz .LBB62_89
.LBB62_106:                             ;   in Loop: Header=BB62_79 Depth=1
	v_cmp_gt_i16_sdwa s[12:13], v6, s21 src0_sel:BYTE_0 src1_sel:DWORD
	s_and_saveexec_b64 s[18:19], s[12:13]
	s_xor_b64 s[12:13], exec, s[18:19]
; %bb.107:                              ;   in Loop: Header=BB62_79 Depth=1
                                        ; implicit-def: $vgpr6
; %bb.108:                              ;   in Loop: Header=BB62_79 Depth=1
	s_or_saveexec_b64 s[12:13], s[12:13]
	v_mov_b32_e32 v5, s20
	s_xor_b64 exec, exec, s[12:13]
	s_cbranch_execz .LBB62_112
; %bb.109:                              ;   in Loop: Header=BB62_79 Depth=1
	v_mov_b32_e32 v5, 1
	v_cmp_ne_u16_sdwa s[24:25], v6, v2 src0_sel:BYTE_0 src1_sel:DWORD
	s_and_saveexec_b64 s[18:19], s[24:25]
; %bb.110:                              ;   in Loop: Header=BB62_79 Depth=1
	v_mov_b32_e32 v5, 0
; %bb.111:                              ;   in Loop: Header=BB62_79 Depth=1
	s_or_b64 exec, exec, s[18:19]
.LBB62_112:                             ;   in Loop: Header=BB62_79 Depth=1
	s_or_b64 exec, exec, s[12:13]
	v_lshrrev_b32_e32 v7, 16, v4
	s_and_b64 vcc, exec, s[2:3]
	s_mov_b64 s[12:13], -1
                                        ; implicit-def: $vgpr6
	s_cbranch_vccz .LBB62_90
.LBB62_113:                             ;   in Loop: Header=BB62_79 Depth=1
	s_andn2_b64 vcc, exec, s[12:13]
	s_cbranch_vccnz .LBB62_94
.LBB62_114:                             ;   in Loop: Header=BB62_79 Depth=1
	v_cmp_gt_i16_sdwa s[12:13], v7, s21 src0_sel:BYTE_0 src1_sel:DWORD
	s_and_saveexec_b64 s[18:19], s[12:13]
	s_xor_b64 s[12:13], exec, s[18:19]
; %bb.115:                              ;   in Loop: Header=BB62_79 Depth=1
                                        ; implicit-def: $vgpr7
; %bb.116:                              ;   in Loop: Header=BB62_79 Depth=1
	s_or_saveexec_b64 s[12:13], s[12:13]
	v_mov_b32_e32 v6, s20
	s_xor_b64 exec, exec, s[12:13]
	s_cbranch_execz .LBB62_120
; %bb.117:                              ;   in Loop: Header=BB62_79 Depth=1
	v_mov_b32_e32 v6, 1
	v_cmp_ne_u16_sdwa s[24:25], v7, v2 src0_sel:BYTE_0 src1_sel:DWORD
	s_and_saveexec_b64 s[18:19], s[24:25]
; %bb.118:                              ;   in Loop: Header=BB62_79 Depth=1
	v_mov_b32_e32 v6, 0
; %bb.119:                              ;   in Loop: Header=BB62_79 Depth=1
	s_or_b64 exec, exec, s[18:19]
.LBB62_120:                             ;   in Loop: Header=BB62_79 Depth=1
	s_or_b64 exec, exec, s[12:13]
	v_lshrrev_b32_e32 v4, 24, v4
	s_and_b64 vcc, exec, s[2:3]
	s_mov_b64 s[12:13], -1
                                        ; implicit-def: $vgpr7
	s_cbranch_vccz .LBB62_95
.LBB62_121:                             ;   in Loop: Header=BB62_79 Depth=1
	s_andn2_b64 vcc, exec, s[12:13]
	s_cbranch_vccnz .LBB62_78
.LBB62_122:                             ;   in Loop: Header=BB62_79 Depth=1
	v_cmp_lt_i16_e32 vcc, s21, v4
	s_and_saveexec_b64 s[12:13], vcc
	s_xor_b64 s[12:13], exec, s[12:13]
; %bb.123:                              ;   in Loop: Header=BB62_79 Depth=1
                                        ; implicit-def: $vgpr4
; %bb.124:                              ;   in Loop: Header=BB62_79 Depth=1
	s_or_saveexec_b64 s[12:13], s[12:13]
	v_mov_b32_e32 v7, s20
	s_xor_b64 exec, exec, s[12:13]
	s_cbranch_execz .LBB62_77
; %bb.125:                              ;   in Loop: Header=BB62_79 Depth=1
	v_mov_b32_e32 v7, 1
	v_cmp_ne_u16_e32 vcc, 1, v4
	s_and_saveexec_b64 s[18:19], vcc
	s_cbranch_execz .LBB62_76
; %bb.126:                              ;   in Loop: Header=BB62_79 Depth=1
	v_mov_b32_e32 v7, 0
	s_branch .LBB62_76
.LBB62_127:
	s_endpgm
	.section	.rodata,"a",@progbits
	.p2align	6, 0x0
	.amdhsa_kernel _ZN2at6native12_GLOBAL__N_125multi_tensor_apply_kernelINS1_18TensorListMetadataILi2EEENS1_21BinaryOpScalarFunctorIaLi2ELi1ELi1EEEJNS1_13power_functorIaEEaEEEvT_T0_DpT1_
		.amdhsa_group_segment_fixed_size 0
		.amdhsa_private_segment_fixed_size 0
		.amdhsa_kernarg_size 3408
		.amdhsa_user_sgpr_count 2
		.amdhsa_user_sgpr_dispatch_ptr 0
		.amdhsa_user_sgpr_queue_ptr 0
		.amdhsa_user_sgpr_kernarg_segment_ptr 1
		.amdhsa_user_sgpr_dispatch_id 0
		.amdhsa_user_sgpr_kernarg_preload_length 0
		.amdhsa_user_sgpr_kernarg_preload_offset 0
		.amdhsa_user_sgpr_private_segment_size 0
		.amdhsa_uses_dynamic_stack 0
		.amdhsa_enable_private_segment 0
		.amdhsa_system_sgpr_workgroup_id_x 1
		.amdhsa_system_sgpr_workgroup_id_y 0
		.amdhsa_system_sgpr_workgroup_id_z 0
		.amdhsa_system_sgpr_workgroup_info 0
		.amdhsa_system_vgpr_workitem_id 0
		.amdhsa_next_free_vgpr 18
		.amdhsa_next_free_sgpr 46
		.amdhsa_accum_offset 20
		.amdhsa_reserve_vcc 1
		.amdhsa_float_round_mode_32 0
		.amdhsa_float_round_mode_16_64 0
		.amdhsa_float_denorm_mode_32 3
		.amdhsa_float_denorm_mode_16_64 3
		.amdhsa_dx10_clamp 1
		.amdhsa_ieee_mode 1
		.amdhsa_fp16_overflow 0
		.amdhsa_tg_split 0
		.amdhsa_exception_fp_ieee_invalid_op 0
		.amdhsa_exception_fp_denorm_src 0
		.amdhsa_exception_fp_ieee_div_zero 0
		.amdhsa_exception_fp_ieee_overflow 0
		.amdhsa_exception_fp_ieee_underflow 0
		.amdhsa_exception_fp_ieee_inexact 0
		.amdhsa_exception_int_div_zero 0
	.end_amdhsa_kernel
	.section	.text._ZN2at6native12_GLOBAL__N_125multi_tensor_apply_kernelINS1_18TensorListMetadataILi2EEENS1_21BinaryOpScalarFunctorIaLi2ELi1ELi1EEEJNS1_13power_functorIaEEaEEEvT_T0_DpT1_,"axG",@progbits,_ZN2at6native12_GLOBAL__N_125multi_tensor_apply_kernelINS1_18TensorListMetadataILi2EEENS1_21BinaryOpScalarFunctorIaLi2ELi1ELi1EEEJNS1_13power_functorIaEEaEEEvT_T0_DpT1_,comdat
.Lfunc_end62:
	.size	_ZN2at6native12_GLOBAL__N_125multi_tensor_apply_kernelINS1_18TensorListMetadataILi2EEENS1_21BinaryOpScalarFunctorIaLi2ELi1ELi1EEEJNS1_13power_functorIaEEaEEEvT_T0_DpT1_, .Lfunc_end62-_ZN2at6native12_GLOBAL__N_125multi_tensor_apply_kernelINS1_18TensorListMetadataILi2EEENS1_21BinaryOpScalarFunctorIaLi2ELi1ELi1EEEJNS1_13power_functorIaEEaEEEvT_T0_DpT1_
                                        ; -- End function
	.set _ZN2at6native12_GLOBAL__N_125multi_tensor_apply_kernelINS1_18TensorListMetadataILi2EEENS1_21BinaryOpScalarFunctorIaLi2ELi1ELi1EEEJNS1_13power_functorIaEEaEEEvT_T0_DpT1_.num_vgpr, 18
	.set _ZN2at6native12_GLOBAL__N_125multi_tensor_apply_kernelINS1_18TensorListMetadataILi2EEENS1_21BinaryOpScalarFunctorIaLi2ELi1ELi1EEEJNS1_13power_functorIaEEaEEEvT_T0_DpT1_.num_agpr, 0
	.set _ZN2at6native12_GLOBAL__N_125multi_tensor_apply_kernelINS1_18TensorListMetadataILi2EEENS1_21BinaryOpScalarFunctorIaLi2ELi1ELi1EEEJNS1_13power_functorIaEEaEEEvT_T0_DpT1_.numbered_sgpr, 46
	.set _ZN2at6native12_GLOBAL__N_125multi_tensor_apply_kernelINS1_18TensorListMetadataILi2EEENS1_21BinaryOpScalarFunctorIaLi2ELi1ELi1EEEJNS1_13power_functorIaEEaEEEvT_T0_DpT1_.num_named_barrier, 0
	.set _ZN2at6native12_GLOBAL__N_125multi_tensor_apply_kernelINS1_18TensorListMetadataILi2EEENS1_21BinaryOpScalarFunctorIaLi2ELi1ELi1EEEJNS1_13power_functorIaEEaEEEvT_T0_DpT1_.private_seg_size, 0
	.set _ZN2at6native12_GLOBAL__N_125multi_tensor_apply_kernelINS1_18TensorListMetadataILi2EEENS1_21BinaryOpScalarFunctorIaLi2ELi1ELi1EEEJNS1_13power_functorIaEEaEEEvT_T0_DpT1_.uses_vcc, 1
	.set _ZN2at6native12_GLOBAL__N_125multi_tensor_apply_kernelINS1_18TensorListMetadataILi2EEENS1_21BinaryOpScalarFunctorIaLi2ELi1ELi1EEEJNS1_13power_functorIaEEaEEEvT_T0_DpT1_.uses_flat_scratch, 0
	.set _ZN2at6native12_GLOBAL__N_125multi_tensor_apply_kernelINS1_18TensorListMetadataILi2EEENS1_21BinaryOpScalarFunctorIaLi2ELi1ELi1EEEJNS1_13power_functorIaEEaEEEvT_T0_DpT1_.has_dyn_sized_stack, 0
	.set _ZN2at6native12_GLOBAL__N_125multi_tensor_apply_kernelINS1_18TensorListMetadataILi2EEENS1_21BinaryOpScalarFunctorIaLi2ELi1ELi1EEEJNS1_13power_functorIaEEaEEEvT_T0_DpT1_.has_recursion, 0
	.set _ZN2at6native12_GLOBAL__N_125multi_tensor_apply_kernelINS1_18TensorListMetadataILi2EEENS1_21BinaryOpScalarFunctorIaLi2ELi1ELi1EEEJNS1_13power_functorIaEEaEEEvT_T0_DpT1_.has_indirect_call, 0
	.section	.AMDGPU.csdata,"",@progbits
; Kernel info:
; codeLenInByte = 2416
; TotalNumSgprs: 52
; NumVgprs: 18
; NumAgprs: 0
; TotalNumVgprs: 18
; ScratchSize: 0
; MemoryBound: 0
; FloatMode: 240
; IeeeMode: 1
; LDSByteSize: 0 bytes/workgroup (compile time only)
; SGPRBlocks: 6
; VGPRBlocks: 2
; NumSGPRsForWavesPerEU: 52
; NumVGPRsForWavesPerEU: 18
; AccumOffset: 20
; Occupancy: 8
; WaveLimiterHint : 0
; COMPUTE_PGM_RSRC2:SCRATCH_EN: 0
; COMPUTE_PGM_RSRC2:USER_SGPR: 2
; COMPUTE_PGM_RSRC2:TRAP_HANDLER: 0
; COMPUTE_PGM_RSRC2:TGID_X_EN: 1
; COMPUTE_PGM_RSRC2:TGID_Y_EN: 0
; COMPUTE_PGM_RSRC2:TGID_Z_EN: 0
; COMPUTE_PGM_RSRC2:TIDIG_COMP_CNT: 0
; COMPUTE_PGM_RSRC3_GFX90A:ACCUM_OFFSET: 4
; COMPUTE_PGM_RSRC3_GFX90A:TG_SPLIT: 0
	.section	.text._ZN2at6native12_GLOBAL__N_125multi_tensor_apply_kernelINS1_18TensorListMetadataILi2EEENS1_21BinaryOpScalarFunctorIiLi2ELi1ELi1EEEJNS1_13power_functorIiEEiEEEvT_T0_DpT1_,"axG",@progbits,_ZN2at6native12_GLOBAL__N_125multi_tensor_apply_kernelINS1_18TensorListMetadataILi2EEENS1_21BinaryOpScalarFunctorIiLi2ELi1ELi1EEEJNS1_13power_functorIiEEiEEEvT_T0_DpT1_,comdat
	.globl	_ZN2at6native12_GLOBAL__N_125multi_tensor_apply_kernelINS1_18TensorListMetadataILi2EEENS1_21BinaryOpScalarFunctorIiLi2ELi1ELi1EEEJNS1_13power_functorIiEEiEEEvT_T0_DpT1_ ; -- Begin function _ZN2at6native12_GLOBAL__N_125multi_tensor_apply_kernelINS1_18TensorListMetadataILi2EEENS1_21BinaryOpScalarFunctorIiLi2ELi1ELi1EEEJNS1_13power_functorIiEEiEEEvT_T0_DpT1_
	.p2align	8
	.type	_ZN2at6native12_GLOBAL__N_125multi_tensor_apply_kernelINS1_18TensorListMetadataILi2EEENS1_21BinaryOpScalarFunctorIiLi2ELi1ELi1EEEJNS1_13power_functorIiEEiEEEvT_T0_DpT1_,@function
_ZN2at6native12_GLOBAL__N_125multi_tensor_apply_kernelINS1_18TensorListMetadataILi2EEENS1_21BinaryOpScalarFunctorIiLi2ELi1ELi1EEEJNS1_13power_functorIiEEiEEEvT_T0_DpT1_: ; @_ZN2at6native12_GLOBAL__N_125multi_tensor_apply_kernelINS1_18TensorListMetadataILi2EEENS1_21BinaryOpScalarFunctorIiLi2ELi1ELi1EEEJNS1_13power_functorIiEEiEEEvT_T0_DpT1_
; %bb.0:
	v_mov_b32_e32 v1, s2
	global_load_ubyte v1, v1, s[0:1] offset:1536
	s_add_u32 s3, s0, s2
	s_mul_hi_u32 s4, s2, 3
	s_mul_i32 s2, s2, 3
	s_addc_u32 s5, s1, 0
	s_add_u32 s2, s3, s2
	s_addc_u32 s3, s5, s4
	s_load_dword s2, s[2:3], 0x740
	s_mov_b32 s5, 0
	s_mov_b32 s7, s5
	s_waitcnt lgkmcnt(0)
	s_ashr_i32 s3, s2, 31
	s_lshl_b64 s[16:17], s[2:3], 18
	s_waitcnt vmcnt(0)
	v_readfirstlane_b32 s4, v1
	s_lshl_b32 s4, s4, 3
	s_load_dwordx2 s[8:9], s[0:1], s4 offset:0x0
	s_load_dword s33, s[0:1], 0xc4c
	s_load_dwordx2 s[10:11], s[0:1], s4 offset:0x400
	s_load_dwordx2 s[12:13], s[0:1], s4 offset:0x200
	s_waitcnt lgkmcnt(0)
	s_add_u32 s14, s8, s16
	s_addc_u32 s15, s9, s17
	s_and_b32 s4, s14, 15
	s_add_u32 s16, s12, s16
	s_addc_u32 s17, s13, s17
	s_and_b32 s6, s16, 15
	s_lshl_b64 s[2:3], s[2:3], 16
	s_sub_u32 s18, s10, s2
	s_subb_u32 s19, s11, s3
	s_and_b32 s2, s10, 3
	s_mov_b32 s3, s5
	s_or_b64 s[2:3], s[6:7], s[2:3]
	s_or_b64 s[2:3], s[2:3], s[4:5]
	s_cmp_eq_u64 s[2:3], 0
	s_mov_b64 s[2:3], -1
	s_cbranch_scc1 .LBB63_81
; %bb.1:
	v_cmp_lt_i64_e64 s[2:3], s[18:19], 1
	s_and_b64 vcc, exec, s[2:3]
	s_cbranch_vccnz .LBB63_80
; %bb.2:
	s_load_dword s4, s[0:1], 0xc5c
	v_mov_b64_e32 v[2:3], 0x10000
	v_cmp_lt_i64_e32 vcc, s[18:19], v[2:3]
	s_and_b64 s[2:3], vcc, exec
	s_cselect_b32 s23, s19, 0
	s_cselect_b32 s22, s18, 0x10000
	s_waitcnt lgkmcnt(0)
	s_and_b32 s20, s4, 0xffff
	v_cmp_lt_u64_e32 vcc, s[18:19], v[2:3]
	s_and_b64 s[2:3], vcc, exec
	s_cselect_b32 s25, s19, 0
	s_cselect_b32 s24, s18, 0x10000
	s_lshl_b32 s26, s20, 1
	s_cmp_gt_i32 s33, -1
	s_cselect_b64 s[30:31], -1, 0
	s_cmp_lg_u32 s33, 0
	s_cselect_b64 s[2:3], -1, 0
	s_mov_b32 s21, 0
	s_bitcmp0_b32 s33, 0
	v_cndmask_b32_e64 v2, 0, 1, s[2:3]
	v_cndmask_b32_e64 v3, 0, 1, s[30:31]
	v_mov_b32_e32 v1, 0
	s_mov_b32 s27, s21
	s_mul_i32 s28, s20, 3
	s_mov_b32 s29, s21
	s_cselect_b32 s42, 1, -1
	s_lshl_b32 s43, s20, 2
	s_mov_b64 s[34:35], 0
	v_cmp_ne_u32_e64 s[2:3], 1, v2
	v_cmp_ne_u32_e64 s[4:5], 1, v3
	s_branch .LBB63_4
.LBB63_3:                               ;   in Loop: Header=BB63_4 Depth=1
	s_or_b64 exec, exec, s[6:7]
	s_add_u32 s34, s34, s43
	s_addc_u32 s35, s35, 0
	v_mov_b64_e32 v[2:3], s[22:23]
	v_cmp_ge_i64_e32 vcc, s[34:35], v[2:3]
	s_cbranch_vccnz .LBB63_80
.LBB63_4:                               ; =>This Loop Header: Depth=1
                                        ;     Child Loop BB63_15 Depth 2
                                        ;     Child Loop BB63_20 Depth 2
	;; [unrolled: 1-line block ×4, first 2 shown]
	v_lshl_add_u64 v[2:3], s[34:35], 0, v[0:1]
	v_cmp_gt_u64_e64 s[6:7], s[24:25], v[2:3]
	s_waitcnt vmcnt(0)
	v_mov_b32_e32 v13, 0
	s_and_saveexec_b64 s[8:9], s[6:7]
	s_cbranch_execz .LBB63_6
; %bb.5:                                ;   in Loop: Header=BB63_4 Depth=1
	v_lshl_add_u64 v[4:5], v[2:3], 2, s[14:15]
	global_load_dword v13, v[4:5], off
.LBB63_6:                               ;   in Loop: Header=BB63_4 Depth=1
	s_or_b64 exec, exec, s[8:9]
	v_lshl_add_u64 v[4:5], v[2:3], 0, s[20:21]
	v_cmp_gt_u64_e64 s[8:9], s[24:25], v[4:5]
	v_mov_b32_e32 v12, 0
	v_mov_b32_e32 v14, 0
	s_and_saveexec_b64 s[10:11], s[8:9]
	s_cbranch_execz .LBB63_8
; %bb.7:                                ;   in Loop: Header=BB63_4 Depth=1
	v_lshl_add_u64 v[6:7], v[4:5], 2, s[14:15]
	global_load_dword v14, v[6:7], off
.LBB63_8:                               ;   in Loop: Header=BB63_4 Depth=1
	s_or_b64 exec, exec, s[10:11]
	v_lshl_add_u64 v[6:7], v[2:3], 0, s[26:27]
	v_cmp_gt_u64_e64 s[10:11], s[24:25], v[6:7]
	s_and_saveexec_b64 s[12:13], s[10:11]
	s_cbranch_execz .LBB63_10
; %bb.9:                                ;   in Loop: Header=BB63_4 Depth=1
	v_lshl_add_u64 v[8:9], v[6:7], 2, s[14:15]
	global_load_dword v12, v[8:9], off
.LBB63_10:                              ;   in Loop: Header=BB63_4 Depth=1
	s_or_b64 exec, exec, s[12:13]
	v_lshl_add_u64 v[8:9], v[2:3], 0, s[28:29]
	v_cmp_gt_u64_e64 s[12:13], s[24:25], v[8:9]
	v_mov_b32_e32 v10, 0
	s_and_saveexec_b64 s[36:37], s[12:13]
	s_cbranch_execz .LBB63_12
; %bb.11:                               ;   in Loop: Header=BB63_4 Depth=1
	v_lshl_add_u64 v[10:11], v[8:9], 2, s[14:15]
	global_load_dword v10, v[10:11], off
.LBB63_12:                              ;   in Loop: Header=BB63_4 Depth=1
	s_or_b64 exec, exec, s[36:37]
	s_mov_b64 s[36:37], -1
	s_and_b64 vcc, exec, s[30:31]
                                        ; implicit-def: $vgpr11
	s_cbranch_vccz .LBB63_36
; %bb.13:                               ;   in Loop: Header=BB63_4 Depth=1
	v_mov_b32_e32 v11, 1
	s_and_b64 vcc, exec, s[2:3]
	s_cbranch_vccnz .LBB63_16
; %bb.14:                               ;   in Loop: Header=BB63_4 Depth=1
	s_mov_b32 s36, s33
	s_waitcnt vmcnt(0)
	v_mov_b32_e32 v15, v13
.LBB63_15:                              ;   Parent Loop BB63_4 Depth=1
                                        ; =>  This Inner Loop Header: Depth=2
	s_bitcmp1_b32 s36, 0
	s_cselect_b64 vcc, -1, 0
	v_cndmask_b32_e32 v16, 1, v15, vcc
	s_lshr_b32 s37, s36, 1
	v_mul_lo_u32 v11, v16, v11
	v_mul_lo_u32 v15, v15, v15
	s_cmp_gt_u32 s36, 1
	s_mov_b32 s36, s37
	s_cbranch_scc1 .LBB63_15
.LBB63_16:                              ;   in Loop: Header=BB63_4 Depth=1
	s_cbranch_execz .LBB63_37
.LBB63_17:                              ;   in Loop: Header=BB63_4 Depth=1
	s_and_b64 vcc, exec, s[4:5]
	s_mov_b64 s[36:37], -1
                                        ; implicit-def: $vgpr13
	s_cbranch_vccnz .LBB63_46
.LBB63_18:                              ;   in Loop: Header=BB63_4 Depth=1
	s_waitcnt vmcnt(0)
	v_mov_b32_e32 v13, 1
	s_and_b64 vcc, exec, s[2:3]
	s_cbranch_vccnz .LBB63_21
; %bb.19:                               ;   in Loop: Header=BB63_4 Depth=1
	s_mov_b32 s36, s33
	v_mov_b32_e32 v15, v14
.LBB63_20:                              ;   Parent Loop BB63_4 Depth=1
                                        ; =>  This Inner Loop Header: Depth=2
	s_bitcmp1_b32 s36, 0
	s_cselect_b64 vcc, -1, 0
	v_cndmask_b32_e32 v16, 1, v15, vcc
	s_lshr_b32 s37, s36, 1
	v_mul_lo_u32 v13, v16, v13
	v_mul_lo_u32 v15, v15, v15
	s_cmp_lt_u32 s36, 2
	s_mov_b32 s36, s37
	s_cbranch_scc0 .LBB63_20
.LBB63_21:                              ;   in Loop: Header=BB63_4 Depth=1
	s_cbranch_execz .LBB63_47
.LBB63_22:                              ;   in Loop: Header=BB63_4 Depth=1
	s_and_b64 vcc, exec, s[4:5]
	s_mov_b64 s[36:37], -1
                                        ; implicit-def: $vgpr14
	s_cbranch_vccnz .LBB63_56
.LBB63_23:                              ;   in Loop: Header=BB63_4 Depth=1
	s_waitcnt vmcnt(0)
	v_mov_b32_e32 v14, 1
	s_and_b64 vcc, exec, s[2:3]
	s_cbranch_vccnz .LBB63_26
; %bb.24:                               ;   in Loop: Header=BB63_4 Depth=1
	s_mov_b32 s36, s33
	v_mov_b32_e32 v15, v12
.LBB63_25:                              ;   Parent Loop BB63_4 Depth=1
                                        ; =>  This Inner Loop Header: Depth=2
	s_bitcmp1_b32 s36, 0
	s_cselect_b64 vcc, -1, 0
	v_cndmask_b32_e32 v16, 1, v15, vcc
	s_lshr_b32 s37, s36, 1
	v_mul_lo_u32 v14, v16, v14
	v_mul_lo_u32 v15, v15, v15
	s_cmp_lt_u32 s36, 2
	s_mov_b32 s36, s37
	s_cbranch_scc0 .LBB63_25
.LBB63_26:                              ;   in Loop: Header=BB63_4 Depth=1
	s_cbranch_execz .LBB63_57
.LBB63_27:                              ;   in Loop: Header=BB63_4 Depth=1
	s_and_b64 vcc, exec, s[4:5]
	s_mov_b64 s[36:37], -1
                                        ; implicit-def: $vgpr12
	s_cbranch_vccnz .LBB63_66
.LBB63_28:                              ;   in Loop: Header=BB63_4 Depth=1
	s_waitcnt vmcnt(0)
	v_mov_b32_e32 v12, 1
	s_and_b64 vcc, exec, s[2:3]
	s_cbranch_vccnz .LBB63_31
; %bb.29:                               ;   in Loop: Header=BB63_4 Depth=1
	s_mov_b32 s36, s33
	v_mov_b32_e32 v15, v10
.LBB63_30:                              ;   Parent Loop BB63_4 Depth=1
                                        ; =>  This Inner Loop Header: Depth=2
	s_bitcmp1_b32 s36, 0
	s_cselect_b64 vcc, -1, 0
	v_cndmask_b32_e32 v16, 1, v15, vcc
	s_lshr_b32 s37, s36, 1
	v_mul_lo_u32 v12, v16, v12
	v_mul_lo_u32 v15, v15, v15
	s_cmp_lt_u32 s36, 2
	s_mov_b32 s36, s37
	s_cbranch_scc0 .LBB63_30
.LBB63_31:                              ;   in Loop: Header=BB63_4 Depth=1
	s_cbranch_execz .LBB63_67
.LBB63_32:                              ;   in Loop: Header=BB63_4 Depth=1
	s_and_saveexec_b64 s[36:37], s[6:7]
	s_xor_b64 s[6:7], exec, s[36:37]
	s_cbranch_execz .LBB63_76
.LBB63_33:                              ;   in Loop: Header=BB63_4 Depth=1
	v_lshl_add_u64 v[2:3], v[2:3], 2, s[16:17]
	global_store_dword v[2:3], v11, off
	s_or_b64 exec, exec, s[6:7]
	s_and_saveexec_b64 s[6:7], s[8:9]
	s_cbranch_execnz .LBB63_77
.LBB63_34:                              ;   in Loop: Header=BB63_4 Depth=1
	s_or_b64 exec, exec, s[6:7]
	s_and_saveexec_b64 s[6:7], s[10:11]
	s_cbranch_execz .LBB63_78
.LBB63_35:                              ;   in Loop: Header=BB63_4 Depth=1
	v_lshl_add_u64 v[2:3], v[6:7], 2, s[16:17]
	s_waitcnt vmcnt(0)
	global_store_dword v[2:3], v14, off
	s_or_b64 exec, exec, s[6:7]
	s_and_saveexec_b64 s[6:7], s[12:13]
	s_cbranch_execz .LBB63_3
	s_branch .LBB63_79
.LBB63_36:                              ;   in Loop: Header=BB63_4 Depth=1
	s_andn2_b64 vcc, exec, s[36:37]
	s_cbranch_vccnz .LBB63_17
.LBB63_37:                              ;   in Loop: Header=BB63_4 Depth=1
	s_waitcnt vmcnt(0)
	v_cmp_lt_i32_e32 vcc, 0, v13
	s_mov_b64 s[36:37], 0
	s_mov_b64 s[38:39], 0
	s_and_saveexec_b64 s[40:41], vcc
	s_xor_b64 s[40:41], exec, s[40:41]
	s_cbranch_execz .LBB63_41
; %bb.38:                               ;   in Loop: Header=BB63_4 Depth=1
	v_cmp_ne_u32_e32 vcc, 1, v13
	s_and_b64 s[38:39], vcc, exec
	s_andn2_saveexec_b64 s[40:41], s[40:41]
	s_cbranch_execnz .LBB63_42
.LBB63_39:                              ;   in Loop: Header=BB63_4 Depth=1
	s_or_b64 exec, exec, s[40:41]
	s_and_saveexec_b64 s[40:41], s[38:39]
	s_xor_b64 s[38:39], exec, s[40:41]
	s_cbranch_execz .LBB63_43
.LBB63_40:                              ;   in Loop: Header=BB63_4 Depth=1
	v_mov_b32_e32 v13, 0
	s_andn2_b64 s[36:37], s[36:37], exec
	s_or_b64 exec, exec, s[38:39]
	s_and_saveexec_b64 s[38:39], s[36:37]
	s_cbranch_execnz .LBB63_44
	s_branch .LBB63_45
.LBB63_41:                              ;   in Loop: Header=BB63_4 Depth=1
	s_andn2_saveexec_b64 s[40:41], s[40:41]
	s_cbranch_execz .LBB63_39
.LBB63_42:                              ;   in Loop: Header=BB63_4 Depth=1
	v_cmp_ne_u32_e32 vcc, -1, v13
	s_andn2_b64 s[38:39], s[38:39], exec
	s_and_b64 s[44:45], vcc, exec
	s_mov_b64 s[36:37], exec
	s_or_b64 s[38:39], s[38:39], s[44:45]
	s_or_b64 exec, exec, s[40:41]
	s_and_saveexec_b64 s[40:41], s[38:39]
	s_xor_b64 s[38:39], exec, s[40:41]
	s_cbranch_execnz .LBB63_40
.LBB63_43:                              ;   in Loop: Header=BB63_4 Depth=1
	s_or_b64 exec, exec, s[38:39]
	s_and_saveexec_b64 s[38:39], s[36:37]
.LBB63_44:                              ;   in Loop: Header=BB63_4 Depth=1
	v_mov_b32_e32 v13, s42
.LBB63_45:                              ;   in Loop: Header=BB63_4 Depth=1
	s_or_b64 exec, exec, s[38:39]
	v_mov_b32_e32 v11, v13
	s_and_b64 vcc, exec, s[4:5]
	s_mov_b64 s[36:37], -1
                                        ; implicit-def: $vgpr13
	s_cbranch_vccz .LBB63_18
.LBB63_46:                              ;   in Loop: Header=BB63_4 Depth=1
	s_andn2_b64 vcc, exec, s[36:37]
	s_cbranch_vccnz .LBB63_22
.LBB63_47:                              ;   in Loop: Header=BB63_4 Depth=1
	s_waitcnt vmcnt(0)
	v_cmp_lt_i32_e32 vcc, 0, v14
	s_mov_b64 s[36:37], 0
	s_mov_b64 s[38:39], 0
	s_and_saveexec_b64 s[40:41], vcc
	s_xor_b64 s[40:41], exec, s[40:41]
	s_cbranch_execz .LBB63_51
; %bb.48:                               ;   in Loop: Header=BB63_4 Depth=1
	v_cmp_ne_u32_e32 vcc, 1, v14
	s_and_b64 s[38:39], vcc, exec
	s_andn2_saveexec_b64 s[40:41], s[40:41]
	s_cbranch_execnz .LBB63_52
.LBB63_49:                              ;   in Loop: Header=BB63_4 Depth=1
	s_or_b64 exec, exec, s[40:41]
	s_and_saveexec_b64 s[40:41], s[38:39]
	s_xor_b64 s[38:39], exec, s[40:41]
	s_cbranch_execz .LBB63_53
.LBB63_50:                              ;   in Loop: Header=BB63_4 Depth=1
	v_mov_b32_e32 v14, 0
	s_andn2_b64 s[36:37], s[36:37], exec
	s_or_b64 exec, exec, s[38:39]
	s_and_saveexec_b64 s[38:39], s[36:37]
	s_cbranch_execnz .LBB63_54
	s_branch .LBB63_55
.LBB63_51:                              ;   in Loop: Header=BB63_4 Depth=1
	s_andn2_saveexec_b64 s[40:41], s[40:41]
	s_cbranch_execz .LBB63_49
.LBB63_52:                              ;   in Loop: Header=BB63_4 Depth=1
	v_cmp_ne_u32_e32 vcc, -1, v14
	s_andn2_b64 s[38:39], s[38:39], exec
	s_and_b64 s[44:45], vcc, exec
	s_mov_b64 s[36:37], exec
	s_or_b64 s[38:39], s[38:39], s[44:45]
	s_or_b64 exec, exec, s[40:41]
	s_and_saveexec_b64 s[40:41], s[38:39]
	s_xor_b64 s[38:39], exec, s[40:41]
	s_cbranch_execnz .LBB63_50
.LBB63_53:                              ;   in Loop: Header=BB63_4 Depth=1
	s_or_b64 exec, exec, s[38:39]
	s_and_saveexec_b64 s[38:39], s[36:37]
.LBB63_54:                              ;   in Loop: Header=BB63_4 Depth=1
	v_mov_b32_e32 v14, s42
.LBB63_55:                              ;   in Loop: Header=BB63_4 Depth=1
	s_or_b64 exec, exec, s[38:39]
	v_mov_b32_e32 v13, v14
	s_and_b64 vcc, exec, s[4:5]
	s_mov_b64 s[36:37], -1
                                        ; implicit-def: $vgpr14
	s_cbranch_vccz .LBB63_23
.LBB63_56:                              ;   in Loop: Header=BB63_4 Depth=1
	s_andn2_b64 vcc, exec, s[36:37]
	s_cbranch_vccnz .LBB63_27
.LBB63_57:                              ;   in Loop: Header=BB63_4 Depth=1
	s_waitcnt vmcnt(0)
	v_cmp_lt_i32_e32 vcc, 0, v12
	s_mov_b64 s[36:37], 0
	s_mov_b64 s[38:39], 0
	s_and_saveexec_b64 s[40:41], vcc
	s_xor_b64 s[40:41], exec, s[40:41]
	s_cbranch_execz .LBB63_61
; %bb.58:                               ;   in Loop: Header=BB63_4 Depth=1
	v_cmp_ne_u32_e32 vcc, 1, v12
	s_and_b64 s[38:39], vcc, exec
	s_andn2_saveexec_b64 s[40:41], s[40:41]
	s_cbranch_execnz .LBB63_62
.LBB63_59:                              ;   in Loop: Header=BB63_4 Depth=1
	s_or_b64 exec, exec, s[40:41]
	s_and_saveexec_b64 s[40:41], s[38:39]
	s_xor_b64 s[38:39], exec, s[40:41]
	s_cbranch_execz .LBB63_63
.LBB63_60:                              ;   in Loop: Header=BB63_4 Depth=1
	v_mov_b32_e32 v12, 0
	s_andn2_b64 s[36:37], s[36:37], exec
	s_or_b64 exec, exec, s[38:39]
	s_and_saveexec_b64 s[38:39], s[36:37]
	s_cbranch_execnz .LBB63_64
	s_branch .LBB63_65
.LBB63_61:                              ;   in Loop: Header=BB63_4 Depth=1
	s_andn2_saveexec_b64 s[40:41], s[40:41]
	s_cbranch_execz .LBB63_59
.LBB63_62:                              ;   in Loop: Header=BB63_4 Depth=1
	v_cmp_ne_u32_e32 vcc, -1, v12
	s_andn2_b64 s[38:39], s[38:39], exec
	s_and_b64 s[44:45], vcc, exec
	s_mov_b64 s[36:37], exec
	s_or_b64 s[38:39], s[38:39], s[44:45]
	s_or_b64 exec, exec, s[40:41]
	s_and_saveexec_b64 s[40:41], s[38:39]
	s_xor_b64 s[38:39], exec, s[40:41]
	s_cbranch_execnz .LBB63_60
.LBB63_63:                              ;   in Loop: Header=BB63_4 Depth=1
	s_or_b64 exec, exec, s[38:39]
	s_and_saveexec_b64 s[38:39], s[36:37]
.LBB63_64:                              ;   in Loop: Header=BB63_4 Depth=1
	v_mov_b32_e32 v12, s42
.LBB63_65:                              ;   in Loop: Header=BB63_4 Depth=1
	s_or_b64 exec, exec, s[38:39]
	v_mov_b32_e32 v14, v12
	s_and_b64 vcc, exec, s[4:5]
	s_mov_b64 s[36:37], -1
                                        ; implicit-def: $vgpr12
	s_cbranch_vccz .LBB63_28
.LBB63_66:                              ;   in Loop: Header=BB63_4 Depth=1
	s_andn2_b64 vcc, exec, s[36:37]
	s_cbranch_vccnz .LBB63_32
.LBB63_67:                              ;   in Loop: Header=BB63_4 Depth=1
	s_waitcnt vmcnt(0)
	v_cmp_lt_i32_e32 vcc, 0, v10
	s_mov_b64 s[36:37], 0
	s_mov_b64 s[38:39], 0
	s_and_saveexec_b64 s[40:41], vcc
	s_xor_b64 s[40:41], exec, s[40:41]
	s_cbranch_execz .LBB63_71
; %bb.68:                               ;   in Loop: Header=BB63_4 Depth=1
	v_cmp_ne_u32_e32 vcc, 1, v10
	s_and_b64 s[38:39], vcc, exec
	s_andn2_saveexec_b64 s[40:41], s[40:41]
	s_cbranch_execnz .LBB63_72
.LBB63_69:                              ;   in Loop: Header=BB63_4 Depth=1
	s_or_b64 exec, exec, s[40:41]
	s_and_saveexec_b64 s[40:41], s[38:39]
	s_xor_b64 s[38:39], exec, s[40:41]
	s_cbranch_execz .LBB63_73
.LBB63_70:                              ;   in Loop: Header=BB63_4 Depth=1
	v_mov_b32_e32 v10, 0
	s_andn2_b64 s[36:37], s[36:37], exec
	s_or_b64 exec, exec, s[38:39]
	s_and_saveexec_b64 s[38:39], s[36:37]
	s_cbranch_execnz .LBB63_74
	s_branch .LBB63_75
.LBB63_71:                              ;   in Loop: Header=BB63_4 Depth=1
	s_andn2_saveexec_b64 s[40:41], s[40:41]
	s_cbranch_execz .LBB63_69
.LBB63_72:                              ;   in Loop: Header=BB63_4 Depth=1
	v_cmp_ne_u32_e32 vcc, -1, v10
	s_andn2_b64 s[38:39], s[38:39], exec
	s_and_b64 s[44:45], vcc, exec
	s_mov_b64 s[36:37], exec
	s_or_b64 s[38:39], s[38:39], s[44:45]
	s_or_b64 exec, exec, s[40:41]
	s_and_saveexec_b64 s[40:41], s[38:39]
	s_xor_b64 s[38:39], exec, s[40:41]
	s_cbranch_execnz .LBB63_70
.LBB63_73:                              ;   in Loop: Header=BB63_4 Depth=1
	s_or_b64 exec, exec, s[38:39]
	s_and_saveexec_b64 s[38:39], s[36:37]
.LBB63_74:                              ;   in Loop: Header=BB63_4 Depth=1
	v_mov_b32_e32 v10, s42
.LBB63_75:                              ;   in Loop: Header=BB63_4 Depth=1
	s_or_b64 exec, exec, s[38:39]
	v_mov_b32_e32 v12, v10
	s_and_saveexec_b64 s[36:37], s[6:7]
	s_xor_b64 s[6:7], exec, s[36:37]
	s_cbranch_execnz .LBB63_33
.LBB63_76:                              ;   in Loop: Header=BB63_4 Depth=1
	s_or_b64 exec, exec, s[6:7]
	s_and_saveexec_b64 s[6:7], s[8:9]
	s_cbranch_execz .LBB63_34
.LBB63_77:                              ;   in Loop: Header=BB63_4 Depth=1
	v_lshl_add_u64 v[2:3], v[4:5], 2, s[16:17]
	s_waitcnt vmcnt(0)
	global_store_dword v[2:3], v13, off
	s_or_b64 exec, exec, s[6:7]
	s_and_saveexec_b64 s[6:7], s[10:11]
	s_cbranch_execnz .LBB63_35
.LBB63_78:                              ;   in Loop: Header=BB63_4 Depth=1
	s_or_b64 exec, exec, s[6:7]
	s_and_saveexec_b64 s[6:7], s[12:13]
	s_cbranch_execz .LBB63_3
.LBB63_79:                              ;   in Loop: Header=BB63_4 Depth=1
	v_lshl_add_u64 v[2:3], v[8:9], 2, s[16:17]
	s_waitcnt vmcnt(0)
	global_store_dword v[2:3], v12, off
	s_branch .LBB63_3
.LBB63_80:
	s_mov_b64 s[2:3], 0
.LBB63_81:
	s_andn2_b64 vcc, exec, s[2:3]
	s_cbranch_vccnz .LBB63_145
; %bb.82:
	v_mov_b64_e32 v[4:5], 0x10000
	v_cmp_lt_i64_e32 vcc, s[18:19], v[4:5]
	s_and_b64 s[2:3], vcc, exec
	v_mov_b32_e32 v3, 0
	s_cselect_b32 s7, s19, 0
	s_cselect_b32 s6, s18, 0x10000
	v_lshlrev_b32_e32 v2, 2, v0
	s_mov_b32 s5, 0
	v_cmp_gt_i64_e32 vcc, s[6:7], v[2:3]
	s_and_saveexec_b64 s[2:3], vcc
	s_cbranch_execz .LBB63_145
; %bb.83:
	s_load_dword s2, s[0:1], 0xc5c
	s_cmp_gt_i32 s33, -1
	s_cselect_b64 s[8:9], -1, 0
	s_cmp_lg_u32 s33, 0
	s_cselect_b64 s[0:1], -1, 0
	v_mov_b32_e32 v1, v3
	s_bitcmp0_b32 s33, 0
	v_cndmask_b32_e64 v2, 0, 1, s[0:1]
	v_cndmask_b32_e64 v3, 0, 1, s[8:9]
	s_cselect_b32 s22, 1, -1
	s_waitcnt lgkmcnt(0)
	s_and_b32 s4, s2, 0xffff
	s_mov_b64 s[10:11], 0
	v_cmp_ne_u32_e64 s[0:1], 1, v3
	v_cmp_ne_u32_e64 s[2:3], 1, v2
	s_branch .LBB63_86
.LBB63_84:                              ;   in Loop: Header=BB63_86 Depth=1
	s_or_b64 exec, exec, s[18:19]
	v_mov_b32_e32 v9, v5
.LBB63_85:                              ;   in Loop: Header=BB63_86 Depth=1
	s_waitcnt vmcnt(0)
	v_lshl_add_u64 v[2:3], v[0:1], 4, s[16:17]
	v_lshl_add_u64 v[0:1], v[0:1], 0, s[4:5]
	v_lshlrev_b64 v[4:5], 2, v[0:1]
	v_cmp_le_i64_e32 vcc, s[6:7], v[4:5]
	s_or_b64 s[10:11], vcc, s[10:11]
	global_store_dwordx4 v[2:3], v[6:9], off
	s_andn2_b64 exec, exec, s[10:11]
	s_cbranch_execz .LBB63_145
.LBB63_86:                              ; =>This Loop Header: Depth=1
                                        ;     Child Loop BB63_89 Depth 2
                                        ;     Child Loop BB63_94 Depth 2
	;; [unrolled: 1-line block ×4, first 2 shown]
	v_lshl_add_u64 v[2:3], v[0:1], 4, s[14:15]
	global_load_dwordx4 v[2:5], v[2:3], off
	s_mov_b64 s[12:13], -1
	s_and_b64 vcc, exec, s[8:9]
                                        ; implicit-def: $vgpr6
	s_cbranch_vccz .LBB63_106
; %bb.87:                               ;   in Loop: Header=BB63_86 Depth=1
	v_mov_b32_e32 v6, 1
	s_and_b64 vcc, exec, s[2:3]
	s_cbranch_vccnz .LBB63_90
; %bb.88:                               ;   in Loop: Header=BB63_86 Depth=1
	s_mov_b32 s12, s33
	s_waitcnt vmcnt(0)
	v_mov_b32_e32 v7, v2
.LBB63_89:                              ;   Parent Loop BB63_86 Depth=1
                                        ; =>  This Inner Loop Header: Depth=2
	s_bitcmp1_b32 s12, 0
	s_cselect_b64 vcc, -1, 0
	v_cndmask_b32_e32 v8, 1, v7, vcc
	s_lshr_b32 s13, s12, 1
	v_mul_lo_u32 v6, v8, v6
	v_mul_lo_u32 v7, v7, v7
	s_cmp_gt_u32 s12, 1
	s_mov_b32 s12, s13
	s_cbranch_scc1 .LBB63_89
.LBB63_90:                              ;   in Loop: Header=BB63_86 Depth=1
	s_cbranch_execz .LBB63_107
.LBB63_91:                              ;   in Loop: Header=BB63_86 Depth=1
	s_and_b64 vcc, exec, s[0:1]
	s_mov_b64 s[12:13], -1
	s_cbranch_vccnz .LBB63_116
.LBB63_92:                              ;   in Loop: Header=BB63_86 Depth=1
	v_mov_b32_e32 v7, 1
	s_and_b64 vcc, exec, s[2:3]
	s_cbranch_vccnz .LBB63_95
; %bb.93:                               ;   in Loop: Header=BB63_86 Depth=1
	s_mov_b32 s12, s33
	s_waitcnt vmcnt(0)
	v_mov_b32_e32 v2, v3
.LBB63_94:                              ;   Parent Loop BB63_86 Depth=1
                                        ; =>  This Inner Loop Header: Depth=2
	s_bitcmp1_b32 s12, 0
	s_cselect_b64 vcc, -1, 0
	v_cndmask_b32_e32 v8, 1, v2, vcc
	s_lshr_b32 s13, s12, 1
	v_mul_lo_u32 v7, v8, v7
	v_mul_lo_u32 v2, v2, v2
	s_cmp_lt_u32 s12, 2
	s_mov_b32 s12, s13
	s_cbranch_scc0 .LBB63_94
.LBB63_95:                              ;   in Loop: Header=BB63_86 Depth=1
	s_cbranch_execz .LBB63_117
.LBB63_96:                              ;   in Loop: Header=BB63_86 Depth=1
	s_and_b64 vcc, exec, s[0:1]
	s_mov_b64 s[12:13], -1
	s_cbranch_vccnz .LBB63_126
.LBB63_97:                              ;   in Loop: Header=BB63_86 Depth=1
	v_mov_b32_e32 v8, 1
	s_and_b64 vcc, exec, s[2:3]
	s_cbranch_vccnz .LBB63_100
; %bb.98:                               ;   in Loop: Header=BB63_86 Depth=1
	s_mov_b32 s12, s33
	s_waitcnt vmcnt(0)
	v_mov_b32_e32 v2, v4
.LBB63_99:                              ;   Parent Loop BB63_86 Depth=1
                                        ; =>  This Inner Loop Header: Depth=2
	s_bitcmp1_b32 s12, 0
	s_cselect_b64 vcc, -1, 0
	v_cndmask_b32_e32 v3, 1, v2, vcc
	s_lshr_b32 s13, s12, 1
	v_mul_lo_u32 v8, v3, v8
	v_mul_lo_u32 v2, v2, v2
	s_cmp_lt_u32 s12, 2
	s_mov_b32 s12, s13
	s_cbranch_scc0 .LBB63_99
.LBB63_100:                             ;   in Loop: Header=BB63_86 Depth=1
	s_cbranch_execz .LBB63_127
.LBB63_101:                             ;   in Loop: Header=BB63_86 Depth=1
	s_and_b64 vcc, exec, s[0:1]
	s_mov_b64 s[12:13], -1
	s_cbranch_vccnz .LBB63_136
.LBB63_102:                             ;   in Loop: Header=BB63_86 Depth=1
	v_mov_b32_e32 v9, 1
	s_and_b64 vcc, exec, s[2:3]
	s_cbranch_vccnz .LBB63_105
; %bb.103:                              ;   in Loop: Header=BB63_86 Depth=1
	s_mov_b32 s12, s33
	s_waitcnt vmcnt(0)
	v_mov_b32_e32 v2, v5
.LBB63_104:                             ;   Parent Loop BB63_86 Depth=1
                                        ; =>  This Inner Loop Header: Depth=2
	s_bitcmp1_b32 s12, 0
	s_cselect_b64 vcc, -1, 0
	v_cndmask_b32_e32 v3, 1, v2, vcc
	s_lshr_b32 s13, s12, 1
	v_mul_lo_u32 v9, v3, v9
	v_mul_lo_u32 v2, v2, v2
	s_cmp_lt_u32 s12, 2
	s_mov_b32 s12, s13
	s_cbranch_scc0 .LBB63_104
.LBB63_105:                             ;   in Loop: Header=BB63_86 Depth=1
	s_cbranch_execnz .LBB63_85
	s_branch .LBB63_137
.LBB63_106:                             ;   in Loop: Header=BB63_86 Depth=1
	s_andn2_b64 vcc, exec, s[12:13]
	s_cbranch_vccnz .LBB63_91
.LBB63_107:                             ;   in Loop: Header=BB63_86 Depth=1
	s_waitcnt vmcnt(0)
	v_cmp_lt_i32_e32 vcc, 0, v2
	s_mov_b64 s[12:13], 0
	s_mov_b64 s[18:19], 0
	s_and_saveexec_b64 s[20:21], vcc
	s_xor_b64 s[20:21], exec, s[20:21]
; %bb.108:                              ;   in Loop: Header=BB63_86 Depth=1
	v_cmp_ne_u32_e32 vcc, 1, v2
	s_and_b64 s[18:19], vcc, exec
; %bb.109:                              ;   in Loop: Header=BB63_86 Depth=1
	s_andn2_saveexec_b64 s[20:21], s[20:21]
; %bb.110:                              ;   in Loop: Header=BB63_86 Depth=1
	v_cmp_ne_u32_e32 vcc, -1, v2
	s_andn2_b64 s[18:19], s[18:19], exec
	s_and_b64 s[24:25], vcc, exec
	s_mov_b64 s[12:13], exec
	s_or_b64 s[18:19], s[18:19], s[24:25]
; %bb.111:                              ;   in Loop: Header=BB63_86 Depth=1
	s_or_b64 exec, exec, s[20:21]
	v_mov_b32_e32 v6, v2
	s_and_saveexec_b64 s[20:21], s[18:19]
	s_xor_b64 s[18:19], exec, s[20:21]
; %bb.112:                              ;   in Loop: Header=BB63_86 Depth=1
	v_mov_b32_e32 v6, 0
	s_andn2_b64 s[12:13], s[12:13], exec
; %bb.113:                              ;   in Loop: Header=BB63_86 Depth=1
	s_or_b64 exec, exec, s[18:19]
	s_and_saveexec_b64 s[18:19], s[12:13]
; %bb.114:                              ;   in Loop: Header=BB63_86 Depth=1
	v_mov_b32_e32 v6, s22
; %bb.115:                              ;   in Loop: Header=BB63_86 Depth=1
	s_or_b64 exec, exec, s[18:19]
	s_and_b64 vcc, exec, s[0:1]
	s_mov_b64 s[12:13], -1
	s_cbranch_vccz .LBB63_92
.LBB63_116:                             ;   in Loop: Header=BB63_86 Depth=1
	s_andn2_b64 vcc, exec, s[12:13]
	s_cbranch_vccnz .LBB63_96
.LBB63_117:                             ;   in Loop: Header=BB63_86 Depth=1
	s_waitcnt vmcnt(0)
	v_cmp_lt_i32_e32 vcc, 0, v3
	s_mov_b64 s[12:13], 0
	s_mov_b64 s[18:19], 0
	s_and_saveexec_b64 s[20:21], vcc
	s_xor_b64 s[20:21], exec, s[20:21]
	s_cbranch_execz .LBB63_121
; %bb.118:                              ;   in Loop: Header=BB63_86 Depth=1
	v_cmp_ne_u32_e32 vcc, 1, v3
	s_and_b64 s[18:19], vcc, exec
	s_andn2_saveexec_b64 s[20:21], s[20:21]
	s_cbranch_execnz .LBB63_122
.LBB63_119:                             ;   in Loop: Header=BB63_86 Depth=1
	s_or_b64 exec, exec, s[20:21]
	s_and_saveexec_b64 s[20:21], s[18:19]
	s_xor_b64 s[18:19], exec, s[20:21]
	s_cbranch_execz .LBB63_123
.LBB63_120:                             ;   in Loop: Header=BB63_86 Depth=1
	v_mov_b32_e32 v3, 0
	s_andn2_b64 s[12:13], s[12:13], exec
	s_or_b64 exec, exec, s[18:19]
	s_and_saveexec_b64 s[18:19], s[12:13]
	s_cbranch_execnz .LBB63_124
	s_branch .LBB63_125
.LBB63_121:                             ;   in Loop: Header=BB63_86 Depth=1
	s_andn2_saveexec_b64 s[20:21], s[20:21]
	s_cbranch_execz .LBB63_119
.LBB63_122:                             ;   in Loop: Header=BB63_86 Depth=1
	v_cmp_ne_u32_e32 vcc, -1, v3
	s_andn2_b64 s[18:19], s[18:19], exec
	s_and_b64 s[24:25], vcc, exec
	s_mov_b64 s[12:13], exec
	s_or_b64 s[18:19], s[18:19], s[24:25]
	s_or_b64 exec, exec, s[20:21]
	s_and_saveexec_b64 s[20:21], s[18:19]
	s_xor_b64 s[18:19], exec, s[20:21]
	s_cbranch_execnz .LBB63_120
.LBB63_123:                             ;   in Loop: Header=BB63_86 Depth=1
	s_or_b64 exec, exec, s[18:19]
	s_and_saveexec_b64 s[18:19], s[12:13]
.LBB63_124:                             ;   in Loop: Header=BB63_86 Depth=1
	v_mov_b32_e32 v3, s22
.LBB63_125:                             ;   in Loop: Header=BB63_86 Depth=1
	s_or_b64 exec, exec, s[18:19]
	v_mov_b32_e32 v7, v3
	s_and_b64 vcc, exec, s[0:1]
	s_mov_b64 s[12:13], -1
	s_cbranch_vccz .LBB63_97
.LBB63_126:                             ;   in Loop: Header=BB63_86 Depth=1
	s_andn2_b64 vcc, exec, s[12:13]
	s_cbranch_vccnz .LBB63_101
.LBB63_127:                             ;   in Loop: Header=BB63_86 Depth=1
	s_waitcnt vmcnt(0)
	v_cmp_lt_i32_e32 vcc, 0, v4
	s_mov_b64 s[12:13], 0
	s_mov_b64 s[18:19], 0
	s_and_saveexec_b64 s[20:21], vcc
	s_xor_b64 s[20:21], exec, s[20:21]
	s_cbranch_execz .LBB63_131
; %bb.128:                              ;   in Loop: Header=BB63_86 Depth=1
	v_cmp_ne_u32_e32 vcc, 1, v4
	s_and_b64 s[18:19], vcc, exec
	s_andn2_saveexec_b64 s[20:21], s[20:21]
	s_cbranch_execnz .LBB63_132
.LBB63_129:                             ;   in Loop: Header=BB63_86 Depth=1
	s_or_b64 exec, exec, s[20:21]
	s_and_saveexec_b64 s[20:21], s[18:19]
	s_xor_b64 s[18:19], exec, s[20:21]
	s_cbranch_execz .LBB63_133
.LBB63_130:                             ;   in Loop: Header=BB63_86 Depth=1
	v_mov_b32_e32 v4, 0
	s_andn2_b64 s[12:13], s[12:13], exec
	s_or_b64 exec, exec, s[18:19]
	s_and_saveexec_b64 s[18:19], s[12:13]
	s_cbranch_execnz .LBB63_134
	s_branch .LBB63_135
.LBB63_131:                             ;   in Loop: Header=BB63_86 Depth=1
	s_andn2_saveexec_b64 s[20:21], s[20:21]
	s_cbranch_execz .LBB63_129
.LBB63_132:                             ;   in Loop: Header=BB63_86 Depth=1
	v_cmp_ne_u32_e32 vcc, -1, v4
	s_andn2_b64 s[18:19], s[18:19], exec
	s_and_b64 s[24:25], vcc, exec
	s_mov_b64 s[12:13], exec
	s_or_b64 s[18:19], s[18:19], s[24:25]
	s_or_b64 exec, exec, s[20:21]
	s_and_saveexec_b64 s[20:21], s[18:19]
	s_xor_b64 s[18:19], exec, s[20:21]
	s_cbranch_execnz .LBB63_130
.LBB63_133:                             ;   in Loop: Header=BB63_86 Depth=1
	s_or_b64 exec, exec, s[18:19]
	s_and_saveexec_b64 s[18:19], s[12:13]
.LBB63_134:                             ;   in Loop: Header=BB63_86 Depth=1
	v_mov_b32_e32 v4, s22
.LBB63_135:                             ;   in Loop: Header=BB63_86 Depth=1
	s_or_b64 exec, exec, s[18:19]
	v_mov_b32_e32 v8, v4
	s_and_b64 vcc, exec, s[0:1]
	s_mov_b64 s[12:13], -1
	s_cbranch_vccz .LBB63_102
.LBB63_136:                             ;   in Loop: Header=BB63_86 Depth=1
	s_andn2_b64 vcc, exec, s[12:13]
	s_cbranch_vccnz .LBB63_85
.LBB63_137:                             ;   in Loop: Header=BB63_86 Depth=1
	s_waitcnt vmcnt(0)
	v_cmp_lt_i32_e32 vcc, 0, v5
	s_mov_b64 s[12:13], 0
	s_mov_b64 s[18:19], 0
	s_and_saveexec_b64 s[20:21], vcc
	s_xor_b64 s[20:21], exec, s[20:21]
	s_cbranch_execz .LBB63_141
; %bb.138:                              ;   in Loop: Header=BB63_86 Depth=1
	v_cmp_ne_u32_e32 vcc, 1, v5
	s_and_b64 s[18:19], vcc, exec
	s_andn2_saveexec_b64 s[20:21], s[20:21]
	s_cbranch_execnz .LBB63_142
.LBB63_139:                             ;   in Loop: Header=BB63_86 Depth=1
	s_or_b64 exec, exec, s[20:21]
	s_and_saveexec_b64 s[20:21], s[18:19]
	s_xor_b64 s[18:19], exec, s[20:21]
	s_cbranch_execz .LBB63_143
.LBB63_140:                             ;   in Loop: Header=BB63_86 Depth=1
	v_mov_b32_e32 v5, 0
	s_andn2_b64 s[12:13], s[12:13], exec
	s_or_b64 exec, exec, s[18:19]
	s_and_saveexec_b64 s[18:19], s[12:13]
	s_cbranch_execz .LBB63_84
	s_branch .LBB63_144
.LBB63_141:                             ;   in Loop: Header=BB63_86 Depth=1
	s_andn2_saveexec_b64 s[20:21], s[20:21]
	s_cbranch_execz .LBB63_139
.LBB63_142:                             ;   in Loop: Header=BB63_86 Depth=1
	v_cmp_ne_u32_e32 vcc, -1, v5
	s_andn2_b64 s[18:19], s[18:19], exec
	s_and_b64 s[24:25], vcc, exec
	s_mov_b64 s[12:13], exec
	s_or_b64 s[18:19], s[18:19], s[24:25]
	s_or_b64 exec, exec, s[20:21]
	s_and_saveexec_b64 s[20:21], s[18:19]
	s_xor_b64 s[18:19], exec, s[20:21]
	s_cbranch_execnz .LBB63_140
.LBB63_143:                             ;   in Loop: Header=BB63_86 Depth=1
	s_or_b64 exec, exec, s[18:19]
	s_and_saveexec_b64 s[18:19], s[12:13]
	s_cbranch_execz .LBB63_84
.LBB63_144:                             ;   in Loop: Header=BB63_86 Depth=1
	v_mov_b32_e32 v5, s22
	s_branch .LBB63_84
.LBB63_145:
	s_endpgm
	.section	.rodata,"a",@progbits
	.p2align	6, 0x0
	.amdhsa_kernel _ZN2at6native12_GLOBAL__N_125multi_tensor_apply_kernelINS1_18TensorListMetadataILi2EEENS1_21BinaryOpScalarFunctorIiLi2ELi1ELi1EEEJNS1_13power_functorIiEEiEEEvT_T0_DpT1_
		.amdhsa_group_segment_fixed_size 0
		.amdhsa_private_segment_fixed_size 0
		.amdhsa_kernarg_size 3408
		.amdhsa_user_sgpr_count 2
		.amdhsa_user_sgpr_dispatch_ptr 0
		.amdhsa_user_sgpr_queue_ptr 0
		.amdhsa_user_sgpr_kernarg_segment_ptr 1
		.amdhsa_user_sgpr_dispatch_id 0
		.amdhsa_user_sgpr_kernarg_preload_length 0
		.amdhsa_user_sgpr_kernarg_preload_offset 0
		.amdhsa_user_sgpr_private_segment_size 0
		.amdhsa_uses_dynamic_stack 0
		.amdhsa_enable_private_segment 0
		.amdhsa_system_sgpr_workgroup_id_x 1
		.amdhsa_system_sgpr_workgroup_id_y 0
		.amdhsa_system_sgpr_workgroup_id_z 0
		.amdhsa_system_sgpr_workgroup_info 0
		.amdhsa_system_vgpr_workitem_id 0
		.amdhsa_next_free_vgpr 17
		.amdhsa_next_free_sgpr 46
		.amdhsa_accum_offset 20
		.amdhsa_reserve_vcc 1
		.amdhsa_float_round_mode_32 0
		.amdhsa_float_round_mode_16_64 0
		.amdhsa_float_denorm_mode_32 3
		.amdhsa_float_denorm_mode_16_64 3
		.amdhsa_dx10_clamp 1
		.amdhsa_ieee_mode 1
		.amdhsa_fp16_overflow 0
		.amdhsa_tg_split 0
		.amdhsa_exception_fp_ieee_invalid_op 0
		.amdhsa_exception_fp_denorm_src 0
		.amdhsa_exception_fp_ieee_div_zero 0
		.amdhsa_exception_fp_ieee_overflow 0
		.amdhsa_exception_fp_ieee_underflow 0
		.amdhsa_exception_fp_ieee_inexact 0
		.amdhsa_exception_int_div_zero 0
	.end_amdhsa_kernel
	.section	.text._ZN2at6native12_GLOBAL__N_125multi_tensor_apply_kernelINS1_18TensorListMetadataILi2EEENS1_21BinaryOpScalarFunctorIiLi2ELi1ELi1EEEJNS1_13power_functorIiEEiEEEvT_T0_DpT1_,"axG",@progbits,_ZN2at6native12_GLOBAL__N_125multi_tensor_apply_kernelINS1_18TensorListMetadataILi2EEENS1_21BinaryOpScalarFunctorIiLi2ELi1ELi1EEEJNS1_13power_functorIiEEiEEEvT_T0_DpT1_,comdat
.Lfunc_end63:
	.size	_ZN2at6native12_GLOBAL__N_125multi_tensor_apply_kernelINS1_18TensorListMetadataILi2EEENS1_21BinaryOpScalarFunctorIiLi2ELi1ELi1EEEJNS1_13power_functorIiEEiEEEvT_T0_DpT1_, .Lfunc_end63-_ZN2at6native12_GLOBAL__N_125multi_tensor_apply_kernelINS1_18TensorListMetadataILi2EEENS1_21BinaryOpScalarFunctorIiLi2ELi1ELi1EEEJNS1_13power_functorIiEEiEEEvT_T0_DpT1_
                                        ; -- End function
	.set _ZN2at6native12_GLOBAL__N_125multi_tensor_apply_kernelINS1_18TensorListMetadataILi2EEENS1_21BinaryOpScalarFunctorIiLi2ELi1ELi1EEEJNS1_13power_functorIiEEiEEEvT_T0_DpT1_.num_vgpr, 17
	.set _ZN2at6native12_GLOBAL__N_125multi_tensor_apply_kernelINS1_18TensorListMetadataILi2EEENS1_21BinaryOpScalarFunctorIiLi2ELi1ELi1EEEJNS1_13power_functorIiEEiEEEvT_T0_DpT1_.num_agpr, 0
	.set _ZN2at6native12_GLOBAL__N_125multi_tensor_apply_kernelINS1_18TensorListMetadataILi2EEENS1_21BinaryOpScalarFunctorIiLi2ELi1ELi1EEEJNS1_13power_functorIiEEiEEEvT_T0_DpT1_.numbered_sgpr, 46
	.set _ZN2at6native12_GLOBAL__N_125multi_tensor_apply_kernelINS1_18TensorListMetadataILi2EEENS1_21BinaryOpScalarFunctorIiLi2ELi1ELi1EEEJNS1_13power_functorIiEEiEEEvT_T0_DpT1_.num_named_barrier, 0
	.set _ZN2at6native12_GLOBAL__N_125multi_tensor_apply_kernelINS1_18TensorListMetadataILi2EEENS1_21BinaryOpScalarFunctorIiLi2ELi1ELi1EEEJNS1_13power_functorIiEEiEEEvT_T0_DpT1_.private_seg_size, 0
	.set _ZN2at6native12_GLOBAL__N_125multi_tensor_apply_kernelINS1_18TensorListMetadataILi2EEENS1_21BinaryOpScalarFunctorIiLi2ELi1ELi1EEEJNS1_13power_functorIiEEiEEEvT_T0_DpT1_.uses_vcc, 1
	.set _ZN2at6native12_GLOBAL__N_125multi_tensor_apply_kernelINS1_18TensorListMetadataILi2EEENS1_21BinaryOpScalarFunctorIiLi2ELi1ELi1EEEJNS1_13power_functorIiEEiEEEvT_T0_DpT1_.uses_flat_scratch, 0
	.set _ZN2at6native12_GLOBAL__N_125multi_tensor_apply_kernelINS1_18TensorListMetadataILi2EEENS1_21BinaryOpScalarFunctorIiLi2ELi1ELi1EEEJNS1_13power_functorIiEEiEEEvT_T0_DpT1_.has_dyn_sized_stack, 0
	.set _ZN2at6native12_GLOBAL__N_125multi_tensor_apply_kernelINS1_18TensorListMetadataILi2EEENS1_21BinaryOpScalarFunctorIiLi2ELi1ELi1EEEJNS1_13power_functorIiEEiEEEvT_T0_DpT1_.has_recursion, 0
	.set _ZN2at6native12_GLOBAL__N_125multi_tensor_apply_kernelINS1_18TensorListMetadataILi2EEENS1_21BinaryOpScalarFunctorIiLi2ELi1ELi1EEEJNS1_13power_functorIiEEiEEEvT_T0_DpT1_.has_indirect_call, 0
	.section	.AMDGPU.csdata,"",@progbits
; Kernel info:
; codeLenInByte = 2928
; TotalNumSgprs: 52
; NumVgprs: 17
; NumAgprs: 0
; TotalNumVgprs: 17
; ScratchSize: 0
; MemoryBound: 1
; FloatMode: 240
; IeeeMode: 1
; LDSByteSize: 0 bytes/workgroup (compile time only)
; SGPRBlocks: 6
; VGPRBlocks: 2
; NumSGPRsForWavesPerEU: 52
; NumVGPRsForWavesPerEU: 17
; AccumOffset: 20
; Occupancy: 8
; WaveLimiterHint : 0
; COMPUTE_PGM_RSRC2:SCRATCH_EN: 0
; COMPUTE_PGM_RSRC2:USER_SGPR: 2
; COMPUTE_PGM_RSRC2:TRAP_HANDLER: 0
; COMPUTE_PGM_RSRC2:TGID_X_EN: 1
; COMPUTE_PGM_RSRC2:TGID_Y_EN: 0
; COMPUTE_PGM_RSRC2:TGID_Z_EN: 0
; COMPUTE_PGM_RSRC2:TIDIG_COMP_CNT: 0
; COMPUTE_PGM_RSRC3_GFX90A:ACCUM_OFFSET: 4
; COMPUTE_PGM_RSRC3_GFX90A:TG_SPLIT: 0
	.section	.text._ZN2at6native12_GLOBAL__N_125multi_tensor_apply_kernelINS1_18TensorListMetadataILi2EEENS1_21BinaryOpScalarFunctorIlLi2ELi1ELi1EEEJNS1_13power_functorIlEElEEEvT_T0_DpT1_,"axG",@progbits,_ZN2at6native12_GLOBAL__N_125multi_tensor_apply_kernelINS1_18TensorListMetadataILi2EEENS1_21BinaryOpScalarFunctorIlLi2ELi1ELi1EEEJNS1_13power_functorIlEElEEEvT_T0_DpT1_,comdat
	.globl	_ZN2at6native12_GLOBAL__N_125multi_tensor_apply_kernelINS1_18TensorListMetadataILi2EEENS1_21BinaryOpScalarFunctorIlLi2ELi1ELi1EEEJNS1_13power_functorIlEElEEEvT_T0_DpT1_ ; -- Begin function _ZN2at6native12_GLOBAL__N_125multi_tensor_apply_kernelINS1_18TensorListMetadataILi2EEENS1_21BinaryOpScalarFunctorIlLi2ELi1ELi1EEEJNS1_13power_functorIlEElEEEvT_T0_DpT1_
	.p2align	8
	.type	_ZN2at6native12_GLOBAL__N_125multi_tensor_apply_kernelINS1_18TensorListMetadataILi2EEENS1_21BinaryOpScalarFunctorIlLi2ELi1ELi1EEEJNS1_13power_functorIlEElEEEvT_T0_DpT1_,@function
_ZN2at6native12_GLOBAL__N_125multi_tensor_apply_kernelINS1_18TensorListMetadataILi2EEENS1_21BinaryOpScalarFunctorIlLi2ELi1ELi1EEEJNS1_13power_functorIlEElEEEvT_T0_DpT1_: ; @_ZN2at6native12_GLOBAL__N_125multi_tensor_apply_kernelINS1_18TensorListMetadataILi2EEENS1_21BinaryOpScalarFunctorIlLi2ELi1ELi1EEEJNS1_13power_functorIlEElEEEvT_T0_DpT1_
; %bb.0:
	v_mov_b32_e32 v1, s2
	global_load_ubyte v1, v1, s[0:1] offset:1536
	s_add_u32 s3, s0, s2
	s_mul_hi_u32 s4, s2, 3
	s_mul_i32 s2, s2, 3
	s_addc_u32 s5, s1, 0
	s_add_u32 s2, s3, s2
	s_addc_u32 s3, s5, s4
	s_load_dword s2, s[2:3], 0x740
	s_mov_b32 s5, 0
	s_mov_b32 s7, s5
	s_waitcnt lgkmcnt(0)
	s_ashr_i32 s3, s2, 31
	s_lshl_b64 s[14:15], s[2:3], 19
	s_waitcnt vmcnt(0)
	v_readfirstlane_b32 s4, v1
	s_lshl_b32 s4, s4, 3
	s_load_dwordx2 s[8:9], s[0:1], s4 offset:0x0
	s_load_dwordx2 s[16:17], s[0:1], 0xc50
	s_load_dwordx2 s[10:11], s[0:1], s4 offset:0x400
	s_load_dwordx2 s[12:13], s[0:1], s4 offset:0x200
	s_waitcnt lgkmcnt(0)
	s_add_u32 s18, s8, s14
	s_addc_u32 s19, s9, s15
	s_and_b32 s4, s18, 31
	s_add_u32 s20, s12, s14
	s_addc_u32 s21, s13, s15
	s_and_b32 s6, s20, 31
	s_lshl_b64 s[2:3], s[2:3], 16
	s_sub_u32 s22, s10, s2
	s_subb_u32 s23, s11, s3
	s_and_b32 s2, s10, 3
	s_mov_b32 s3, s5
	s_or_b64 s[2:3], s[6:7], s[2:3]
	s_or_b64 s[2:3], s[2:3], s[4:5]
	s_cmp_eq_u64 s[2:3], 0
	s_mov_b64 s[2:3], -1
	s_cbranch_scc1 .LBB64_81
; %bb.1:
	v_cmp_lt_i64_e64 s[2:3], s[22:23], 1
	s_and_b64 vcc, exec, s[2:3]
	s_cbranch_vccnz .LBB64_80
; %bb.2:
	s_load_dword s4, s[0:1], 0xc64
	v_mov_b64_e32 v[2:3], 0x10000
	v_cmp_lt_i64_e32 vcc, s[22:23], v[2:3]
	s_and_b64 s[2:3], vcc, exec
	s_cselect_b32 s27, s23, 0
	s_cselect_b32 s26, s22, 0x10000
	s_waitcnt lgkmcnt(0)
	s_and_b32 s24, s4, 0xffff
	v_cmp_lt_u64_e32 vcc, s[22:23], v[2:3]
	s_and_b64 s[2:3], vcc, exec
	s_cselect_b32 s29, s23, 0
	s_cselect_b32 s28, s22, 0x10000
	s_lshl_b32 s30, s24, 1
	s_mov_b32 s25, 0
	s_cmp_lg_u64 s[16:17], 0
	s_cselect_b64 s[2:3], -1, 0
	s_and_b32 s4, s16, 1
	s_mov_b32 s5, s25
	s_cmp_eq_u64 s[4:5], 0
	v_cndmask_b32_e64 v2, 0, 1, s[2:3]
	v_mov_b32_e32 v1, 0
	s_mov_b32 s31, s25
	s_mul_i32 s34, s24, 3
	s_mov_b32 s35, s25
	v_cmp_gt_i64_e64 s[36:37], s[16:17], -1
	s_mov_b64 s[38:39], 0
	s_cselect_b32 s41, 0, -1
	s_cselect_b32 s40, 1, -1
	s_lshl_b32 s33, s24, 2
	v_cmp_ne_u32_e64 s[2:3], 1, v2
	s_branch .LBB64_4
.LBB64_3:                               ;   in Loop: Header=BB64_4 Depth=1
	s_or_b64 exec, exec, s[4:5]
	s_add_u32 s38, s38, s33
	s_addc_u32 s39, s39, 0
	v_mov_b64_e32 v[2:3], s[26:27]
	v_cmp_ge_i64_e32 vcc, s[38:39], v[2:3]
	s_cbranch_vccnz .LBB64_80
.LBB64_4:                               ; =>This Loop Header: Depth=1
                                        ;     Child Loop BB64_15 Depth 2
                                        ;     Child Loop BB64_30 Depth 2
	;; [unrolled: 1-line block ×4, first 2 shown]
	v_lshl_add_u64 v[2:3], s[38:39], 0, v[0:1]
	v_cmp_gt_u64_e64 s[4:5], s[28:29], v[2:3]
	v_mov_b64_e32 v[18:19], 0
	v_mov_b64_e32 v[16:17], 0
	s_and_saveexec_b64 s[6:7], s[4:5]
	s_cbranch_execz .LBB64_6
; %bb.5:                                ;   in Loop: Header=BB64_4 Depth=1
	v_lshl_add_u64 v[4:5], v[2:3], 3, s[18:19]
	global_load_dwordx2 v[16:17], v[4:5], off
.LBB64_6:                               ;   in Loop: Header=BB64_4 Depth=1
	s_or_b64 exec, exec, s[6:7]
	v_lshl_add_u64 v[4:5], v[2:3], 0, s[24:25]
	v_cmp_gt_u64_e64 s[6:7], s[28:29], v[4:5]
	s_and_saveexec_b64 s[8:9], s[6:7]
	s_cbranch_execz .LBB64_8
; %bb.7:                                ;   in Loop: Header=BB64_4 Depth=1
	v_lshl_add_u64 v[6:7], v[4:5], 3, s[18:19]
	global_load_dwordx2 v[18:19], v[6:7], off
.LBB64_8:                               ;   in Loop: Header=BB64_4 Depth=1
	s_or_b64 exec, exec, s[8:9]
	v_lshl_add_u64 v[6:7], v[2:3], 0, s[30:31]
	v_cmp_gt_u64_e64 s[8:9], s[28:29], v[6:7]
	v_mov_b64_e32 v[10:11], 0
	v_mov_b64_e32 v[14:15], 0
	s_and_saveexec_b64 s[10:11], s[8:9]
	s_cbranch_execz .LBB64_10
; %bb.9:                                ;   in Loop: Header=BB64_4 Depth=1
	v_lshl_add_u64 v[8:9], v[6:7], 3, s[18:19]
	global_load_dwordx2 v[14:15], v[8:9], off
.LBB64_10:                              ;   in Loop: Header=BB64_4 Depth=1
	s_or_b64 exec, exec, s[10:11]
	v_lshl_add_u64 v[8:9], v[2:3], 0, s[34:35]
	v_cmp_gt_u64_e64 s[10:11], s[28:29], v[8:9]
	s_and_saveexec_b64 s[12:13], s[10:11]
	s_cbranch_execz .LBB64_12
; %bb.11:                               ;   in Loop: Header=BB64_4 Depth=1
	v_lshl_add_u64 v[10:11], v[8:9], 3, s[18:19]
	global_load_dwordx2 v[10:11], v[10:11], off
.LBB64_12:                              ;   in Loop: Header=BB64_4 Depth=1
	s_or_b64 exec, exec, s[12:13]
	s_mov_b64 s[12:13], -1
	s_and_b64 vcc, exec, s[36:37]
                                        ; implicit-def: $vgpr12_vgpr13
	s_cbranch_vccz .LBB64_17
; %bb.13:                               ;   in Loop: Header=BB64_4 Depth=1
	v_mov_b64_e32 v[12:13], 1
	s_and_b64 vcc, exec, s[2:3]
	s_cbranch_vccnz .LBB64_16
; %bb.14:                               ;   in Loop: Header=BB64_4 Depth=1
	s_mov_b64 s[14:15], s[16:17]
	s_waitcnt vmcnt(0)
	v_mov_b64_e32 v[20:21], v[16:17]
.LBB64_15:                              ;   Parent Loop BB64_4 Depth=1
                                        ; =>  This Inner Loop Header: Depth=2
	s_bitcmp1_b32 s14, 0
	s_cselect_b64 vcc, -1, 0
	v_cmp_gt_u64_e64 s[12:13], s[14:15], 1
	v_cndmask_b32_e32 v23, 1, v20, vcc
	v_cndmask_b32_e32 v24, 0, v21, vcc
	v_mul_lo_u32 v22, v20, v21
	s_and_b64 s[12:13], exec, s[12:13]
	v_mul_lo_u32 v25, v23, v13
	v_mad_u64_u32 v[20:21], s[42:43], v20, v20, 0
	v_mul_lo_u32 v24, v24, v12
	v_mad_u64_u32 v[12:13], s[42:43], v23, v12, 0
	s_lshr_b64 s[14:15], s[14:15], 1
	v_add3_u32 v21, v21, v22, v22
	v_add3_u32 v13, v13, v25, v24
	s_mov_b64 vcc, s[12:13]
	s_cbranch_vccnz .LBB64_15
.LBB64_16:                              ;   in Loop: Header=BB64_4 Depth=1
	s_cbranch_execnz .LBB64_27
	s_branch .LBB64_18
.LBB64_17:                              ;   in Loop: Header=BB64_4 Depth=1
	s_andn2_b64 vcc, exec, s[12:13]
	s_cbranch_vccnz .LBB64_27
.LBB64_18:                              ;   in Loop: Header=BB64_4 Depth=1
	s_waitcnt vmcnt(0)
	v_cmp_lt_i64_e32 vcc, 0, v[16:17]
	s_mov_b64 s[12:13], 0
	s_mov_b64 s[14:15], 0
	s_and_saveexec_b64 s[42:43], vcc
	s_xor_b64 s[42:43], exec, s[42:43]
	s_cbranch_execz .LBB64_22
; %bb.19:                               ;   in Loop: Header=BB64_4 Depth=1
	v_cmp_ne_u64_e32 vcc, 1, v[16:17]
	s_and_b64 s[14:15], vcc, exec
	s_andn2_saveexec_b64 s[42:43], s[42:43]
	s_cbranch_execnz .LBB64_23
.LBB64_20:                              ;   in Loop: Header=BB64_4 Depth=1
	s_or_b64 exec, exec, s[42:43]
	s_and_saveexec_b64 s[42:43], s[14:15]
	s_xor_b64 s[14:15], exec, s[42:43]
	s_cbranch_execz .LBB64_24
.LBB64_21:                              ;   in Loop: Header=BB64_4 Depth=1
	v_mov_b64_e32 v[16:17], 0
	s_andn2_b64 s[12:13], s[12:13], exec
	s_or_b64 exec, exec, s[14:15]
	s_and_saveexec_b64 s[14:15], s[12:13]
	s_cbranch_execnz .LBB64_25
	s_branch .LBB64_26
.LBB64_22:                              ;   in Loop: Header=BB64_4 Depth=1
	s_andn2_saveexec_b64 s[42:43], s[42:43]
	s_cbranch_execz .LBB64_20
.LBB64_23:                              ;   in Loop: Header=BB64_4 Depth=1
	v_cmp_ne_u64_e32 vcc, -1, v[16:17]
	s_andn2_b64 s[14:15], s[14:15], exec
	s_and_b64 s[44:45], vcc, exec
	s_mov_b64 s[12:13], exec
	s_or_b64 s[14:15], s[14:15], s[44:45]
	s_or_b64 exec, exec, s[42:43]
	s_and_saveexec_b64 s[42:43], s[14:15]
	s_xor_b64 s[14:15], exec, s[42:43]
	s_cbranch_execnz .LBB64_21
.LBB64_24:                              ;   in Loop: Header=BB64_4 Depth=1
	s_or_b64 exec, exec, s[14:15]
	s_and_saveexec_b64 s[14:15], s[12:13]
.LBB64_25:                              ;   in Loop: Header=BB64_4 Depth=1
	v_mov_b64_e32 v[16:17], s[40:41]
.LBB64_26:                              ;   in Loop: Header=BB64_4 Depth=1
	s_or_b64 exec, exec, s[14:15]
	v_mov_b64_e32 v[12:13], v[16:17]
.LBB64_27:                              ;   in Loop: Header=BB64_4 Depth=1
	s_waitcnt vmcnt(0)
	v_cndmask_b32_e64 v16, 0, 1, s[36:37]
	v_cmp_ne_u32_e64 s[12:13], 1, v16
	s_andn2_b64 vcc, exec, s[36:37]
	s_mov_b64 s[14:15], -1
                                        ; implicit-def: $vgpr16_vgpr17
	s_cbranch_vccnz .LBB64_46
; %bb.28:                               ;   in Loop: Header=BB64_4 Depth=1
	v_mov_b64_e32 v[16:17], 1
	s_and_b64 vcc, exec, s[2:3]
	s_cbranch_vccnz .LBB64_31
; %bb.29:                               ;   in Loop: Header=BB64_4 Depth=1
	s_mov_b64 s[42:43], s[16:17]
	v_mov_b64_e32 v[20:21], v[18:19]
.LBB64_30:                              ;   Parent Loop BB64_4 Depth=1
                                        ; =>  This Inner Loop Header: Depth=2
	s_bitcmp1_b32 s42, 0
	s_cselect_b64 vcc, -1, 0
	v_cmp_lt_u64_e64 s[14:15], s[42:43], 2
	v_cndmask_b32_e32 v23, 1, v20, vcc
	v_cndmask_b32_e32 v24, 0, v21, vcc
	v_mul_lo_u32 v22, v20, v21
	s_and_b64 s[14:15], exec, s[14:15]
	v_mul_lo_u32 v25, v23, v17
	v_mad_u64_u32 v[20:21], s[44:45], v20, v20, 0
	v_mul_lo_u32 v24, v24, v16
	v_mad_u64_u32 v[16:17], s[44:45], v23, v16, 0
	s_lshr_b64 s[42:43], s[42:43], 1
	v_add3_u32 v21, v21, v22, v22
	v_add3_u32 v17, v17, v25, v24
	s_mov_b64 vcc, s[14:15]
	s_cbranch_vccz .LBB64_30
.LBB64_31:                              ;   in Loop: Header=BB64_4 Depth=1
	s_cbranch_execz .LBB64_47
.LBB64_32:                              ;   in Loop: Header=BB64_4 Depth=1
	s_and_b64 vcc, exec, s[12:13]
	s_mov_b64 s[14:15], -1
                                        ; implicit-def: $vgpr18_vgpr19
	s_cbranch_vccnz .LBB64_56
.LBB64_33:                              ;   in Loop: Header=BB64_4 Depth=1
	v_mov_b64_e32 v[18:19], 1
	s_and_b64 vcc, exec, s[2:3]
	s_cbranch_vccnz .LBB64_36
; %bb.34:                               ;   in Loop: Header=BB64_4 Depth=1
	s_mov_b64 s[42:43], s[16:17]
	v_mov_b64_e32 v[20:21], v[14:15]
.LBB64_35:                              ;   Parent Loop BB64_4 Depth=1
                                        ; =>  This Inner Loop Header: Depth=2
	s_bitcmp1_b32 s42, 0
	s_cselect_b64 vcc, -1, 0
	v_cmp_lt_u64_e64 s[14:15], s[42:43], 2
	v_cndmask_b32_e32 v23, 1, v20, vcc
	v_cndmask_b32_e32 v24, 0, v21, vcc
	v_mul_lo_u32 v22, v20, v21
	s_and_b64 s[14:15], exec, s[14:15]
	v_mul_lo_u32 v25, v23, v19
	v_mad_u64_u32 v[20:21], s[44:45], v20, v20, 0
	v_mul_lo_u32 v24, v24, v18
	v_mad_u64_u32 v[18:19], s[44:45], v23, v18, 0
	s_lshr_b64 s[42:43], s[42:43], 1
	v_add3_u32 v21, v21, v22, v22
	v_add3_u32 v19, v19, v25, v24
	s_mov_b64 vcc, s[14:15]
	s_cbranch_vccz .LBB64_35
.LBB64_36:                              ;   in Loop: Header=BB64_4 Depth=1
	s_cbranch_execz .LBB64_57
.LBB64_37:                              ;   in Loop: Header=BB64_4 Depth=1
	s_and_b64 vcc, exec, s[12:13]
	s_mov_b64 s[12:13], -1
                                        ; implicit-def: $vgpr14_vgpr15
	s_cbranch_vccnz .LBB64_66
.LBB64_38:                              ;   in Loop: Header=BB64_4 Depth=1
	v_mov_b64_e32 v[14:15], 1
	s_and_b64 vcc, exec, s[2:3]
	s_cbranch_vccnz .LBB64_41
; %bb.39:                               ;   in Loop: Header=BB64_4 Depth=1
	s_mov_b64 s[14:15], s[16:17]
	v_mov_b64_e32 v[20:21], v[10:11]
.LBB64_40:                              ;   Parent Loop BB64_4 Depth=1
                                        ; =>  This Inner Loop Header: Depth=2
	s_bitcmp1_b32 s14, 0
	s_cselect_b64 vcc, -1, 0
	v_cmp_lt_u64_e64 s[12:13], s[14:15], 2
	v_cndmask_b32_e32 v23, 1, v20, vcc
	v_cndmask_b32_e32 v24, 0, v21, vcc
	v_mul_lo_u32 v22, v20, v21
	s_and_b64 s[12:13], exec, s[12:13]
	v_mul_lo_u32 v25, v23, v15
	v_mad_u64_u32 v[20:21], s[42:43], v20, v20, 0
	v_mul_lo_u32 v24, v24, v14
	v_mad_u64_u32 v[14:15], s[42:43], v23, v14, 0
	s_lshr_b64 s[14:15], s[14:15], 1
	v_add3_u32 v21, v21, v22, v22
	v_add3_u32 v15, v15, v25, v24
	s_mov_b64 vcc, s[12:13]
	s_cbranch_vccz .LBB64_40
.LBB64_41:                              ;   in Loop: Header=BB64_4 Depth=1
	s_cbranch_execz .LBB64_67
.LBB64_42:                              ;   in Loop: Header=BB64_4 Depth=1
	s_and_saveexec_b64 s[12:13], s[4:5]
	s_xor_b64 s[4:5], exec, s[12:13]
	s_cbranch_execz .LBB64_76
.LBB64_43:                              ;   in Loop: Header=BB64_4 Depth=1
	v_lshl_add_u64 v[2:3], v[2:3], 3, s[20:21]
	global_store_dwordx2 v[2:3], v[12:13], off
	s_or_b64 exec, exec, s[4:5]
	s_and_saveexec_b64 s[4:5], s[6:7]
	s_cbranch_execnz .LBB64_77
.LBB64_44:                              ;   in Loop: Header=BB64_4 Depth=1
	s_or_b64 exec, exec, s[4:5]
	s_and_saveexec_b64 s[4:5], s[8:9]
	s_cbranch_execz .LBB64_78
.LBB64_45:                              ;   in Loop: Header=BB64_4 Depth=1
	v_lshl_add_u64 v[2:3], v[6:7], 3, s[20:21]
	global_store_dwordx2 v[2:3], v[18:19], off
	s_or_b64 exec, exec, s[4:5]
	s_and_saveexec_b64 s[4:5], s[10:11]
	s_cbranch_execz .LBB64_3
	s_branch .LBB64_79
.LBB64_46:                              ;   in Loop: Header=BB64_4 Depth=1
	s_andn2_b64 vcc, exec, s[14:15]
	s_cbranch_vccnz .LBB64_32
.LBB64_47:                              ;   in Loop: Header=BB64_4 Depth=1
	v_cmp_lt_i64_e32 vcc, 0, v[18:19]
	s_mov_b64 s[14:15], 0
	s_mov_b64 s[42:43], 0
	s_and_saveexec_b64 s[44:45], vcc
	s_xor_b64 s[44:45], exec, s[44:45]
	s_cbranch_execz .LBB64_51
; %bb.48:                               ;   in Loop: Header=BB64_4 Depth=1
	v_cmp_ne_u64_e32 vcc, 1, v[18:19]
	s_and_b64 s[42:43], vcc, exec
	s_andn2_saveexec_b64 s[44:45], s[44:45]
	s_cbranch_execnz .LBB64_52
.LBB64_49:                              ;   in Loop: Header=BB64_4 Depth=1
	s_or_b64 exec, exec, s[44:45]
	s_and_saveexec_b64 s[44:45], s[42:43]
	s_xor_b64 s[42:43], exec, s[44:45]
	s_cbranch_execz .LBB64_53
.LBB64_50:                              ;   in Loop: Header=BB64_4 Depth=1
	v_mov_b64_e32 v[18:19], 0
	s_andn2_b64 s[14:15], s[14:15], exec
	s_or_b64 exec, exec, s[42:43]
	s_and_saveexec_b64 s[42:43], s[14:15]
	s_cbranch_execnz .LBB64_54
	s_branch .LBB64_55
.LBB64_51:                              ;   in Loop: Header=BB64_4 Depth=1
	s_andn2_saveexec_b64 s[44:45], s[44:45]
	s_cbranch_execz .LBB64_49
.LBB64_52:                              ;   in Loop: Header=BB64_4 Depth=1
	v_cmp_ne_u64_e32 vcc, -1, v[18:19]
	s_andn2_b64 s[42:43], s[42:43], exec
	s_and_b64 s[46:47], vcc, exec
	s_mov_b64 s[14:15], exec
	s_or_b64 s[42:43], s[42:43], s[46:47]
	s_or_b64 exec, exec, s[44:45]
	s_and_saveexec_b64 s[44:45], s[42:43]
	s_xor_b64 s[42:43], exec, s[44:45]
	s_cbranch_execnz .LBB64_50
.LBB64_53:                              ;   in Loop: Header=BB64_4 Depth=1
	s_or_b64 exec, exec, s[42:43]
	s_and_saveexec_b64 s[42:43], s[14:15]
.LBB64_54:                              ;   in Loop: Header=BB64_4 Depth=1
	v_mov_b64_e32 v[18:19], s[40:41]
.LBB64_55:                              ;   in Loop: Header=BB64_4 Depth=1
	s_or_b64 exec, exec, s[42:43]
	v_mov_b64_e32 v[16:17], v[18:19]
	s_and_b64 vcc, exec, s[12:13]
	s_mov_b64 s[14:15], -1
                                        ; implicit-def: $vgpr18_vgpr19
	s_cbranch_vccz .LBB64_33
.LBB64_56:                              ;   in Loop: Header=BB64_4 Depth=1
	s_andn2_b64 vcc, exec, s[14:15]
	s_cbranch_vccnz .LBB64_37
.LBB64_57:                              ;   in Loop: Header=BB64_4 Depth=1
	v_cmp_lt_i64_e32 vcc, 0, v[14:15]
	s_mov_b64 s[14:15], 0
	s_mov_b64 s[42:43], 0
	s_and_saveexec_b64 s[44:45], vcc
	s_xor_b64 s[44:45], exec, s[44:45]
	s_cbranch_execz .LBB64_61
; %bb.58:                               ;   in Loop: Header=BB64_4 Depth=1
	v_cmp_ne_u64_e32 vcc, 1, v[14:15]
	s_and_b64 s[42:43], vcc, exec
	s_andn2_saveexec_b64 s[44:45], s[44:45]
	s_cbranch_execnz .LBB64_62
.LBB64_59:                              ;   in Loop: Header=BB64_4 Depth=1
	s_or_b64 exec, exec, s[44:45]
	s_and_saveexec_b64 s[44:45], s[42:43]
	s_xor_b64 s[42:43], exec, s[44:45]
	s_cbranch_execz .LBB64_63
.LBB64_60:                              ;   in Loop: Header=BB64_4 Depth=1
	v_mov_b64_e32 v[14:15], 0
	s_andn2_b64 s[14:15], s[14:15], exec
	s_or_b64 exec, exec, s[42:43]
	s_and_saveexec_b64 s[42:43], s[14:15]
	s_cbranch_execnz .LBB64_64
	s_branch .LBB64_65
.LBB64_61:                              ;   in Loop: Header=BB64_4 Depth=1
	s_andn2_saveexec_b64 s[44:45], s[44:45]
	s_cbranch_execz .LBB64_59
.LBB64_62:                              ;   in Loop: Header=BB64_4 Depth=1
	v_cmp_ne_u64_e32 vcc, -1, v[14:15]
	s_andn2_b64 s[42:43], s[42:43], exec
	s_and_b64 s[46:47], vcc, exec
	s_mov_b64 s[14:15], exec
	s_or_b64 s[42:43], s[42:43], s[46:47]
	s_or_b64 exec, exec, s[44:45]
	s_and_saveexec_b64 s[44:45], s[42:43]
	s_xor_b64 s[42:43], exec, s[44:45]
	s_cbranch_execnz .LBB64_60
.LBB64_63:                              ;   in Loop: Header=BB64_4 Depth=1
	s_or_b64 exec, exec, s[42:43]
	s_and_saveexec_b64 s[42:43], s[14:15]
.LBB64_64:                              ;   in Loop: Header=BB64_4 Depth=1
	v_mov_b64_e32 v[14:15], s[40:41]
.LBB64_65:                              ;   in Loop: Header=BB64_4 Depth=1
	s_or_b64 exec, exec, s[42:43]
	v_mov_b64_e32 v[18:19], v[14:15]
	s_and_b64 vcc, exec, s[12:13]
	s_mov_b64 s[12:13], -1
                                        ; implicit-def: $vgpr14_vgpr15
	s_cbranch_vccz .LBB64_38
.LBB64_66:                              ;   in Loop: Header=BB64_4 Depth=1
	s_andn2_b64 vcc, exec, s[12:13]
	s_cbranch_vccnz .LBB64_42
.LBB64_67:                              ;   in Loop: Header=BB64_4 Depth=1
	v_cmp_lt_i64_e32 vcc, 0, v[10:11]
	s_mov_b64 s[12:13], 0
	s_mov_b64 s[14:15], 0
	s_and_saveexec_b64 s[42:43], vcc
	s_xor_b64 s[42:43], exec, s[42:43]
	s_cbranch_execz .LBB64_71
; %bb.68:                               ;   in Loop: Header=BB64_4 Depth=1
	v_cmp_ne_u64_e32 vcc, 1, v[10:11]
	s_and_b64 s[14:15], vcc, exec
	s_andn2_saveexec_b64 s[42:43], s[42:43]
	s_cbranch_execnz .LBB64_72
.LBB64_69:                              ;   in Loop: Header=BB64_4 Depth=1
	s_or_b64 exec, exec, s[42:43]
	s_and_saveexec_b64 s[42:43], s[14:15]
	s_xor_b64 s[14:15], exec, s[42:43]
	s_cbranch_execz .LBB64_73
.LBB64_70:                              ;   in Loop: Header=BB64_4 Depth=1
	v_mov_b64_e32 v[10:11], 0
	s_andn2_b64 s[12:13], s[12:13], exec
	s_or_b64 exec, exec, s[14:15]
	s_and_saveexec_b64 s[14:15], s[12:13]
	s_cbranch_execnz .LBB64_74
	s_branch .LBB64_75
.LBB64_71:                              ;   in Loop: Header=BB64_4 Depth=1
	s_andn2_saveexec_b64 s[42:43], s[42:43]
	s_cbranch_execz .LBB64_69
.LBB64_72:                              ;   in Loop: Header=BB64_4 Depth=1
	v_cmp_ne_u64_e32 vcc, -1, v[10:11]
	s_andn2_b64 s[14:15], s[14:15], exec
	s_and_b64 s[44:45], vcc, exec
	s_mov_b64 s[12:13], exec
	s_or_b64 s[14:15], s[14:15], s[44:45]
	s_or_b64 exec, exec, s[42:43]
	s_and_saveexec_b64 s[42:43], s[14:15]
	s_xor_b64 s[14:15], exec, s[42:43]
	s_cbranch_execnz .LBB64_70
.LBB64_73:                              ;   in Loop: Header=BB64_4 Depth=1
	s_or_b64 exec, exec, s[14:15]
	s_and_saveexec_b64 s[14:15], s[12:13]
.LBB64_74:                              ;   in Loop: Header=BB64_4 Depth=1
	v_mov_b64_e32 v[10:11], s[40:41]
.LBB64_75:                              ;   in Loop: Header=BB64_4 Depth=1
	s_or_b64 exec, exec, s[14:15]
	v_mov_b64_e32 v[14:15], v[10:11]
	s_and_saveexec_b64 s[12:13], s[4:5]
	s_xor_b64 s[4:5], exec, s[12:13]
	s_cbranch_execnz .LBB64_43
.LBB64_76:                              ;   in Loop: Header=BB64_4 Depth=1
	s_or_b64 exec, exec, s[4:5]
	s_and_saveexec_b64 s[4:5], s[6:7]
	s_cbranch_execz .LBB64_44
.LBB64_77:                              ;   in Loop: Header=BB64_4 Depth=1
	v_lshl_add_u64 v[2:3], v[4:5], 3, s[20:21]
	global_store_dwordx2 v[2:3], v[16:17], off
	s_or_b64 exec, exec, s[4:5]
	s_and_saveexec_b64 s[4:5], s[8:9]
	s_cbranch_execnz .LBB64_45
.LBB64_78:                              ;   in Loop: Header=BB64_4 Depth=1
	s_or_b64 exec, exec, s[4:5]
	s_and_saveexec_b64 s[4:5], s[10:11]
	s_cbranch_execz .LBB64_3
.LBB64_79:                              ;   in Loop: Header=BB64_4 Depth=1
	v_lshl_add_u64 v[2:3], v[8:9], 3, s[20:21]
	global_store_dwordx2 v[2:3], v[14:15], off
	s_branch .LBB64_3
.LBB64_80:
	s_mov_b64 s[2:3], 0
.LBB64_81:
	s_andn2_b64 vcc, exec, s[2:3]
	s_cbranch_vccnz .LBB64_145
; %bb.82:
	v_mov_b64_e32 v[4:5], 0x10000
	v_cmp_lt_i64_e32 vcc, s[22:23], v[4:5]
	s_and_b64 s[2:3], vcc, exec
	v_mov_b32_e32 v3, 0
	s_cselect_b32 s9, s23, 0
	s_cselect_b32 s8, s22, 0x10000
	v_lshlrev_b32_e32 v2, 2, v0
	s_mov_b32 s7, 0
	v_cmp_gt_i64_e32 vcc, s[8:9], v[2:3]
	s_and_saveexec_b64 s[2:3], vcc
	s_cbranch_execz .LBB64_145
; %bb.83:
	s_load_dword s0, s[0:1], 0xc64
	s_cmp_lg_u64 s[16:17], 0
	s_cselect_b64 s[2:3], -1, 0
	s_and_b32 s6, s16, 1
	s_cmp_eq_u64 s[6:7], 0
	v_cndmask_b32_e64 v2, 0, 1, s[2:3]
	v_cmp_gt_i64_e64 s[14:15], s[16:17], -1
	s_cselect_b32 s13, 0, -1
	s_cselect_b32 s12, 1, -1
	s_waitcnt lgkmcnt(0)
	s_and_b32 s6, s0, 0xffff
	v_cmp_ne_u32_e64 s[0:1], 1, v2
	v_cndmask_b32_e64 v2, 0, 1, s[14:15]
	v_mov_b32_e32 v1, v3
	s_mov_b64 s[10:11], 0
	v_cmp_ne_u32_e64 s[2:3], 1, v2
	s_branch .LBB64_86
.LBB64_84:                              ;   in Loop: Header=BB64_86 Depth=1
	s_or_b64 exec, exec, s[22:23]
	v_mov_b64_e32 v[12:13], v[4:5]
.LBB64_85:                              ;   in Loop: Header=BB64_86 Depth=1
	v_lshl_add_u64 v[0:1], v[0:1], 0, s[6:7]
	s_waitcnt vmcnt(1)
	v_lshlrev_b64 v[4:5], 2, v[0:1]
	v_cmp_le_i64_e32 vcc, s[8:9], v[4:5]
	v_lshl_add_u64 v[2:3], s[20:21], 0, v[14:15]
	s_or_b64 s[10:11], vcc, s[10:11]
	s_waitcnt vmcnt(0)
	global_store_dwordx4 v[2:3], v[6:9], off
	global_store_dwordx4 v[2:3], v[10:13], off offset:16
	s_andn2_b64 exec, exec, s[10:11]
	s_cbranch_execz .LBB64_145
.LBB64_86:                              ; =>This Loop Header: Depth=1
                                        ;     Child Loop BB64_89 Depth 2
                                        ;     Child Loop BB64_94 Depth 2
	;; [unrolled: 1-line block ×4, first 2 shown]
	v_lshlrev_b64 v[14:15], 5, v[0:1]
	v_lshl_add_u64 v[6:7], s[18:19], 0, v[14:15]
	global_load_dwordx4 v[2:5], v[6:7], off offset:16
	global_load_dwordx4 v[8:11], v[6:7], off
	s_and_b64 vcc, exec, s[14:15]
	s_mov_b64 s[4:5], -1
                                        ; implicit-def: $vgpr6_vgpr7
	s_cbranch_vccz .LBB64_106
; %bb.87:                               ;   in Loop: Header=BB64_86 Depth=1
	v_mov_b64_e32 v[6:7], 1
	s_and_b64 vcc, exec, s[0:1]
	s_cbranch_vccnz .LBB64_90
; %bb.88:                               ;   in Loop: Header=BB64_86 Depth=1
	s_mov_b64 s[22:23], s[16:17]
	s_waitcnt vmcnt(0)
	v_mov_b64_e32 v[12:13], v[8:9]
.LBB64_89:                              ;   Parent Loop BB64_86 Depth=1
                                        ; =>  This Inner Loop Header: Depth=2
	s_bitcmp1_b32 s22, 0
	s_cselect_b64 vcc, -1, 0
	v_cmp_gt_u64_e64 s[4:5], s[22:23], 1
	v_cndmask_b32_e32 v17, 1, v12, vcc
	v_cndmask_b32_e32 v18, 0, v13, vcc
	v_mul_lo_u32 v16, v12, v13
	s_and_b64 s[4:5], exec, s[4:5]
	v_mul_lo_u32 v19, v17, v7
	v_mad_u64_u32 v[12:13], s[24:25], v12, v12, 0
	v_mul_lo_u32 v18, v18, v6
	v_mad_u64_u32 v[6:7], s[24:25], v17, v6, 0
	s_lshr_b64 s[22:23], s[22:23], 1
	v_add3_u32 v13, v13, v16, v16
	v_add3_u32 v7, v7, v19, v18
	s_mov_b64 vcc, s[4:5]
	s_cbranch_vccnz .LBB64_89
.LBB64_90:                              ;   in Loop: Header=BB64_86 Depth=1
	s_cbranch_execz .LBB64_107
.LBB64_91:                              ;   in Loop: Header=BB64_86 Depth=1
	s_and_b64 vcc, exec, s[2:3]
	s_mov_b64 s[4:5], -1
	s_cbranch_vccnz .LBB64_116
.LBB64_92:                              ;   in Loop: Header=BB64_86 Depth=1
	s_waitcnt vmcnt(0)
	v_mov_b64_e32 v[8:9], 1
	s_and_b64 vcc, exec, s[0:1]
	s_cbranch_vccnz .LBB64_95
; %bb.93:                               ;   in Loop: Header=BB64_86 Depth=1
	s_mov_b64 s[22:23], s[16:17]
	v_mov_b64_e32 v[12:13], v[10:11]
.LBB64_94:                              ;   Parent Loop BB64_86 Depth=1
                                        ; =>  This Inner Loop Header: Depth=2
	s_bitcmp1_b32 s22, 0
	s_cselect_b64 vcc, -1, 0
	v_cmp_lt_u64_e64 s[4:5], s[22:23], 2
	v_cndmask_b32_e32 v17, 1, v12, vcc
	v_cndmask_b32_e32 v18, 0, v13, vcc
	v_mul_lo_u32 v16, v12, v13
	s_and_b64 s[4:5], exec, s[4:5]
	v_mul_lo_u32 v19, v17, v9
	v_mad_u64_u32 v[12:13], s[24:25], v12, v12, 0
	v_mul_lo_u32 v18, v18, v8
	v_mad_u64_u32 v[8:9], s[24:25], v17, v8, 0
	s_lshr_b64 s[22:23], s[22:23], 1
	v_add3_u32 v13, v13, v16, v16
	v_add3_u32 v9, v9, v19, v18
	s_mov_b64 vcc, s[4:5]
	s_cbranch_vccz .LBB64_94
.LBB64_95:                              ;   in Loop: Header=BB64_86 Depth=1
	s_cbranch_execz .LBB64_117
.LBB64_96:                              ;   in Loop: Header=BB64_86 Depth=1
	s_and_b64 vcc, exec, s[2:3]
	s_mov_b64 s[4:5], -1
                                        ; implicit-def: $vgpr10_vgpr11
	s_cbranch_vccnz .LBB64_126
.LBB64_97:                              ;   in Loop: Header=BB64_86 Depth=1
	s_waitcnt vmcnt(0)
	v_mov_b64_e32 v[10:11], 1
	s_and_b64 vcc, exec, s[0:1]
	s_cbranch_vccnz .LBB64_100
; %bb.98:                               ;   in Loop: Header=BB64_86 Depth=1
	s_mov_b64 s[22:23], s[16:17]
	v_mov_b64_e32 v[12:13], v[2:3]
.LBB64_99:                              ;   Parent Loop BB64_86 Depth=1
                                        ; =>  This Inner Loop Header: Depth=2
	s_bitcmp1_b32 s22, 0
	s_cselect_b64 vcc, -1, 0
	v_cmp_lt_u64_e64 s[4:5], s[22:23], 2
	v_cndmask_b32_e32 v17, 1, v12, vcc
	v_cndmask_b32_e32 v18, 0, v13, vcc
	v_mul_lo_u32 v16, v12, v13
	s_and_b64 s[4:5], exec, s[4:5]
	v_mul_lo_u32 v19, v17, v11
	v_mad_u64_u32 v[12:13], s[24:25], v12, v12, 0
	v_mul_lo_u32 v18, v18, v10
	v_mad_u64_u32 v[10:11], s[24:25], v17, v10, 0
	s_lshr_b64 s[22:23], s[22:23], 1
	v_add3_u32 v13, v13, v16, v16
	v_add3_u32 v11, v11, v19, v18
	s_mov_b64 vcc, s[4:5]
	s_cbranch_vccz .LBB64_99
.LBB64_100:                             ;   in Loop: Header=BB64_86 Depth=1
	s_cbranch_execz .LBB64_127
.LBB64_101:                             ;   in Loop: Header=BB64_86 Depth=1
	s_and_b64 vcc, exec, s[2:3]
	s_mov_b64 s[4:5], -1
	s_cbranch_vccnz .LBB64_136
.LBB64_102:                             ;   in Loop: Header=BB64_86 Depth=1
	v_mov_b64_e32 v[12:13], 1
	s_and_b64 vcc, exec, s[0:1]
	s_cbranch_vccnz .LBB64_105
; %bb.103:                              ;   in Loop: Header=BB64_86 Depth=1
	s_mov_b64 s[22:23], s[16:17]
	s_waitcnt vmcnt(1)
	v_mov_b64_e32 v[2:3], v[4:5]
.LBB64_104:                             ;   Parent Loop BB64_86 Depth=1
                                        ; =>  This Inner Loop Header: Depth=2
	s_bitcmp1_b32 s22, 0
	s_cselect_b64 vcc, -1, 0
	v_cmp_lt_u64_e64 s[4:5], s[22:23], 2
	v_cndmask_b32_e32 v17, 1, v2, vcc
	v_cndmask_b32_e32 v18, 0, v3, vcc
	v_mul_lo_u32 v16, v2, v3
	s_and_b64 s[4:5], exec, s[4:5]
	v_mul_lo_u32 v19, v17, v13
	v_mad_u64_u32 v[2:3], s[24:25], v2, v2, 0
	v_mul_lo_u32 v18, v18, v12
	v_mad_u64_u32 v[12:13], s[24:25], v17, v12, 0
	s_lshr_b64 s[22:23], s[22:23], 1
	v_add3_u32 v3, v3, v16, v16
	v_add3_u32 v13, v13, v19, v18
	s_mov_b64 vcc, s[4:5]
	s_cbranch_vccz .LBB64_104
.LBB64_105:                             ;   in Loop: Header=BB64_86 Depth=1
	s_cbranch_execnz .LBB64_85
	s_branch .LBB64_137
.LBB64_106:                             ;   in Loop: Header=BB64_86 Depth=1
	s_andn2_b64 vcc, exec, s[4:5]
	s_cbranch_vccnz .LBB64_91
.LBB64_107:                             ;   in Loop: Header=BB64_86 Depth=1
	s_waitcnt vmcnt(0)
	v_cmp_lt_i64_e32 vcc, 0, v[8:9]
	s_mov_b64 s[4:5], 0
	s_mov_b64 s[22:23], 0
	s_and_saveexec_b64 s[24:25], vcc
	s_xor_b64 s[24:25], exec, s[24:25]
	s_cbranch_execz .LBB64_111
; %bb.108:                              ;   in Loop: Header=BB64_86 Depth=1
	v_cmp_ne_u64_e32 vcc, 1, v[8:9]
	s_and_b64 s[22:23], vcc, exec
	s_andn2_saveexec_b64 s[24:25], s[24:25]
	s_cbranch_execnz .LBB64_112
.LBB64_109:                             ;   in Loop: Header=BB64_86 Depth=1
	s_or_b64 exec, exec, s[24:25]
	s_and_saveexec_b64 s[24:25], s[22:23]
	s_xor_b64 s[22:23], exec, s[24:25]
	s_cbranch_execz .LBB64_113
.LBB64_110:                             ;   in Loop: Header=BB64_86 Depth=1
	v_mov_b64_e32 v[8:9], 0
	s_andn2_b64 s[4:5], s[4:5], exec
	s_or_b64 exec, exec, s[22:23]
	s_and_saveexec_b64 s[22:23], s[4:5]
	s_cbranch_execnz .LBB64_114
	s_branch .LBB64_115
.LBB64_111:                             ;   in Loop: Header=BB64_86 Depth=1
	s_andn2_saveexec_b64 s[24:25], s[24:25]
	s_cbranch_execz .LBB64_109
.LBB64_112:                             ;   in Loop: Header=BB64_86 Depth=1
	v_cmp_ne_u64_e32 vcc, -1, v[8:9]
	s_andn2_b64 s[22:23], s[22:23], exec
	s_and_b64 s[26:27], vcc, exec
	s_mov_b64 s[4:5], exec
	s_or_b64 s[22:23], s[22:23], s[26:27]
	s_or_b64 exec, exec, s[24:25]
	s_and_saveexec_b64 s[24:25], s[22:23]
	s_xor_b64 s[22:23], exec, s[24:25]
	s_cbranch_execnz .LBB64_110
.LBB64_113:                             ;   in Loop: Header=BB64_86 Depth=1
	s_or_b64 exec, exec, s[22:23]
	s_and_saveexec_b64 s[22:23], s[4:5]
.LBB64_114:                             ;   in Loop: Header=BB64_86 Depth=1
	v_mov_b64_e32 v[8:9], s[12:13]
.LBB64_115:                             ;   in Loop: Header=BB64_86 Depth=1
	s_or_b64 exec, exec, s[22:23]
	v_mov_b64_e32 v[6:7], v[8:9]
	s_and_b64 vcc, exec, s[2:3]
	s_mov_b64 s[4:5], -1
	s_cbranch_vccz .LBB64_92
.LBB64_116:                             ;   in Loop: Header=BB64_86 Depth=1
	s_andn2_b64 vcc, exec, s[4:5]
	s_cbranch_vccnz .LBB64_96
.LBB64_117:                             ;   in Loop: Header=BB64_86 Depth=1
	s_waitcnt vmcnt(0)
	v_cmp_lt_i64_e32 vcc, 0, v[10:11]
	s_mov_b64 s[4:5], 0
	s_mov_b64 s[22:23], 0
	s_and_saveexec_b64 s[24:25], vcc
	s_xor_b64 s[24:25], exec, s[24:25]
	s_cbranch_execz .LBB64_121
; %bb.118:                              ;   in Loop: Header=BB64_86 Depth=1
	v_cmp_ne_u64_e32 vcc, 1, v[10:11]
	s_and_b64 s[22:23], vcc, exec
	s_andn2_saveexec_b64 s[24:25], s[24:25]
	s_cbranch_execnz .LBB64_122
.LBB64_119:                             ;   in Loop: Header=BB64_86 Depth=1
	s_or_b64 exec, exec, s[24:25]
	s_and_saveexec_b64 s[24:25], s[22:23]
	s_xor_b64 s[22:23], exec, s[24:25]
	s_cbranch_execz .LBB64_123
.LBB64_120:                             ;   in Loop: Header=BB64_86 Depth=1
	v_mov_b64_e32 v[10:11], 0
	s_andn2_b64 s[4:5], s[4:5], exec
	s_or_b64 exec, exec, s[22:23]
	s_and_saveexec_b64 s[22:23], s[4:5]
	s_cbranch_execnz .LBB64_124
	s_branch .LBB64_125
.LBB64_121:                             ;   in Loop: Header=BB64_86 Depth=1
	s_andn2_saveexec_b64 s[24:25], s[24:25]
	s_cbranch_execz .LBB64_119
.LBB64_122:                             ;   in Loop: Header=BB64_86 Depth=1
	v_cmp_ne_u64_e32 vcc, -1, v[10:11]
	s_andn2_b64 s[22:23], s[22:23], exec
	s_and_b64 s[26:27], vcc, exec
	s_mov_b64 s[4:5], exec
	s_or_b64 s[22:23], s[22:23], s[26:27]
	s_or_b64 exec, exec, s[24:25]
	s_and_saveexec_b64 s[24:25], s[22:23]
	s_xor_b64 s[22:23], exec, s[24:25]
	s_cbranch_execnz .LBB64_120
.LBB64_123:                             ;   in Loop: Header=BB64_86 Depth=1
	s_or_b64 exec, exec, s[22:23]
	s_and_saveexec_b64 s[22:23], s[4:5]
.LBB64_124:                             ;   in Loop: Header=BB64_86 Depth=1
	v_mov_b64_e32 v[10:11], s[12:13]
.LBB64_125:                             ;   in Loop: Header=BB64_86 Depth=1
	s_or_b64 exec, exec, s[22:23]
	v_mov_b64_e32 v[8:9], v[10:11]
	s_and_b64 vcc, exec, s[2:3]
	s_mov_b64 s[4:5], -1
                                        ; implicit-def: $vgpr10_vgpr11
	s_cbranch_vccz .LBB64_97
.LBB64_126:                             ;   in Loop: Header=BB64_86 Depth=1
	s_andn2_b64 vcc, exec, s[4:5]
	s_cbranch_vccnz .LBB64_101
.LBB64_127:                             ;   in Loop: Header=BB64_86 Depth=1
	s_waitcnt vmcnt(1)
	v_cmp_lt_i64_e32 vcc, 0, v[2:3]
	s_mov_b64 s[4:5], 0
	s_mov_b64 s[22:23], 0
	s_and_saveexec_b64 s[24:25], vcc
	s_xor_b64 s[24:25], exec, s[24:25]
	s_cbranch_execz .LBB64_131
; %bb.128:                              ;   in Loop: Header=BB64_86 Depth=1
	v_cmp_ne_u64_e32 vcc, 1, v[2:3]
	s_and_b64 s[22:23], vcc, exec
	s_andn2_saveexec_b64 s[24:25], s[24:25]
	s_cbranch_execnz .LBB64_132
.LBB64_129:                             ;   in Loop: Header=BB64_86 Depth=1
	s_or_b64 exec, exec, s[24:25]
	s_and_saveexec_b64 s[24:25], s[22:23]
	s_xor_b64 s[22:23], exec, s[24:25]
	s_cbranch_execz .LBB64_133
.LBB64_130:                             ;   in Loop: Header=BB64_86 Depth=1
	v_mov_b64_e32 v[2:3], 0
	s_andn2_b64 s[4:5], s[4:5], exec
	s_or_b64 exec, exec, s[22:23]
	s_and_saveexec_b64 s[22:23], s[4:5]
	s_cbranch_execnz .LBB64_134
	s_branch .LBB64_135
.LBB64_131:                             ;   in Loop: Header=BB64_86 Depth=1
	s_andn2_saveexec_b64 s[24:25], s[24:25]
	s_cbranch_execz .LBB64_129
.LBB64_132:                             ;   in Loop: Header=BB64_86 Depth=1
	v_cmp_ne_u64_e32 vcc, -1, v[2:3]
	s_andn2_b64 s[22:23], s[22:23], exec
	s_and_b64 s[26:27], vcc, exec
	s_mov_b64 s[4:5], exec
	s_or_b64 s[22:23], s[22:23], s[26:27]
	s_or_b64 exec, exec, s[24:25]
	s_and_saveexec_b64 s[24:25], s[22:23]
	s_xor_b64 s[22:23], exec, s[24:25]
	s_cbranch_execnz .LBB64_130
.LBB64_133:                             ;   in Loop: Header=BB64_86 Depth=1
	s_or_b64 exec, exec, s[22:23]
	s_and_saveexec_b64 s[22:23], s[4:5]
.LBB64_134:                             ;   in Loop: Header=BB64_86 Depth=1
	v_mov_b64_e32 v[2:3], s[12:13]
.LBB64_135:                             ;   in Loop: Header=BB64_86 Depth=1
	s_or_b64 exec, exec, s[22:23]
	s_waitcnt vmcnt(0)
	v_mov_b64_e32 v[10:11], v[2:3]
	s_and_b64 vcc, exec, s[2:3]
	s_mov_b64 s[4:5], -1
	s_cbranch_vccz .LBB64_102
.LBB64_136:                             ;   in Loop: Header=BB64_86 Depth=1
	s_andn2_b64 vcc, exec, s[4:5]
	s_cbranch_vccnz .LBB64_85
.LBB64_137:                             ;   in Loop: Header=BB64_86 Depth=1
	s_waitcnt vmcnt(1)
	v_cmp_lt_i64_e32 vcc, 0, v[4:5]
	s_mov_b64 s[4:5], 0
	s_mov_b64 s[22:23], 0
	s_and_saveexec_b64 s[24:25], vcc
	s_xor_b64 s[24:25], exec, s[24:25]
	s_cbranch_execz .LBB64_141
; %bb.138:                              ;   in Loop: Header=BB64_86 Depth=1
	v_cmp_ne_u64_e32 vcc, 1, v[4:5]
	s_and_b64 s[22:23], vcc, exec
	s_andn2_saveexec_b64 s[24:25], s[24:25]
	s_cbranch_execnz .LBB64_142
.LBB64_139:                             ;   in Loop: Header=BB64_86 Depth=1
	s_or_b64 exec, exec, s[24:25]
	s_and_saveexec_b64 s[24:25], s[22:23]
	s_xor_b64 s[22:23], exec, s[24:25]
	s_cbranch_execz .LBB64_143
.LBB64_140:                             ;   in Loop: Header=BB64_86 Depth=1
	v_mov_b64_e32 v[4:5], 0
	s_andn2_b64 s[4:5], s[4:5], exec
	s_or_b64 exec, exec, s[22:23]
	s_and_saveexec_b64 s[22:23], s[4:5]
	s_cbranch_execz .LBB64_84
	s_branch .LBB64_144
.LBB64_141:                             ;   in Loop: Header=BB64_86 Depth=1
	s_andn2_saveexec_b64 s[24:25], s[24:25]
	s_cbranch_execz .LBB64_139
.LBB64_142:                             ;   in Loop: Header=BB64_86 Depth=1
	v_cmp_ne_u64_e32 vcc, -1, v[4:5]
	s_andn2_b64 s[22:23], s[22:23], exec
	s_and_b64 s[26:27], vcc, exec
	s_mov_b64 s[4:5], exec
	s_or_b64 s[22:23], s[22:23], s[26:27]
	s_or_b64 exec, exec, s[24:25]
	s_and_saveexec_b64 s[24:25], s[22:23]
	s_xor_b64 s[22:23], exec, s[24:25]
	s_cbranch_execnz .LBB64_140
.LBB64_143:                             ;   in Loop: Header=BB64_86 Depth=1
	s_or_b64 exec, exec, s[22:23]
	s_and_saveexec_b64 s[22:23], s[4:5]
	s_cbranch_execz .LBB64_84
.LBB64_144:                             ;   in Loop: Header=BB64_86 Depth=1
	v_mov_b64_e32 v[4:5], s[12:13]
	s_branch .LBB64_84
.LBB64_145:
	s_endpgm
	.section	.rodata,"a",@progbits
	.p2align	6, 0x0
	.amdhsa_kernel _ZN2at6native12_GLOBAL__N_125multi_tensor_apply_kernelINS1_18TensorListMetadataILi2EEENS1_21BinaryOpScalarFunctorIlLi2ELi1ELi1EEEJNS1_13power_functorIlEElEEEvT_T0_DpT1_
		.amdhsa_group_segment_fixed_size 0
		.amdhsa_private_segment_fixed_size 0
		.amdhsa_kernarg_size 3416
		.amdhsa_user_sgpr_count 2
		.amdhsa_user_sgpr_dispatch_ptr 0
		.amdhsa_user_sgpr_queue_ptr 0
		.amdhsa_user_sgpr_kernarg_segment_ptr 1
		.amdhsa_user_sgpr_dispatch_id 0
		.amdhsa_user_sgpr_kernarg_preload_length 0
		.amdhsa_user_sgpr_kernarg_preload_offset 0
		.amdhsa_user_sgpr_private_segment_size 0
		.amdhsa_uses_dynamic_stack 0
		.amdhsa_enable_private_segment 0
		.amdhsa_system_sgpr_workgroup_id_x 1
		.amdhsa_system_sgpr_workgroup_id_y 0
		.amdhsa_system_sgpr_workgroup_id_z 0
		.amdhsa_system_sgpr_workgroup_info 0
		.amdhsa_system_vgpr_workitem_id 0
		.amdhsa_next_free_vgpr 26
		.amdhsa_next_free_sgpr 48
		.amdhsa_accum_offset 28
		.amdhsa_reserve_vcc 1
		.amdhsa_float_round_mode_32 0
		.amdhsa_float_round_mode_16_64 0
		.amdhsa_float_denorm_mode_32 3
		.amdhsa_float_denorm_mode_16_64 3
		.amdhsa_dx10_clamp 1
		.amdhsa_ieee_mode 1
		.amdhsa_fp16_overflow 0
		.amdhsa_tg_split 0
		.amdhsa_exception_fp_ieee_invalid_op 0
		.amdhsa_exception_fp_denorm_src 0
		.amdhsa_exception_fp_ieee_div_zero 0
		.amdhsa_exception_fp_ieee_overflow 0
		.amdhsa_exception_fp_ieee_underflow 0
		.amdhsa_exception_fp_ieee_inexact 0
		.amdhsa_exception_int_div_zero 0
	.end_amdhsa_kernel
	.section	.text._ZN2at6native12_GLOBAL__N_125multi_tensor_apply_kernelINS1_18TensorListMetadataILi2EEENS1_21BinaryOpScalarFunctorIlLi2ELi1ELi1EEEJNS1_13power_functorIlEElEEEvT_T0_DpT1_,"axG",@progbits,_ZN2at6native12_GLOBAL__N_125multi_tensor_apply_kernelINS1_18TensorListMetadataILi2EEENS1_21BinaryOpScalarFunctorIlLi2ELi1ELi1EEEJNS1_13power_functorIlEElEEEvT_T0_DpT1_,comdat
.Lfunc_end64:
	.size	_ZN2at6native12_GLOBAL__N_125multi_tensor_apply_kernelINS1_18TensorListMetadataILi2EEENS1_21BinaryOpScalarFunctorIlLi2ELi1ELi1EEEJNS1_13power_functorIlEElEEEvT_T0_DpT1_, .Lfunc_end64-_ZN2at6native12_GLOBAL__N_125multi_tensor_apply_kernelINS1_18TensorListMetadataILi2EEENS1_21BinaryOpScalarFunctorIlLi2ELi1ELi1EEEJNS1_13power_functorIlEElEEEvT_T0_DpT1_
                                        ; -- End function
	.set _ZN2at6native12_GLOBAL__N_125multi_tensor_apply_kernelINS1_18TensorListMetadataILi2EEENS1_21BinaryOpScalarFunctorIlLi2ELi1ELi1EEEJNS1_13power_functorIlEElEEEvT_T0_DpT1_.num_vgpr, 26
	.set _ZN2at6native12_GLOBAL__N_125multi_tensor_apply_kernelINS1_18TensorListMetadataILi2EEENS1_21BinaryOpScalarFunctorIlLi2ELi1ELi1EEEJNS1_13power_functorIlEElEEEvT_T0_DpT1_.num_agpr, 0
	.set _ZN2at6native12_GLOBAL__N_125multi_tensor_apply_kernelINS1_18TensorListMetadataILi2EEENS1_21BinaryOpScalarFunctorIlLi2ELi1ELi1EEEJNS1_13power_functorIlEElEEEvT_T0_DpT1_.numbered_sgpr, 48
	.set _ZN2at6native12_GLOBAL__N_125multi_tensor_apply_kernelINS1_18TensorListMetadataILi2EEENS1_21BinaryOpScalarFunctorIlLi2ELi1ELi1EEEJNS1_13power_functorIlEElEEEvT_T0_DpT1_.num_named_barrier, 0
	.set _ZN2at6native12_GLOBAL__N_125multi_tensor_apply_kernelINS1_18TensorListMetadataILi2EEENS1_21BinaryOpScalarFunctorIlLi2ELi1ELi1EEEJNS1_13power_functorIlEElEEEvT_T0_DpT1_.private_seg_size, 0
	.set _ZN2at6native12_GLOBAL__N_125multi_tensor_apply_kernelINS1_18TensorListMetadataILi2EEENS1_21BinaryOpScalarFunctorIlLi2ELi1ELi1EEEJNS1_13power_functorIlEElEEEvT_T0_DpT1_.uses_vcc, 1
	.set _ZN2at6native12_GLOBAL__N_125multi_tensor_apply_kernelINS1_18TensorListMetadataILi2EEENS1_21BinaryOpScalarFunctorIlLi2ELi1ELi1EEEJNS1_13power_functorIlEElEEEvT_T0_DpT1_.uses_flat_scratch, 0
	.set _ZN2at6native12_GLOBAL__N_125multi_tensor_apply_kernelINS1_18TensorListMetadataILi2EEENS1_21BinaryOpScalarFunctorIlLi2ELi1ELi1EEEJNS1_13power_functorIlEElEEEvT_T0_DpT1_.has_dyn_sized_stack, 0
	.set _ZN2at6native12_GLOBAL__N_125multi_tensor_apply_kernelINS1_18TensorListMetadataILi2EEENS1_21BinaryOpScalarFunctorIlLi2ELi1ELi1EEEJNS1_13power_functorIlEElEEEvT_T0_DpT1_.has_recursion, 0
	.set _ZN2at6native12_GLOBAL__N_125multi_tensor_apply_kernelINS1_18TensorListMetadataILi2EEENS1_21BinaryOpScalarFunctorIlLi2ELi1ELi1EEEJNS1_13power_functorIlEElEEEvT_T0_DpT1_.has_indirect_call, 0
	.section	.AMDGPU.csdata,"",@progbits
; Kernel info:
; codeLenInByte = 3404
; TotalNumSgprs: 54
; NumVgprs: 26
; NumAgprs: 0
; TotalNumVgprs: 26
; ScratchSize: 0
; MemoryBound: 1
; FloatMode: 240
; IeeeMode: 1
; LDSByteSize: 0 bytes/workgroup (compile time only)
; SGPRBlocks: 6
; VGPRBlocks: 3
; NumSGPRsForWavesPerEU: 54
; NumVGPRsForWavesPerEU: 26
; AccumOffset: 28
; Occupancy: 8
; WaveLimiterHint : 0
; COMPUTE_PGM_RSRC2:SCRATCH_EN: 0
; COMPUTE_PGM_RSRC2:USER_SGPR: 2
; COMPUTE_PGM_RSRC2:TRAP_HANDLER: 0
; COMPUTE_PGM_RSRC2:TGID_X_EN: 1
; COMPUTE_PGM_RSRC2:TGID_Y_EN: 0
; COMPUTE_PGM_RSRC2:TGID_Z_EN: 0
; COMPUTE_PGM_RSRC2:TIDIG_COMP_CNT: 0
; COMPUTE_PGM_RSRC3_GFX90A:ACCUM_OFFSET: 6
; COMPUTE_PGM_RSRC3_GFX90A:TG_SPLIT: 0
	.section	.text._ZN2at6native12_GLOBAL__N_125multi_tensor_apply_kernelINS1_18TensorListMetadataILi2EEENS1_21BinaryOpScalarFunctorIsLi2ELi1ELi1EEEJNS1_13power_functorIsEEsEEEvT_T0_DpT1_,"axG",@progbits,_ZN2at6native12_GLOBAL__N_125multi_tensor_apply_kernelINS1_18TensorListMetadataILi2EEENS1_21BinaryOpScalarFunctorIsLi2ELi1ELi1EEEJNS1_13power_functorIsEEsEEEvT_T0_DpT1_,comdat
	.globl	_ZN2at6native12_GLOBAL__N_125multi_tensor_apply_kernelINS1_18TensorListMetadataILi2EEENS1_21BinaryOpScalarFunctorIsLi2ELi1ELi1EEEJNS1_13power_functorIsEEsEEEvT_T0_DpT1_ ; -- Begin function _ZN2at6native12_GLOBAL__N_125multi_tensor_apply_kernelINS1_18TensorListMetadataILi2EEENS1_21BinaryOpScalarFunctorIsLi2ELi1ELi1EEEJNS1_13power_functorIsEEsEEEvT_T0_DpT1_
	.p2align	8
	.type	_ZN2at6native12_GLOBAL__N_125multi_tensor_apply_kernelINS1_18TensorListMetadataILi2EEENS1_21BinaryOpScalarFunctorIsLi2ELi1ELi1EEEJNS1_13power_functorIsEEsEEEvT_T0_DpT1_,@function
_ZN2at6native12_GLOBAL__N_125multi_tensor_apply_kernelINS1_18TensorListMetadataILi2EEENS1_21BinaryOpScalarFunctorIsLi2ELi1ELi1EEEJNS1_13power_functorIsEEsEEEvT_T0_DpT1_: ; @_ZN2at6native12_GLOBAL__N_125multi_tensor_apply_kernelINS1_18TensorListMetadataILi2EEENS1_21BinaryOpScalarFunctorIsLi2ELi1ELi1EEEJNS1_13power_functorIsEEsEEEvT_T0_DpT1_
; %bb.0:
	v_mov_b32_e32 v1, s2
	global_load_ubyte v1, v1, s[0:1] offset:1536
	s_load_dword s4, s[0:1], 0xc48
	s_mul_hi_u32 s7, s2, 3
	s_mul_i32 s6, s2, 3
	s_mov_b32 s3, 0
	s_mov_b32 s5, s3
	s_waitcnt lgkmcnt(0)
	s_lshr_b32 s33, s4, 16
	s_add_u32 s2, s0, s2
	s_addc_u32 s4, s1, 0
	s_add_u32 s6, s2, s6
	s_addc_u32 s7, s4, s7
	s_load_dword s6, s[6:7], 0x740
	s_waitcnt lgkmcnt(0)
	s_ashr_i32 s7, s6, 31
	s_lshl_b64 s[16:17], s[6:7], 17
	s_waitcnt vmcnt(0)
	v_readfirstlane_b32 s2, v1
	s_lshl_b32 s2, s2, 3
	s_load_dwordx2 s[8:9], s[0:1], s2 offset:0x0
	s_load_dwordx2 s[10:11], s[0:1], s2 offset:0x400
	;; [unrolled: 1-line block ×3, first 2 shown]
	s_waitcnt lgkmcnt(0)
	s_add_u32 s14, s8, s16
	s_addc_u32 s15, s9, s17
	s_and_b32 s2, s14, 7
	s_add_u32 s16, s12, s16
	s_addc_u32 s17, s13, s17
	s_and_b32 s4, s16, 7
	s_lshl_b64 s[6:7], s[6:7], 16
	s_sub_u32 s18, s10, s6
	s_subb_u32 s19, s11, s7
	s_and_b32 s6, s10, 3
	s_mov_b32 s7, s3
	s_or_b64 s[4:5], s[4:5], s[6:7]
	s_or_b64 s[2:3], s[4:5], s[2:3]
	s_cmp_eq_u64 s[2:3], 0
	s_mov_b64 s[2:3], -1
	s_cbranch_scc1 .LBB65_81
; %bb.1:
	v_cmp_lt_i64_e64 s[2:3], s[18:19], 1
	s_and_b64 vcc, exec, s[2:3]
	s_cbranch_vccnz .LBB65_80
; %bb.2:
	s_load_dword s4, s[0:1], 0xc5c
	v_mov_b64_e32 v[2:3], 0x10000
	v_cmp_lt_i64_e32 vcc, s[18:19], v[2:3]
	s_and_b64 s[2:3], vcc, exec
	s_cselect_b32 s23, s19, 0
	s_cselect_b32 s22, s18, 0x10000
	s_waitcnt lgkmcnt(0)
	s_and_b32 s20, s4, 0xffff
	v_cmp_lt_u64_e32 vcc, s[18:19], v[2:3]
	s_and_b64 s[2:3], vcc, exec
	s_cselect_b32 s25, s19, 0
	s_cselect_b32 s24, s18, 0x10000
	s_lshl_b32 s26, s20, 1
	s_sext_i32_i16 s2, s33
	s_cmp_gt_i32 s2, -1
	s_cselect_b64 s[30:31], -1, 0
	s_and_b32 s2, 0xffff, s33
	s_cmp_lg_u32 s2, 0
	s_cselect_b64 s[2:3], -1, 0
	v_cndmask_b32_e64 v2, 0, 1, s[2:3]
	s_mov_b32 s21, 0
	s_bitcmp0_b32 s33, 0
	v_cmp_ne_u32_e64 s[2:3], 1, v2
	v_cndmask_b32_e64 v2, 0, 1, s[30:31]
	v_mov_b32_e32 v1, 0
	s_mov_b32 s27, s21
	s_mul_i32 s28, s20, 3
	s_mov_b32 s29, s21
	s_cselect_b32 s42, 1, 0xffff
	s_lshl_b32 s43, s20, 2
	s_mov_b64 s[34:35], 0
	v_cmp_ne_u32_e64 s[4:5], 1, v2
	s_branch .LBB65_4
.LBB65_3:                               ;   in Loop: Header=BB65_4 Depth=1
	s_or_b64 exec, exec, s[6:7]
	s_add_u32 s34, s34, s43
	s_addc_u32 s35, s35, 0
	v_mov_b64_e32 v[2:3], s[22:23]
	v_cmp_ge_i64_e32 vcc, s[34:35], v[2:3]
	s_cbranch_vccnz .LBB65_80
.LBB65_4:                               ; =>This Loop Header: Depth=1
                                        ;     Child Loop BB65_15 Depth 2
                                        ;     Child Loop BB65_20 Depth 2
	;; [unrolled: 1-line block ×4, first 2 shown]
	v_lshl_add_u64 v[2:3], s[34:35], 0, v[0:1]
	v_cmp_gt_u64_e64 s[6:7], s[24:25], v[2:3]
	s_waitcnt vmcnt(0)
	v_mov_b32_e32 v13, 0
	s_and_saveexec_b64 s[8:9], s[6:7]
	s_cbranch_execz .LBB65_6
; %bb.5:                                ;   in Loop: Header=BB65_4 Depth=1
	v_lshl_add_u64 v[4:5], v[2:3], 1, s[14:15]
	global_load_ushort v13, v[4:5], off
.LBB65_6:                               ;   in Loop: Header=BB65_4 Depth=1
	s_or_b64 exec, exec, s[8:9]
	v_lshl_add_u64 v[4:5], v[2:3], 0, s[20:21]
	v_cmp_gt_u64_e64 s[8:9], s[24:25], v[4:5]
	v_mov_b32_e32 v12, 0
	v_mov_b32_e32 v14, 0
	s_and_saveexec_b64 s[10:11], s[8:9]
	s_cbranch_execz .LBB65_8
; %bb.7:                                ;   in Loop: Header=BB65_4 Depth=1
	v_lshl_add_u64 v[6:7], v[4:5], 1, s[14:15]
	global_load_ushort v14, v[6:7], off
.LBB65_8:                               ;   in Loop: Header=BB65_4 Depth=1
	s_or_b64 exec, exec, s[10:11]
	v_lshl_add_u64 v[6:7], v[2:3], 0, s[26:27]
	v_cmp_gt_u64_e64 s[10:11], s[24:25], v[6:7]
	s_and_saveexec_b64 s[12:13], s[10:11]
	s_cbranch_execz .LBB65_10
; %bb.9:                                ;   in Loop: Header=BB65_4 Depth=1
	v_lshl_add_u64 v[8:9], v[6:7], 1, s[14:15]
	global_load_ushort v12, v[8:9], off
.LBB65_10:                              ;   in Loop: Header=BB65_4 Depth=1
	s_or_b64 exec, exec, s[12:13]
	v_lshl_add_u64 v[8:9], v[2:3], 0, s[28:29]
	v_cmp_gt_u64_e64 s[12:13], s[24:25], v[8:9]
	v_mov_b32_e32 v10, 0
	s_and_saveexec_b64 s[36:37], s[12:13]
	s_cbranch_execz .LBB65_12
; %bb.11:                               ;   in Loop: Header=BB65_4 Depth=1
	v_lshl_add_u64 v[10:11], v[8:9], 1, s[14:15]
	global_load_ushort v10, v[10:11], off
.LBB65_12:                              ;   in Loop: Header=BB65_4 Depth=1
	s_or_b64 exec, exec, s[36:37]
	s_mov_b64 s[36:37], -1
	s_and_b64 vcc, exec, s[30:31]
                                        ; implicit-def: $vgpr11
	s_cbranch_vccz .LBB65_36
; %bb.13:                               ;   in Loop: Header=BB65_4 Depth=1
	v_mov_b32_e32 v11, 1
	s_and_b64 vcc, exec, s[2:3]
	s_cbranch_vccnz .LBB65_16
; %bb.14:                               ;   in Loop: Header=BB65_4 Depth=1
	s_mov_b32 s36, s33
	s_waitcnt vmcnt(0)
	v_mov_b32_e32 v15, v13
.LBB65_15:                              ;   Parent Loop BB65_4 Depth=1
                                        ; =>  This Inner Loop Header: Depth=2
	s_bitcmp1_b32 s36, 0
	s_cselect_b64 vcc, -1, 0
	s_and_b32 s37, 0xffff, s36
	v_cndmask_b32_e32 v16, 1, v15, vcc
	s_lshr_b32 s37, s37, 1
	s_sext_i32_i16 s36, s36
	v_mul_lo_u16_e32 v11, v16, v11
	v_mul_lo_u16_e32 v15, v15, v15
	s_cmp_gt_i32 s36, 1
	s_mov_b32 s36, s37
	s_cbranch_scc1 .LBB65_15
.LBB65_16:                              ;   in Loop: Header=BB65_4 Depth=1
	s_cbranch_execz .LBB65_37
.LBB65_17:                              ;   in Loop: Header=BB65_4 Depth=1
	s_and_b64 vcc, exec, s[4:5]
	s_mov_b64 s[36:37], -1
                                        ; implicit-def: $vgpr13
	s_cbranch_vccnz .LBB65_46
.LBB65_18:                              ;   in Loop: Header=BB65_4 Depth=1
	s_waitcnt vmcnt(0)
	v_mov_b32_e32 v13, 1
	s_and_b64 vcc, exec, s[2:3]
	s_cbranch_vccnz .LBB65_21
; %bb.19:                               ;   in Loop: Header=BB65_4 Depth=1
	s_mov_b32 s36, s33
	v_mov_b32_e32 v15, v14
.LBB65_20:                              ;   Parent Loop BB65_4 Depth=1
                                        ; =>  This Inner Loop Header: Depth=2
	s_bitcmp1_b32 s36, 0
	s_cselect_b64 vcc, -1, 0
	s_and_b32 s37, 0xffff, s36
	v_cndmask_b32_e32 v16, 1, v15, vcc
	s_lshr_b32 s37, s37, 1
	s_sext_i32_i16 s36, s36
	v_mul_lo_u16_e32 v13, v16, v13
	v_mul_lo_u16_e32 v15, v15, v15
	s_cmp_lt_i32 s36, 2
	s_mov_b32 s36, s37
	s_cbranch_scc0 .LBB65_20
.LBB65_21:                              ;   in Loop: Header=BB65_4 Depth=1
	s_cbranch_execz .LBB65_47
.LBB65_22:                              ;   in Loop: Header=BB65_4 Depth=1
	s_and_b64 vcc, exec, s[4:5]
	s_mov_b64 s[36:37], -1
                                        ; implicit-def: $vgpr14
	s_cbranch_vccnz .LBB65_56
.LBB65_23:                              ;   in Loop: Header=BB65_4 Depth=1
	s_waitcnt vmcnt(0)
	v_mov_b32_e32 v14, 1
	s_and_b64 vcc, exec, s[2:3]
	s_cbranch_vccnz .LBB65_26
; %bb.24:                               ;   in Loop: Header=BB65_4 Depth=1
	s_mov_b32 s36, s33
	v_mov_b32_e32 v15, v12
.LBB65_25:                              ;   Parent Loop BB65_4 Depth=1
                                        ; =>  This Inner Loop Header: Depth=2
	s_bitcmp1_b32 s36, 0
	s_cselect_b64 vcc, -1, 0
	s_and_b32 s37, 0xffff, s36
	v_cndmask_b32_e32 v16, 1, v15, vcc
	s_lshr_b32 s37, s37, 1
	s_sext_i32_i16 s36, s36
	v_mul_lo_u16_e32 v14, v16, v14
	v_mul_lo_u16_e32 v15, v15, v15
	s_cmp_lt_i32 s36, 2
	s_mov_b32 s36, s37
	s_cbranch_scc0 .LBB65_25
.LBB65_26:                              ;   in Loop: Header=BB65_4 Depth=1
	s_cbranch_execz .LBB65_57
.LBB65_27:                              ;   in Loop: Header=BB65_4 Depth=1
	s_and_b64 vcc, exec, s[4:5]
	s_mov_b64 s[36:37], -1
                                        ; implicit-def: $vgpr12
	s_cbranch_vccnz .LBB65_66
.LBB65_28:                              ;   in Loop: Header=BB65_4 Depth=1
	s_waitcnt vmcnt(0)
	v_mov_b32_e32 v12, 1
	s_and_b64 vcc, exec, s[2:3]
	s_cbranch_vccnz .LBB65_31
; %bb.29:                               ;   in Loop: Header=BB65_4 Depth=1
	s_mov_b32 s36, s33
	v_mov_b32_e32 v15, v10
.LBB65_30:                              ;   Parent Loop BB65_4 Depth=1
                                        ; =>  This Inner Loop Header: Depth=2
	s_bitcmp1_b32 s36, 0
	s_cselect_b64 vcc, -1, 0
	s_and_b32 s37, 0xffff, s36
	v_cndmask_b32_e32 v16, 1, v15, vcc
	s_lshr_b32 s37, s37, 1
	s_sext_i32_i16 s36, s36
	v_mul_lo_u16_e32 v12, v16, v12
	v_mul_lo_u16_e32 v15, v15, v15
	s_cmp_lt_i32 s36, 2
	s_mov_b32 s36, s37
	s_cbranch_scc0 .LBB65_30
.LBB65_31:                              ;   in Loop: Header=BB65_4 Depth=1
	s_cbranch_execz .LBB65_67
.LBB65_32:                              ;   in Loop: Header=BB65_4 Depth=1
	s_and_saveexec_b64 s[36:37], s[6:7]
	s_xor_b64 s[6:7], exec, s[36:37]
	s_cbranch_execz .LBB65_76
.LBB65_33:                              ;   in Loop: Header=BB65_4 Depth=1
	v_lshl_add_u64 v[2:3], v[2:3], 1, s[16:17]
	global_store_short v[2:3], v11, off
	s_or_b64 exec, exec, s[6:7]
	s_and_saveexec_b64 s[6:7], s[8:9]
	s_cbranch_execnz .LBB65_77
.LBB65_34:                              ;   in Loop: Header=BB65_4 Depth=1
	s_or_b64 exec, exec, s[6:7]
	s_and_saveexec_b64 s[6:7], s[10:11]
	s_cbranch_execz .LBB65_78
.LBB65_35:                              ;   in Loop: Header=BB65_4 Depth=1
	v_lshl_add_u64 v[2:3], v[6:7], 1, s[16:17]
	s_waitcnt vmcnt(0)
	global_store_short v[2:3], v14, off
	s_or_b64 exec, exec, s[6:7]
	s_and_saveexec_b64 s[6:7], s[12:13]
	s_cbranch_execz .LBB65_3
	s_branch .LBB65_79
.LBB65_36:                              ;   in Loop: Header=BB65_4 Depth=1
	s_andn2_b64 vcc, exec, s[36:37]
	s_cbranch_vccnz .LBB65_17
.LBB65_37:                              ;   in Loop: Header=BB65_4 Depth=1
	s_waitcnt vmcnt(0)
	v_cmp_lt_i16_e32 vcc, 0, v13
	s_mov_b64 s[36:37], 0
	s_mov_b64 s[38:39], 0
	s_and_saveexec_b64 s[40:41], vcc
	s_xor_b64 s[40:41], exec, s[40:41]
	s_cbranch_execz .LBB65_41
; %bb.38:                               ;   in Loop: Header=BB65_4 Depth=1
	v_cmp_ne_u16_e32 vcc, 1, v13
	s_and_b64 s[38:39], vcc, exec
	s_andn2_saveexec_b64 s[40:41], s[40:41]
	s_cbranch_execnz .LBB65_42
.LBB65_39:                              ;   in Loop: Header=BB65_4 Depth=1
	s_or_b64 exec, exec, s[40:41]
	s_and_saveexec_b64 s[40:41], s[38:39]
	s_xor_b64 s[38:39], exec, s[40:41]
	s_cbranch_execz .LBB65_43
.LBB65_40:                              ;   in Loop: Header=BB65_4 Depth=1
	v_mov_b32_e32 v13, 0
	s_andn2_b64 s[36:37], s[36:37], exec
	s_or_b64 exec, exec, s[38:39]
	s_and_saveexec_b64 s[38:39], s[36:37]
	s_cbranch_execnz .LBB65_44
	s_branch .LBB65_45
.LBB65_41:                              ;   in Loop: Header=BB65_4 Depth=1
	s_andn2_saveexec_b64 s[40:41], s[40:41]
	s_cbranch_execz .LBB65_39
.LBB65_42:                              ;   in Loop: Header=BB65_4 Depth=1
	v_cmp_ne_u16_e32 vcc, -1, v13
	s_andn2_b64 s[38:39], s[38:39], exec
	s_and_b64 s[44:45], vcc, exec
	s_mov_b64 s[36:37], exec
	s_or_b64 s[38:39], s[38:39], s[44:45]
	s_or_b64 exec, exec, s[40:41]
	s_and_saveexec_b64 s[40:41], s[38:39]
	s_xor_b64 s[38:39], exec, s[40:41]
	s_cbranch_execnz .LBB65_40
.LBB65_43:                              ;   in Loop: Header=BB65_4 Depth=1
	s_or_b64 exec, exec, s[38:39]
	s_and_saveexec_b64 s[38:39], s[36:37]
.LBB65_44:                              ;   in Loop: Header=BB65_4 Depth=1
	v_mov_b32_e32 v13, s42
.LBB65_45:                              ;   in Loop: Header=BB65_4 Depth=1
	s_or_b64 exec, exec, s[38:39]
	v_mov_b32_e32 v11, v13
	s_and_b64 vcc, exec, s[4:5]
	s_mov_b64 s[36:37], -1
                                        ; implicit-def: $vgpr13
	s_cbranch_vccz .LBB65_18
.LBB65_46:                              ;   in Loop: Header=BB65_4 Depth=1
	s_andn2_b64 vcc, exec, s[36:37]
	s_cbranch_vccnz .LBB65_22
.LBB65_47:                              ;   in Loop: Header=BB65_4 Depth=1
	s_waitcnt vmcnt(0)
	v_cmp_lt_i16_e32 vcc, 0, v14
	s_mov_b64 s[36:37], 0
	s_mov_b64 s[38:39], 0
	s_and_saveexec_b64 s[40:41], vcc
	s_xor_b64 s[40:41], exec, s[40:41]
	s_cbranch_execz .LBB65_51
; %bb.48:                               ;   in Loop: Header=BB65_4 Depth=1
	v_cmp_ne_u16_e32 vcc, 1, v14
	s_and_b64 s[38:39], vcc, exec
	s_andn2_saveexec_b64 s[40:41], s[40:41]
	s_cbranch_execnz .LBB65_52
.LBB65_49:                              ;   in Loop: Header=BB65_4 Depth=1
	s_or_b64 exec, exec, s[40:41]
	s_and_saveexec_b64 s[40:41], s[38:39]
	s_xor_b64 s[38:39], exec, s[40:41]
	s_cbranch_execz .LBB65_53
.LBB65_50:                              ;   in Loop: Header=BB65_4 Depth=1
	v_mov_b32_e32 v14, 0
	s_andn2_b64 s[36:37], s[36:37], exec
	s_or_b64 exec, exec, s[38:39]
	s_and_saveexec_b64 s[38:39], s[36:37]
	s_cbranch_execnz .LBB65_54
	s_branch .LBB65_55
.LBB65_51:                              ;   in Loop: Header=BB65_4 Depth=1
	s_andn2_saveexec_b64 s[40:41], s[40:41]
	s_cbranch_execz .LBB65_49
.LBB65_52:                              ;   in Loop: Header=BB65_4 Depth=1
	v_cmp_ne_u16_e32 vcc, -1, v14
	s_andn2_b64 s[38:39], s[38:39], exec
	s_and_b64 s[44:45], vcc, exec
	s_mov_b64 s[36:37], exec
	s_or_b64 s[38:39], s[38:39], s[44:45]
	s_or_b64 exec, exec, s[40:41]
	s_and_saveexec_b64 s[40:41], s[38:39]
	s_xor_b64 s[38:39], exec, s[40:41]
	s_cbranch_execnz .LBB65_50
.LBB65_53:                              ;   in Loop: Header=BB65_4 Depth=1
	s_or_b64 exec, exec, s[38:39]
	s_and_saveexec_b64 s[38:39], s[36:37]
.LBB65_54:                              ;   in Loop: Header=BB65_4 Depth=1
	v_mov_b32_e32 v14, s42
.LBB65_55:                              ;   in Loop: Header=BB65_4 Depth=1
	s_or_b64 exec, exec, s[38:39]
	v_mov_b32_e32 v13, v14
	s_and_b64 vcc, exec, s[4:5]
	s_mov_b64 s[36:37], -1
                                        ; implicit-def: $vgpr14
	s_cbranch_vccz .LBB65_23
.LBB65_56:                              ;   in Loop: Header=BB65_4 Depth=1
	s_andn2_b64 vcc, exec, s[36:37]
	s_cbranch_vccnz .LBB65_27
.LBB65_57:                              ;   in Loop: Header=BB65_4 Depth=1
	s_waitcnt vmcnt(0)
	v_cmp_lt_i16_e32 vcc, 0, v12
	s_mov_b64 s[36:37], 0
	s_mov_b64 s[38:39], 0
	s_and_saveexec_b64 s[40:41], vcc
	s_xor_b64 s[40:41], exec, s[40:41]
	s_cbranch_execz .LBB65_61
; %bb.58:                               ;   in Loop: Header=BB65_4 Depth=1
	v_cmp_ne_u16_e32 vcc, 1, v12
	s_and_b64 s[38:39], vcc, exec
	s_andn2_saveexec_b64 s[40:41], s[40:41]
	s_cbranch_execnz .LBB65_62
.LBB65_59:                              ;   in Loop: Header=BB65_4 Depth=1
	s_or_b64 exec, exec, s[40:41]
	s_and_saveexec_b64 s[40:41], s[38:39]
	s_xor_b64 s[38:39], exec, s[40:41]
	s_cbranch_execz .LBB65_63
.LBB65_60:                              ;   in Loop: Header=BB65_4 Depth=1
	v_mov_b32_e32 v12, 0
	s_andn2_b64 s[36:37], s[36:37], exec
	s_or_b64 exec, exec, s[38:39]
	s_and_saveexec_b64 s[38:39], s[36:37]
	s_cbranch_execnz .LBB65_64
	s_branch .LBB65_65
.LBB65_61:                              ;   in Loop: Header=BB65_4 Depth=1
	s_andn2_saveexec_b64 s[40:41], s[40:41]
	s_cbranch_execz .LBB65_59
.LBB65_62:                              ;   in Loop: Header=BB65_4 Depth=1
	v_cmp_ne_u16_e32 vcc, -1, v12
	s_andn2_b64 s[38:39], s[38:39], exec
	s_and_b64 s[44:45], vcc, exec
	s_mov_b64 s[36:37], exec
	s_or_b64 s[38:39], s[38:39], s[44:45]
	s_or_b64 exec, exec, s[40:41]
	s_and_saveexec_b64 s[40:41], s[38:39]
	s_xor_b64 s[38:39], exec, s[40:41]
	s_cbranch_execnz .LBB65_60
.LBB65_63:                              ;   in Loop: Header=BB65_4 Depth=1
	s_or_b64 exec, exec, s[38:39]
	s_and_saveexec_b64 s[38:39], s[36:37]
.LBB65_64:                              ;   in Loop: Header=BB65_4 Depth=1
	v_mov_b32_e32 v12, s42
.LBB65_65:                              ;   in Loop: Header=BB65_4 Depth=1
	s_or_b64 exec, exec, s[38:39]
	v_mov_b32_e32 v14, v12
	s_and_b64 vcc, exec, s[4:5]
	s_mov_b64 s[36:37], -1
                                        ; implicit-def: $vgpr12
	s_cbranch_vccz .LBB65_28
.LBB65_66:                              ;   in Loop: Header=BB65_4 Depth=1
	s_andn2_b64 vcc, exec, s[36:37]
	s_cbranch_vccnz .LBB65_32
.LBB65_67:                              ;   in Loop: Header=BB65_4 Depth=1
	s_waitcnt vmcnt(0)
	v_cmp_lt_i16_e32 vcc, 0, v10
	s_mov_b64 s[36:37], 0
	s_mov_b64 s[38:39], 0
	s_and_saveexec_b64 s[40:41], vcc
	s_xor_b64 s[40:41], exec, s[40:41]
	s_cbranch_execz .LBB65_71
; %bb.68:                               ;   in Loop: Header=BB65_4 Depth=1
	v_cmp_ne_u16_e32 vcc, 1, v10
	s_and_b64 s[38:39], vcc, exec
	s_andn2_saveexec_b64 s[40:41], s[40:41]
	s_cbranch_execnz .LBB65_72
.LBB65_69:                              ;   in Loop: Header=BB65_4 Depth=1
	s_or_b64 exec, exec, s[40:41]
	s_and_saveexec_b64 s[40:41], s[38:39]
	s_xor_b64 s[38:39], exec, s[40:41]
	s_cbranch_execz .LBB65_73
.LBB65_70:                              ;   in Loop: Header=BB65_4 Depth=1
	v_mov_b32_e32 v10, 0
	s_andn2_b64 s[36:37], s[36:37], exec
	s_or_b64 exec, exec, s[38:39]
	s_and_saveexec_b64 s[38:39], s[36:37]
	s_cbranch_execnz .LBB65_74
	s_branch .LBB65_75
.LBB65_71:                              ;   in Loop: Header=BB65_4 Depth=1
	s_andn2_saveexec_b64 s[40:41], s[40:41]
	s_cbranch_execz .LBB65_69
.LBB65_72:                              ;   in Loop: Header=BB65_4 Depth=1
	v_cmp_ne_u16_e32 vcc, -1, v10
	s_andn2_b64 s[38:39], s[38:39], exec
	s_and_b64 s[44:45], vcc, exec
	s_mov_b64 s[36:37], exec
	s_or_b64 s[38:39], s[38:39], s[44:45]
	s_or_b64 exec, exec, s[40:41]
	s_and_saveexec_b64 s[40:41], s[38:39]
	s_xor_b64 s[38:39], exec, s[40:41]
	s_cbranch_execnz .LBB65_70
.LBB65_73:                              ;   in Loop: Header=BB65_4 Depth=1
	s_or_b64 exec, exec, s[38:39]
	s_and_saveexec_b64 s[38:39], s[36:37]
.LBB65_74:                              ;   in Loop: Header=BB65_4 Depth=1
	v_mov_b32_e32 v10, s42
.LBB65_75:                              ;   in Loop: Header=BB65_4 Depth=1
	s_or_b64 exec, exec, s[38:39]
	v_mov_b32_e32 v12, v10
	s_and_saveexec_b64 s[36:37], s[6:7]
	s_xor_b64 s[6:7], exec, s[36:37]
	s_cbranch_execnz .LBB65_33
.LBB65_76:                              ;   in Loop: Header=BB65_4 Depth=1
	s_or_b64 exec, exec, s[6:7]
	s_and_saveexec_b64 s[6:7], s[8:9]
	s_cbranch_execz .LBB65_34
.LBB65_77:                              ;   in Loop: Header=BB65_4 Depth=1
	v_lshl_add_u64 v[2:3], v[4:5], 1, s[16:17]
	s_waitcnt vmcnt(0)
	global_store_short v[2:3], v13, off
	s_or_b64 exec, exec, s[6:7]
	s_and_saveexec_b64 s[6:7], s[10:11]
	s_cbranch_execnz .LBB65_35
.LBB65_78:                              ;   in Loop: Header=BB65_4 Depth=1
	s_or_b64 exec, exec, s[6:7]
	s_and_saveexec_b64 s[6:7], s[12:13]
	s_cbranch_execz .LBB65_3
.LBB65_79:                              ;   in Loop: Header=BB65_4 Depth=1
	v_lshl_add_u64 v[2:3], v[8:9], 1, s[16:17]
	s_waitcnt vmcnt(0)
	global_store_short v[2:3], v12, off
	s_branch .LBB65_3
.LBB65_80:
	s_mov_b64 s[2:3], 0
.LBB65_81:
	s_andn2_b64 vcc, exec, s[2:3]
	s_cbranch_vccnz .LBB65_145
; %bb.82:
	v_mov_b64_e32 v[4:5], 0x10000
	v_cmp_lt_i64_e32 vcc, s[18:19], v[4:5]
	s_and_b64 s[2:3], vcc, exec
	v_mov_b32_e32 v3, 0
	s_cselect_b32 s7, s19, 0
	s_cselect_b32 s6, s18, 0x10000
	v_lshlrev_b32_e32 v2, 2, v0
	s_mov_b32 s5, 0
	v_cmp_gt_i64_e32 vcc, s[6:7], v[2:3]
	s_and_saveexec_b64 s[2:3], vcc
	s_cbranch_execz .LBB65_145
; %bb.83:
	s_sext_i32_i16 s2, s33
	s_cmp_gt_i32 s2, -1
	s_cselect_b64 s[8:9], -1, 0
	s_and_b32 s2, 0xffff, s33
	s_load_dword s3, s[0:1], 0xc5c
	s_cmp_lg_u32 s2, 0
	s_cselect_b64 s[0:1], -1, 0
	v_cndmask_b32_e64 v2, 0, 1, s[0:1]
	s_bitcmp0_b32 s33, 0
	v_cmp_ne_u32_e64 s[0:1], 1, v2
	v_cndmask_b32_e64 v2, 0, 1, s[8:9]
	v_mov_b32_e32 v1, v3
	s_cselect_b32 s22, 1, 0xffff
	s_waitcnt lgkmcnt(0)
	s_and_b32 s4, s3, 0xffff
	s_mov_b64 s[10:11], 0
	v_cmp_ne_u32_e64 s[2:3], 1, v2
	s_mov_b32 s23, 0x5040100
	s_branch .LBB65_86
.LBB65_84:                              ;   in Loop: Header=BB65_86 Depth=1
	s_or_b64 exec, exec, s[18:19]
	v_mov_b32_e32 v6, v3
.LBB65_85:                              ;   in Loop: Header=BB65_86 Depth=1
	v_perm_b32 v3, v6, v5, s23
	v_perm_b32 v2, v2, v4, s23
	v_lshl_add_u64 v[4:5], v[0:1], 3, s[16:17]
	v_lshl_add_u64 v[0:1], v[0:1], 0, s[4:5]
	v_lshlrev_b64 v[6:7], 2, v[0:1]
	v_cmp_le_i64_e32 vcc, s[6:7], v[6:7]
	s_or_b64 s[10:11], vcc, s[10:11]
	global_store_dwordx2 v[4:5], v[2:3], off
	s_andn2_b64 exec, exec, s[10:11]
	s_cbranch_execz .LBB65_145
.LBB65_86:                              ; =>This Loop Header: Depth=1
                                        ;     Child Loop BB65_89 Depth 2
                                        ;     Child Loop BB65_94 Depth 2
	;; [unrolled: 1-line block ×4, first 2 shown]
	v_lshl_add_u64 v[2:3], v[0:1], 3, s[14:15]
	global_load_dwordx2 v[2:3], v[2:3], off
	s_mov_b64 s[12:13], -1
	s_and_b64 vcc, exec, s[8:9]
                                        ; implicit-def: $vgpr4
	s_cbranch_vccz .LBB65_106
; %bb.87:                               ;   in Loop: Header=BB65_86 Depth=1
	v_mov_b32_e32 v4, 1
	s_and_b64 vcc, exec, s[0:1]
	s_cbranch_vccnz .LBB65_90
; %bb.88:                               ;   in Loop: Header=BB65_86 Depth=1
	s_mov_b32 s12, s33
	s_waitcnt vmcnt(0)
	v_mov_b32_e32 v5, v2
.LBB65_89:                              ;   Parent Loop BB65_86 Depth=1
                                        ; =>  This Inner Loop Header: Depth=2
	s_bitcmp1_b32 s12, 0
	s_cselect_b64 vcc, -1, 0
	s_and_b32 s13, 0xffff, s12
	v_cndmask_b32_e32 v6, 1, v5, vcc
	s_lshr_b32 s13, s13, 1
	s_sext_i32_i16 s12, s12
	v_mul_lo_u16_e32 v4, v6, v4
	v_mul_lo_u16_e32 v5, v5, v5
	s_cmp_gt_i32 s12, 1
	s_mov_b32 s12, s13
	s_cbranch_scc1 .LBB65_89
.LBB65_90:                              ;   in Loop: Header=BB65_86 Depth=1
	s_cbranch_execz .LBB65_107
.LBB65_91:                              ;   in Loop: Header=BB65_86 Depth=1
	s_waitcnt vmcnt(0)
	v_lshrrev_b32_e32 v5, 16, v2
	s_and_b64 vcc, exec, s[2:3]
	s_mov_b64 s[12:13], -1
                                        ; implicit-def: $vgpr2
	s_cbranch_vccnz .LBB65_116
.LBB65_92:                              ;   in Loop: Header=BB65_86 Depth=1
	v_mov_b32_e32 v2, 1
	s_and_b64 vcc, exec, s[0:1]
	s_cbranch_vccnz .LBB65_95
; %bb.93:                               ;   in Loop: Header=BB65_86 Depth=1
	s_mov_b32 s12, s33
	v_mov_b32_e32 v6, v5
.LBB65_94:                              ;   Parent Loop BB65_86 Depth=1
                                        ; =>  This Inner Loop Header: Depth=2
	s_bitcmp1_b32 s12, 0
	s_cselect_b64 vcc, -1, 0
	s_and_b32 s13, 0xffff, s12
	v_cndmask_b32_e32 v7, 1, v6, vcc
	s_lshr_b32 s13, s13, 1
	s_sext_i32_i16 s12, s12
	v_mul_lo_u16_e32 v2, v7, v2
	v_mul_lo_u16_e32 v6, v6, v6
	s_cmp_lt_i32 s12, 2
	s_mov_b32 s12, s13
	s_cbranch_scc0 .LBB65_94
.LBB65_95:                              ;   in Loop: Header=BB65_86 Depth=1
	s_cbranch_execz .LBB65_117
.LBB65_96:                              ;   in Loop: Header=BB65_86 Depth=1
	v_mov_b32_e32 v6, v3
	s_and_b64 vcc, exec, s[2:3]
	s_mov_b64 s[12:13], -1
                                        ; implicit-def: $vgpr5
	s_cbranch_vccnz .LBB65_126
.LBB65_97:                              ;   in Loop: Header=BB65_86 Depth=1
	v_mov_b32_e32 v5, 1
	s_and_b64 vcc, exec, s[0:1]
	s_cbranch_vccnz .LBB65_100
; %bb.98:                               ;   in Loop: Header=BB65_86 Depth=1
	s_mov_b32 s12, s33
	v_mov_b32_e32 v7, v6
.LBB65_99:                              ;   Parent Loop BB65_86 Depth=1
                                        ; =>  This Inner Loop Header: Depth=2
	s_bitcmp1_b32 s12, 0
	s_cselect_b64 vcc, -1, 0
	s_and_b32 s13, 0xffff, s12
	v_cndmask_b32_e32 v8, 1, v7, vcc
	s_lshr_b32 s13, s13, 1
	s_sext_i32_i16 s12, s12
	v_mul_lo_u16_e32 v5, v8, v5
	v_mul_lo_u16_e32 v7, v7, v7
	s_cmp_lt_i32 s12, 2
	s_mov_b32 s12, s13
	s_cbranch_scc0 .LBB65_99
.LBB65_100:                             ;   in Loop: Header=BB65_86 Depth=1
	s_cbranch_execz .LBB65_127
.LBB65_101:                             ;   in Loop: Header=BB65_86 Depth=1
	v_lshrrev_b32_e32 v3, 16, v3
	s_and_b64 vcc, exec, s[2:3]
	s_mov_b64 s[12:13], -1
                                        ; implicit-def: $vgpr6
	s_cbranch_vccnz .LBB65_136
.LBB65_102:                             ;   in Loop: Header=BB65_86 Depth=1
	v_mov_b32_e32 v6, 1
	s_and_b64 vcc, exec, s[0:1]
	s_cbranch_vccnz .LBB65_105
; %bb.103:                              ;   in Loop: Header=BB65_86 Depth=1
	s_mov_b32 s12, s33
	v_mov_b32_e32 v7, v3
.LBB65_104:                             ;   Parent Loop BB65_86 Depth=1
                                        ; =>  This Inner Loop Header: Depth=2
	s_bitcmp1_b32 s12, 0
	s_cselect_b64 vcc, -1, 0
	s_and_b32 s13, 0xffff, s12
	v_cndmask_b32_e32 v8, 1, v7, vcc
	s_lshr_b32 s13, s13, 1
	s_sext_i32_i16 s12, s12
	v_mul_lo_u16_e32 v6, v8, v6
	v_mul_lo_u16_e32 v7, v7, v7
	s_cmp_lt_i32 s12, 2
	s_mov_b32 s12, s13
	s_cbranch_scc0 .LBB65_104
.LBB65_105:                             ;   in Loop: Header=BB65_86 Depth=1
	s_cbranch_execnz .LBB65_85
	s_branch .LBB65_137
.LBB65_106:                             ;   in Loop: Header=BB65_86 Depth=1
	s_andn2_b64 vcc, exec, s[12:13]
	s_cbranch_vccnz .LBB65_91
.LBB65_107:                             ;   in Loop: Header=BB65_86 Depth=1
	s_waitcnt vmcnt(0)
	v_cmp_lt_i16_e32 vcc, 0, v2
	s_mov_b64 s[12:13], 0
	s_mov_b64 s[18:19], 0
	s_and_saveexec_b64 s[20:21], vcc
	s_xor_b64 s[20:21], exec, s[20:21]
; %bb.108:                              ;   in Loop: Header=BB65_86 Depth=1
	v_cmp_ne_u16_e32 vcc, 1, v2
	s_and_b64 s[18:19], vcc, exec
; %bb.109:                              ;   in Loop: Header=BB65_86 Depth=1
	s_andn2_saveexec_b64 s[20:21], s[20:21]
; %bb.110:                              ;   in Loop: Header=BB65_86 Depth=1
	v_cmp_ne_u16_e32 vcc, -1, v2
	s_andn2_b64 s[18:19], s[18:19], exec
	s_and_b64 s[24:25], vcc, exec
	s_mov_b64 s[12:13], exec
	s_or_b64 s[18:19], s[18:19], s[24:25]
; %bb.111:                              ;   in Loop: Header=BB65_86 Depth=1
	s_or_b64 exec, exec, s[20:21]
	v_mov_b32_e32 v4, v2
	s_and_saveexec_b64 s[20:21], s[18:19]
	s_xor_b64 s[18:19], exec, s[20:21]
; %bb.112:                              ;   in Loop: Header=BB65_86 Depth=1
	v_mov_b32_e32 v4, 0
	s_andn2_b64 s[12:13], s[12:13], exec
; %bb.113:                              ;   in Loop: Header=BB65_86 Depth=1
	s_or_b64 exec, exec, s[18:19]
	s_and_saveexec_b64 s[18:19], s[12:13]
; %bb.114:                              ;   in Loop: Header=BB65_86 Depth=1
	v_mov_b32_e32 v4, s22
; %bb.115:                              ;   in Loop: Header=BB65_86 Depth=1
	s_or_b64 exec, exec, s[18:19]
	v_lshrrev_b32_e32 v5, 16, v2
	s_and_b64 vcc, exec, s[2:3]
	s_mov_b64 s[12:13], -1
                                        ; implicit-def: $vgpr2
	s_cbranch_vccz .LBB65_92
.LBB65_116:                             ;   in Loop: Header=BB65_86 Depth=1
	s_andn2_b64 vcc, exec, s[12:13]
	s_cbranch_vccnz .LBB65_96
.LBB65_117:                             ;   in Loop: Header=BB65_86 Depth=1
	v_cmp_lt_i16_e32 vcc, 0, v5
	s_mov_b64 s[12:13], 0
	s_mov_b64 s[18:19], 0
	s_and_saveexec_b64 s[20:21], vcc
	s_xor_b64 s[20:21], exec, s[20:21]
	s_cbranch_execz .LBB65_121
; %bb.118:                              ;   in Loop: Header=BB65_86 Depth=1
	v_cmp_ne_u16_e32 vcc, 1, v5
	s_and_b64 s[18:19], vcc, exec
	s_andn2_saveexec_b64 s[20:21], s[20:21]
	s_cbranch_execnz .LBB65_122
.LBB65_119:                             ;   in Loop: Header=BB65_86 Depth=1
	s_or_b64 exec, exec, s[20:21]
	s_and_saveexec_b64 s[20:21], s[18:19]
	s_xor_b64 s[18:19], exec, s[20:21]
	s_cbranch_execz .LBB65_123
.LBB65_120:                             ;   in Loop: Header=BB65_86 Depth=1
	v_mov_b32_e32 v5, 0
	s_andn2_b64 s[12:13], s[12:13], exec
	s_or_b64 exec, exec, s[18:19]
	s_and_saveexec_b64 s[18:19], s[12:13]
	s_cbranch_execnz .LBB65_124
	s_branch .LBB65_125
.LBB65_121:                             ;   in Loop: Header=BB65_86 Depth=1
	s_andn2_saveexec_b64 s[20:21], s[20:21]
	s_cbranch_execz .LBB65_119
.LBB65_122:                             ;   in Loop: Header=BB65_86 Depth=1
	v_cmp_ne_u16_e32 vcc, -1, v5
	s_andn2_b64 s[18:19], s[18:19], exec
	s_and_b64 s[24:25], vcc, exec
	s_mov_b64 s[12:13], exec
	s_or_b64 s[18:19], s[18:19], s[24:25]
	s_or_b64 exec, exec, s[20:21]
	s_and_saveexec_b64 s[20:21], s[18:19]
	s_xor_b64 s[18:19], exec, s[20:21]
	s_cbranch_execnz .LBB65_120
.LBB65_123:                             ;   in Loop: Header=BB65_86 Depth=1
	s_or_b64 exec, exec, s[18:19]
	s_and_saveexec_b64 s[18:19], s[12:13]
.LBB65_124:                             ;   in Loop: Header=BB65_86 Depth=1
	v_mov_b32_e32 v5, s22
.LBB65_125:                             ;   in Loop: Header=BB65_86 Depth=1
	s_or_b64 exec, exec, s[18:19]
	v_mov_b32_e32 v2, v5
	v_mov_b32_e32 v6, v3
	s_and_b64 vcc, exec, s[2:3]
	s_mov_b64 s[12:13], -1
                                        ; implicit-def: $vgpr5
	s_cbranch_vccz .LBB65_97
.LBB65_126:                             ;   in Loop: Header=BB65_86 Depth=1
	s_andn2_b64 vcc, exec, s[12:13]
	s_cbranch_vccnz .LBB65_101
.LBB65_127:                             ;   in Loop: Header=BB65_86 Depth=1
	v_cmp_lt_i16_e32 vcc, 0, v3
	s_mov_b64 s[12:13], 0
	s_mov_b64 s[18:19], 0
	s_and_saveexec_b64 s[20:21], vcc
	s_xor_b64 s[20:21], exec, s[20:21]
	s_cbranch_execz .LBB65_131
; %bb.128:                              ;   in Loop: Header=BB65_86 Depth=1
	v_cmp_ne_u16_e32 vcc, 1, v3
	s_and_b64 s[18:19], vcc, exec
	s_andn2_saveexec_b64 s[20:21], s[20:21]
	s_cbranch_execnz .LBB65_132
.LBB65_129:                             ;   in Loop: Header=BB65_86 Depth=1
	s_or_b64 exec, exec, s[20:21]
	s_and_saveexec_b64 s[20:21], s[18:19]
	s_xor_b64 s[18:19], exec, s[20:21]
	s_cbranch_execz .LBB65_133
.LBB65_130:                             ;   in Loop: Header=BB65_86 Depth=1
	v_mov_b32_e32 v6, 0
	s_andn2_b64 s[12:13], s[12:13], exec
	s_or_b64 exec, exec, s[18:19]
	s_and_saveexec_b64 s[18:19], s[12:13]
	s_cbranch_execnz .LBB65_134
	s_branch .LBB65_135
.LBB65_131:                             ;   in Loop: Header=BB65_86 Depth=1
	s_andn2_saveexec_b64 s[20:21], s[20:21]
	s_cbranch_execz .LBB65_129
.LBB65_132:                             ;   in Loop: Header=BB65_86 Depth=1
	v_cmp_ne_u16_e32 vcc, -1, v3
	s_andn2_b64 s[18:19], s[18:19], exec
	s_and_b64 s[24:25], vcc, exec
	s_mov_b64 s[12:13], exec
	s_or_b64 s[18:19], s[18:19], s[24:25]
	s_or_b64 exec, exec, s[20:21]
	s_and_saveexec_b64 s[20:21], s[18:19]
	s_xor_b64 s[18:19], exec, s[20:21]
	s_cbranch_execnz .LBB65_130
.LBB65_133:                             ;   in Loop: Header=BB65_86 Depth=1
	s_or_b64 exec, exec, s[18:19]
	s_and_saveexec_b64 s[18:19], s[12:13]
.LBB65_134:                             ;   in Loop: Header=BB65_86 Depth=1
	v_mov_b32_e32 v6, s22
.LBB65_135:                             ;   in Loop: Header=BB65_86 Depth=1
	s_or_b64 exec, exec, s[18:19]
	v_mov_b32_e32 v5, v6
	v_lshrrev_b32_e32 v3, 16, v3
	s_and_b64 vcc, exec, s[2:3]
	s_mov_b64 s[12:13], -1
                                        ; implicit-def: $vgpr6
	s_cbranch_vccz .LBB65_102
.LBB65_136:                             ;   in Loop: Header=BB65_86 Depth=1
	s_andn2_b64 vcc, exec, s[12:13]
	s_cbranch_vccnz .LBB65_85
.LBB65_137:                             ;   in Loop: Header=BB65_86 Depth=1
	v_cmp_lt_i16_e32 vcc, 0, v3
	s_mov_b64 s[12:13], 0
	s_mov_b64 s[18:19], 0
	s_and_saveexec_b64 s[20:21], vcc
	s_xor_b64 s[20:21], exec, s[20:21]
	s_cbranch_execz .LBB65_141
; %bb.138:                              ;   in Loop: Header=BB65_86 Depth=1
	v_cmp_ne_u16_e32 vcc, 1, v3
	s_and_b64 s[18:19], vcc, exec
	s_andn2_saveexec_b64 s[20:21], s[20:21]
	s_cbranch_execnz .LBB65_142
.LBB65_139:                             ;   in Loop: Header=BB65_86 Depth=1
	s_or_b64 exec, exec, s[20:21]
	s_and_saveexec_b64 s[20:21], s[18:19]
	s_xor_b64 s[18:19], exec, s[20:21]
	s_cbranch_execz .LBB65_143
.LBB65_140:                             ;   in Loop: Header=BB65_86 Depth=1
	v_mov_b32_e32 v3, 0
	s_andn2_b64 s[12:13], s[12:13], exec
	s_or_b64 exec, exec, s[18:19]
	s_and_saveexec_b64 s[18:19], s[12:13]
	s_cbranch_execz .LBB65_84
	s_branch .LBB65_144
.LBB65_141:                             ;   in Loop: Header=BB65_86 Depth=1
	s_andn2_saveexec_b64 s[20:21], s[20:21]
	s_cbranch_execz .LBB65_139
.LBB65_142:                             ;   in Loop: Header=BB65_86 Depth=1
	v_cmp_ne_u16_e32 vcc, -1, v3
	s_andn2_b64 s[18:19], s[18:19], exec
	s_and_b64 s[24:25], vcc, exec
	s_mov_b64 s[12:13], exec
	s_or_b64 s[18:19], s[18:19], s[24:25]
	s_or_b64 exec, exec, s[20:21]
	s_and_saveexec_b64 s[20:21], s[18:19]
	s_xor_b64 s[18:19], exec, s[20:21]
	s_cbranch_execnz .LBB65_140
.LBB65_143:                             ;   in Loop: Header=BB65_86 Depth=1
	s_or_b64 exec, exec, s[18:19]
	s_and_saveexec_b64 s[18:19], s[12:13]
	s_cbranch_execz .LBB65_84
.LBB65_144:                             ;   in Loop: Header=BB65_86 Depth=1
	v_mov_b32_e32 v3, s22
	s_branch .LBB65_84
.LBB65_145:
	s_endpgm
	.section	.rodata,"a",@progbits
	.p2align	6, 0x0
	.amdhsa_kernel _ZN2at6native12_GLOBAL__N_125multi_tensor_apply_kernelINS1_18TensorListMetadataILi2EEENS1_21BinaryOpScalarFunctorIsLi2ELi1ELi1EEEJNS1_13power_functorIsEEsEEEvT_T0_DpT1_
		.amdhsa_group_segment_fixed_size 0
		.amdhsa_private_segment_fixed_size 0
		.amdhsa_kernarg_size 3408
		.amdhsa_user_sgpr_count 2
		.amdhsa_user_sgpr_dispatch_ptr 0
		.amdhsa_user_sgpr_queue_ptr 0
		.amdhsa_user_sgpr_kernarg_segment_ptr 1
		.amdhsa_user_sgpr_dispatch_id 0
		.amdhsa_user_sgpr_kernarg_preload_length 0
		.amdhsa_user_sgpr_kernarg_preload_offset 0
		.amdhsa_user_sgpr_private_segment_size 0
		.amdhsa_uses_dynamic_stack 0
		.amdhsa_enable_private_segment 0
		.amdhsa_system_sgpr_workgroup_id_x 1
		.amdhsa_system_sgpr_workgroup_id_y 0
		.amdhsa_system_sgpr_workgroup_id_z 0
		.amdhsa_system_sgpr_workgroup_info 0
		.amdhsa_system_vgpr_workitem_id 0
		.amdhsa_next_free_vgpr 17
		.amdhsa_next_free_sgpr 46
		.amdhsa_accum_offset 20
		.amdhsa_reserve_vcc 1
		.amdhsa_float_round_mode_32 0
		.amdhsa_float_round_mode_16_64 0
		.amdhsa_float_denorm_mode_32 3
		.amdhsa_float_denorm_mode_16_64 3
		.amdhsa_dx10_clamp 1
		.amdhsa_ieee_mode 1
		.amdhsa_fp16_overflow 0
		.amdhsa_tg_split 0
		.amdhsa_exception_fp_ieee_invalid_op 0
		.amdhsa_exception_fp_denorm_src 0
		.amdhsa_exception_fp_ieee_div_zero 0
		.amdhsa_exception_fp_ieee_overflow 0
		.amdhsa_exception_fp_ieee_underflow 0
		.amdhsa_exception_fp_ieee_inexact 0
		.amdhsa_exception_int_div_zero 0
	.end_amdhsa_kernel
	.section	.text._ZN2at6native12_GLOBAL__N_125multi_tensor_apply_kernelINS1_18TensorListMetadataILi2EEENS1_21BinaryOpScalarFunctorIsLi2ELi1ELi1EEEJNS1_13power_functorIsEEsEEEvT_T0_DpT1_,"axG",@progbits,_ZN2at6native12_GLOBAL__N_125multi_tensor_apply_kernelINS1_18TensorListMetadataILi2EEENS1_21BinaryOpScalarFunctorIsLi2ELi1ELi1EEEJNS1_13power_functorIsEEsEEEvT_T0_DpT1_,comdat
.Lfunc_end65:
	.size	_ZN2at6native12_GLOBAL__N_125multi_tensor_apply_kernelINS1_18TensorListMetadataILi2EEENS1_21BinaryOpScalarFunctorIsLi2ELi1ELi1EEEJNS1_13power_functorIsEEsEEEvT_T0_DpT1_, .Lfunc_end65-_ZN2at6native12_GLOBAL__N_125multi_tensor_apply_kernelINS1_18TensorListMetadataILi2EEENS1_21BinaryOpScalarFunctorIsLi2ELi1ELi1EEEJNS1_13power_functorIsEEsEEEvT_T0_DpT1_
                                        ; -- End function
	.set _ZN2at6native12_GLOBAL__N_125multi_tensor_apply_kernelINS1_18TensorListMetadataILi2EEENS1_21BinaryOpScalarFunctorIsLi2ELi1ELi1EEEJNS1_13power_functorIsEEsEEEvT_T0_DpT1_.num_vgpr, 17
	.set _ZN2at6native12_GLOBAL__N_125multi_tensor_apply_kernelINS1_18TensorListMetadataILi2EEENS1_21BinaryOpScalarFunctorIsLi2ELi1ELi1EEEJNS1_13power_functorIsEEsEEEvT_T0_DpT1_.num_agpr, 0
	.set _ZN2at6native12_GLOBAL__N_125multi_tensor_apply_kernelINS1_18TensorListMetadataILi2EEENS1_21BinaryOpScalarFunctorIsLi2ELi1ELi1EEEJNS1_13power_functorIsEEsEEEvT_T0_DpT1_.numbered_sgpr, 46
	.set _ZN2at6native12_GLOBAL__N_125multi_tensor_apply_kernelINS1_18TensorListMetadataILi2EEENS1_21BinaryOpScalarFunctorIsLi2ELi1ELi1EEEJNS1_13power_functorIsEEsEEEvT_T0_DpT1_.num_named_barrier, 0
	.set _ZN2at6native12_GLOBAL__N_125multi_tensor_apply_kernelINS1_18TensorListMetadataILi2EEENS1_21BinaryOpScalarFunctorIsLi2ELi1ELi1EEEJNS1_13power_functorIsEEsEEEvT_T0_DpT1_.private_seg_size, 0
	.set _ZN2at6native12_GLOBAL__N_125multi_tensor_apply_kernelINS1_18TensorListMetadataILi2EEENS1_21BinaryOpScalarFunctorIsLi2ELi1ELi1EEEJNS1_13power_functorIsEEsEEEvT_T0_DpT1_.uses_vcc, 1
	.set _ZN2at6native12_GLOBAL__N_125multi_tensor_apply_kernelINS1_18TensorListMetadataILi2EEENS1_21BinaryOpScalarFunctorIsLi2ELi1ELi1EEEJNS1_13power_functorIsEEsEEEvT_T0_DpT1_.uses_flat_scratch, 0
	.set _ZN2at6native12_GLOBAL__N_125multi_tensor_apply_kernelINS1_18TensorListMetadataILi2EEENS1_21BinaryOpScalarFunctorIsLi2ELi1ELi1EEEJNS1_13power_functorIsEEsEEEvT_T0_DpT1_.has_dyn_sized_stack, 0
	.set _ZN2at6native12_GLOBAL__N_125multi_tensor_apply_kernelINS1_18TensorListMetadataILi2EEENS1_21BinaryOpScalarFunctorIsLi2ELi1ELi1EEEJNS1_13power_functorIsEEsEEEvT_T0_DpT1_.has_recursion, 0
	.set _ZN2at6native12_GLOBAL__N_125multi_tensor_apply_kernelINS1_18TensorListMetadataILi2EEENS1_21BinaryOpScalarFunctorIsLi2ELi1ELi1EEEJNS1_13power_functorIsEEsEEEvT_T0_DpT1_.has_indirect_call, 0
	.section	.AMDGPU.csdata,"",@progbits
; Kernel info:
; codeLenInByte = 3024
; TotalNumSgprs: 52
; NumVgprs: 17
; NumAgprs: 0
; TotalNumVgprs: 17
; ScratchSize: 0
; MemoryBound: 0
; FloatMode: 240
; IeeeMode: 1
; LDSByteSize: 0 bytes/workgroup (compile time only)
; SGPRBlocks: 6
; VGPRBlocks: 2
; NumSGPRsForWavesPerEU: 52
; NumVGPRsForWavesPerEU: 17
; AccumOffset: 20
; Occupancy: 8
; WaveLimiterHint : 0
; COMPUTE_PGM_RSRC2:SCRATCH_EN: 0
; COMPUTE_PGM_RSRC2:USER_SGPR: 2
; COMPUTE_PGM_RSRC2:TRAP_HANDLER: 0
; COMPUTE_PGM_RSRC2:TGID_X_EN: 1
; COMPUTE_PGM_RSRC2:TGID_Y_EN: 0
; COMPUTE_PGM_RSRC2:TGID_Z_EN: 0
; COMPUTE_PGM_RSRC2:TIDIG_COMP_CNT: 0
; COMPUTE_PGM_RSRC3_GFX90A:ACCUM_OFFSET: 4
; COMPUTE_PGM_RSRC3_GFX90A:TG_SPLIT: 0
	.section	.text._ZN2at6native12_GLOBAL__N_125multi_tensor_apply_kernelINS1_18TensorListMetadataILi2EEENS1_21BinaryOpScalarFunctorIdLi2ELi1ELi1EEEJNS1_13power_functorIdEEdEEEvT_T0_DpT1_,"axG",@progbits,_ZN2at6native12_GLOBAL__N_125multi_tensor_apply_kernelINS1_18TensorListMetadataILi2EEENS1_21BinaryOpScalarFunctorIdLi2ELi1ELi1EEEJNS1_13power_functorIdEEdEEEvT_T0_DpT1_,comdat
	.globl	_ZN2at6native12_GLOBAL__N_125multi_tensor_apply_kernelINS1_18TensorListMetadataILi2EEENS1_21BinaryOpScalarFunctorIdLi2ELi1ELi1EEEJNS1_13power_functorIdEEdEEEvT_T0_DpT1_ ; -- Begin function _ZN2at6native12_GLOBAL__N_125multi_tensor_apply_kernelINS1_18TensorListMetadataILi2EEENS1_21BinaryOpScalarFunctorIdLi2ELi1ELi1EEEJNS1_13power_functorIdEEdEEEvT_T0_DpT1_
	.p2align	8
	.type	_ZN2at6native12_GLOBAL__N_125multi_tensor_apply_kernelINS1_18TensorListMetadataILi2EEENS1_21BinaryOpScalarFunctorIdLi2ELi1ELi1EEEJNS1_13power_functorIdEEdEEEvT_T0_DpT1_,@function
_ZN2at6native12_GLOBAL__N_125multi_tensor_apply_kernelINS1_18TensorListMetadataILi2EEENS1_21BinaryOpScalarFunctorIdLi2ELi1ELi1EEEJNS1_13power_functorIdEEdEEEvT_T0_DpT1_: ; @_ZN2at6native12_GLOBAL__N_125multi_tensor_apply_kernelINS1_18TensorListMetadataILi2EEENS1_21BinaryOpScalarFunctorIdLi2ELi1ELi1EEEJNS1_13power_functorIdEEdEEEvT_T0_DpT1_
; %bb.0:
	v_mov_b32_e32 v1, s2
	global_load_ubyte v1, v1, s[0:1] offset:1536
	s_add_u32 s4, s0, s2
	s_mul_hi_u32 s7, s2, 3
	s_mul_i32 s2, s2, 3
	s_addc_u32 s8, s1, 0
	s_add_u32 s6, s4, s2
	s_addc_u32 s7, s8, s7
	s_load_dword s6, s[6:7], 0x740
	s_mov_b32 s3, 0
	s_mov_b32 s5, s3
	s_waitcnt lgkmcnt(0)
	s_ashr_i32 s7, s6, 31
	s_lshl_b64 s[18:19], s[6:7], 19
	s_lshl_b64 s[6:7], s[6:7], 16
	s_waitcnt vmcnt(0)
	v_readfirstlane_b32 s2, v1
	s_lshl_b32 s2, s2, 3
	s_load_dwordx2 s[16:17], s[0:1], 0xc50
	s_load_dwordx2 s[8:9], s[0:1], s2 offset:0x400
	s_load_dwordx2 s[20:21], s[0:1], s2 offset:0x0
	s_load_dwordx2 s[22:23], s[0:1], s2 offset:0x200
	s_waitcnt lgkmcnt(0)
	s_add_u32 s2, s20, s18
	s_and_b32 s4, s22, 31
	s_and_b32 s2, s2, 31
	s_sub_u32 s26, s8, s6
	s_subb_u32 s27, s9, s7
	s_and_b32 s6, s8, 3
	s_mov_b32 s7, s3
	s_or_b64 s[4:5], s[4:5], s[6:7]
	s_or_b64 s[2:3], s[4:5], s[2:3]
	s_cmp_eq_u64 s[2:3], 0
	s_mov_b64 s[2:3], -1
	s_cbranch_scc1 .LBB66_21
; %bb.1:
	v_cmp_lt_i64_e64 s[2:3], s[26:27], 1
	s_and_b64 vcc, exec, s[2:3]
	s_cbranch_vccnz .LBB66_20
; %bb.2:
	s_load_dword s2, s[0:1], 0xc64
	v_mov_b64_e32 v[2:3], 0x10000
	v_cmp_lt_i64_e32 vcc, s[26:27], v[2:3]
	s_and_b64 s[4:5], vcc, exec
	s_mov_b32 s3, 0
	s_cselect_b32 s25, s27, 0
	s_cselect_b32 s24, s26, 0x10000
	s_waitcnt lgkmcnt(0)
	s_and_b32 s2, s2, 0xffff
	v_cmp_lt_u64_e32 vcc, s[26:27], v[2:3]
	v_mov_b32_e32 v1, 0
	s_and_b64 s[4:5], vcc, exec
	s_mul_i32 s6, s2, 3
	s_mov_b32 s7, s3
	s_cselect_b32 s29, s27, 0
	s_cselect_b32 s28, s26, 0x10000
	v_lshlrev_b32_e32 v12, 3, v0
	v_mov_b32_e32 v13, v1
	v_lshl_add_u64 v[10:11], s[6:7], 0, v[0:1]
	s_lshl_b32 s6, s2, 4
	v_lshl_add_u64 v[18:19], v[0:1], 0, s[2:3]
	s_lshl_b32 s4, s2, 1
	s_mov_b32 s5, s3
	v_mad_u64_u32 v[8:9], s[8:9], s2, 24, v[12:13]
	v_lshl_add_u64 v[14:15], s[6:7], 0, v[12:13]
	v_lshlrev_b32_e32 v22, 3, v18
	v_mov_b32_e32 v23, v1
	s_mov_b32 s36, 0x55555555
	s_mov_b32 s38, 0xfefa39ef
	;; [unrolled: 1-line block ×10, first 2 shown]
	s_lshl_b32 s33, s2, 2
	v_lshl_add_u64 v[2:3], s[20:21], 0, v[12:13]
	s_lshl_b32 s30, s2, 5
	s_mov_b32 s31, s3
	v_lshl_add_u64 v[4:5], s[22:23], 0, v[12:13]
	v_lshl_add_u64 v[6:7], s[20:21], 0, v[8:9]
	;; [unrolled: 1-line block ×8, first 2 shown]
	s_mov_b64 s[34:35], 0
	s_movk_i32 s70, 0x204
	s_brev_b32 s71, -2
	s_mov_b32 s37, 0x3fe55555
	s_mov_b32 s39, 0x3fe62e42
	;; [unrolled: 1-line block ×13, first 2 shown]
	v_mov_b32_e32 v70, 0x3ff00000
	v_mov_b32_e32 v71, 0x7ff00000
	;; [unrolled: 1-line block ×37, first 2 shown]
	s_branch .LBB66_4
.LBB66_3:                               ;   in Loop: Header=BB66_4 Depth=1
	s_or_b64 exec, exec, s[8:9]
	s_add_u32 s34, s34, s33
	s_addc_u32 s35, s35, 0
	s_waitcnt vmcnt(0)
	v_mov_b64_e32 v[58:59], s[24:25]
	v_cmp_lt_i64_e32 vcc, s[34:35], v[58:59]
	v_lshl_add_u64 v[2:3], v[2:3], 0, s[30:31]
	v_lshl_add_u64 v[4:5], v[4:5], 0, s[30:31]
	;; [unrolled: 1-line block ×8, first 2 shown]
	s_cbranch_vccz .LBB66_20
.LBB66_4:                               ; =>This Inner Loop Header: Depth=1
	v_lshl_add_u64 v[58:59], v[0:1], 0, s[34:35]
	v_cmp_gt_u64_e64 s[6:7], s[28:29], v[58:59]
	v_mov_b64_e32 v[62:63], 0
	v_mov_b64_e32 v[68:69], 0
	s_and_saveexec_b64 s[2:3], s[6:7]
	s_cbranch_execz .LBB66_6
; %bb.5:                                ;   in Loop: Header=BB66_4 Depth=1
	v_lshl_add_u64 v[58:59], v[2:3], 0, s[18:19]
	global_load_dwordx2 v[68:69], v[58:59], off
.LBB66_6:                               ;   in Loop: Header=BB66_4 Depth=1
	s_or_b64 exec, exec, s[2:3]
	v_lshl_add_u64 v[58:59], v[18:19], 0, s[34:35]
	v_cmp_gt_u64_e64 s[4:5], s[28:29], v[58:59]
	s_and_saveexec_b64 s[2:3], s[4:5]
	s_cbranch_execz .LBB66_8
; %bb.7:                                ;   in Loop: Header=BB66_4 Depth=1
	v_lshl_add_u64 v[58:59], v[20:21], 0, s[18:19]
	global_load_dwordx2 v[62:63], v[58:59], off
.LBB66_8:                               ;   in Loop: Header=BB66_4 Depth=1
	s_or_b64 exec, exec, s[2:3]
	v_lshl_add_u64 v[58:59], v[16:17], 0, s[34:35]
	v_cmp_gt_u64_e64 s[2:3], s[28:29], v[58:59]
	v_mov_b64_e32 v[58:59], 0
	v_mov_b64_e32 v[60:61], 0
	s_and_saveexec_b64 s[8:9], s[2:3]
	s_cbranch_execz .LBB66_10
; %bb.9:                                ;   in Loop: Header=BB66_4 Depth=1
	v_lshl_add_u64 v[60:61], v[12:13], 0, s[18:19]
	global_load_dwordx2 v[60:61], v[60:61], off
.LBB66_10:                              ;   in Loop: Header=BB66_4 Depth=1
	s_or_b64 exec, exec, s[8:9]
	v_lshl_add_u64 v[64:65], v[10:11], 0, s[34:35]
	v_cmp_gt_u64_e32 vcc, s[28:29], v[64:65]
	s_and_saveexec_b64 s[8:9], vcc
	s_cbranch_execnz .LBB66_15
; %bb.11:                               ;   in Loop: Header=BB66_4 Depth=1
	s_or_b64 exec, exec, s[8:9]
	s_and_saveexec_b64 s[62:63], s[6:7]
	s_cbranch_execnz .LBB66_16
.LBB66_12:                              ;   in Loop: Header=BB66_4 Depth=1
	s_or_b64 exec, exec, s[62:63]
	s_and_saveexec_b64 s[12:13], s[4:5]
	s_cbranch_execnz .LBB66_17
.LBB66_13:                              ;   in Loop: Header=BB66_4 Depth=1
	s_or_b64 exec, exec, s[12:13]
	s_and_saveexec_b64 s[10:11], s[2:3]
	s_cbranch_execnz .LBB66_18
.LBB66_14:                              ;   in Loop: Header=BB66_4 Depth=1
	s_or_b64 exec, exec, s[10:11]
	s_and_saveexec_b64 s[8:9], vcc
	s_cbranch_execz .LBB66_3
	s_branch .LBB66_19
.LBB66_15:                              ;   in Loop: Header=BB66_4 Depth=1
	v_lshl_add_u64 v[58:59], v[6:7], 0, s[18:19]
	global_load_dwordx2 v[58:59], v[58:59], off
	s_or_b64 exec, exec, s[8:9]
	s_and_saveexec_b64 s[62:63], s[6:7]
	s_cbranch_execz .LBB66_12
.LBB66_16:                              ;   in Loop: Header=BB66_4 Depth=1
	v_mov_b32_e32 v66, s17
	s_waitcnt vmcnt(0)
	v_cmp_neq_f64_e64 s[6:7], 1.0, v[68:69]
	v_mov_b64_e32 v[92:93], v[24:25]
	v_mov_b64_e32 v[94:95], v[26:27]
	v_cndmask_b32_e64 v67, v70, v66, s[6:7]
	v_mov_b32_e32 v66, s16
	v_cndmask_b32_e64 v66, 0, v66, s[6:7]
	v_cmp_neq_f64_e64 s[6:7], 0, v[66:67]
	v_cmp_gt_f64_e64 s[8:9], 0, v[66:67]
	v_trunc_f64_e32 v[74:75], v[66:67]
	v_cndmask_b32_e64 v69, v70, v69, s[6:7]
	v_cndmask_b32_e64 v68, 0, v68, s[6:7]
	v_cmp_eq_f64_e64 s[6:7], 0, v[68:69]
	s_xor_b64 s[8:9], s[8:9], s[6:7]
	v_cndmask_b32_e64 v73, v71, 0, s[8:9]
	v_cmp_eq_f64_e64 s[8:9], v[74:75], v[66:67]
	v_mul_f64 v[74:75], v[66:67], 0.5
	v_trunc_f64_e32 v[76:77], v[74:75]
	v_cmp_neq_f64_e64 s[10:11], v[76:77], v[74:75]
	s_and_b64 s[10:11], s[8:9], s[10:11]
	v_frexp_exp_i32_f64_e32 v76, v[68:69]
	v_cndmask_b32_e64 v74, 0, v69, s[10:11]
	v_bfi_b32 v73, s71, v73, v74
	v_frexp_mant_f64_e64 v[74:75], |v[68:69]|
	v_cmp_gt_f64_e64 s[12:13], s[36:37], v[74:75]
	s_mov_b32 s46, s36
	v_cmp_neq_f64_e64 s[66:67], v[66:67], |v[66:67]|
	v_cndmask_b32_e64 v80, 0, 1, s[12:13]
	v_ldexp_f64 v[74:75], v[74:75], v80
	v_add_f64 v[80:81], v[74:75], 1.0
	v_rcp_f64_e32 v[82:83], v[80:81]
	v_subbrev_co_u32_e64 v76, s[14:15], 0, v76, s[12:13]
	v_cvt_f64_i32_e32 v[76:77], v76
	v_fma_f64 v[86:87], -v[80:81], v[82:83], 1.0
	v_mul_f64 v[78:79], v[76:77], s[38:39]
	v_fmac_f64_e32 v[82:83], v[86:87], v[82:83]
	v_fma_f64 v[84:85], v[76:77], s[38:39], -v[78:79]
	v_fma_f64 v[86:87], -v[80:81], v[82:83], 1.0
	v_fmac_f64_e32 v[84:85], s[40:41], v[76:77]
	v_add_f64 v[76:77], v[74:75], -1.0
	v_fmac_f64_e32 v[82:83], v[86:87], v[82:83]
	v_mul_f64 v[86:87], v[76:77], v[82:83]
	v_mul_f64 v[88:89], v[80:81], v[86:87]
	v_add_f64 v[90:91], v[80:81], -1.0
	v_add_f64 v[74:75], v[74:75], -v[90:91]
	v_fma_f64 v[80:81], v[86:87], v[80:81], -v[88:89]
	v_fmac_f64_e32 v[80:81], v[86:87], v[74:75]
	v_add_f64 v[74:75], v[88:89], v[80:81]
	v_add_f64 v[90:91], v[76:77], -v[74:75]
	v_add_f64 v[88:89], v[74:75], -v[88:89]
	;; [unrolled: 1-line block ×5, first 2 shown]
	v_add_f64 v[74:75], v[80:81], v[74:75]
	v_add_f64 v[74:75], v[90:91], v[74:75]
	v_mul_f64 v[74:75], v[82:83], v[74:75]
	v_add_f64 v[76:77], v[86:87], v[74:75]
	v_add_f64 v[82:83], v[76:77], -v[86:87]
	v_mul_f64 v[80:81], v[76:77], v[76:77]
	v_add_f64 v[74:75], v[74:75], -v[82:83]
	v_add_f64 v[82:83], v[74:75], v[74:75]
	v_fma_f64 v[86:87], v[76:77], v[76:77], -v[80:81]
	v_fmac_f64_e32 v[86:87], v[76:77], v[82:83]
	v_add_f64 v[82:83], v[80:81], v[86:87]
	v_fmac_f64_e32 v[92:93], s[42:43], v[82:83]
	v_fmac_f64_e32 v[94:95], v[82:83], v[92:93]
	v_mov_b64_e32 v[92:93], v[28:29]
	v_fmac_f64_e32 v[92:93], v[82:83], v[94:95]
	v_mov_b64_e32 v[94:95], v[30:31]
	;; [unrolled: 2-line block ×6, first 2 shown]
	v_mul_f64 v[88:89], v[76:77], v[82:83]
	v_add_f64 v[80:81], v[82:83], -v[80:81]
	v_fmac_f64_e32 v[94:95], v[82:83], v[92:93]
	v_add_f64 v[80:81], v[86:87], -v[80:81]
	v_fma_f64 v[86:87], v[82:83], v[76:77], -v[88:89]
	v_mul_f64 v[92:93], v[82:83], v[94:95]
	v_fmac_f64_e32 v[86:87], v[82:83], v[74:75]
	v_fma_f64 v[82:83], v[82:83], v[94:95], -v[92:93]
	v_fmac_f64_e32 v[82:83], v[80:81], v[94:95]
	v_fmac_f64_e32 v[86:87], v[80:81], v[76:77]
	v_add_f64 v[80:81], v[92:93], v[82:83]
	v_add_f64 v[94:95], v[80:81], s[36:37]
	v_add_f64 v[92:93], v[80:81], -v[92:93]
	v_add_f64 v[82:83], v[82:83], -v[92:93]
	v_add_f64 v[92:93], v[94:95], s[46:47]
	v_add_f64 v[82:83], v[82:83], s[44:45]
	v_add_f64 v[80:81], v[80:81], -v[92:93]
	v_add_f64 v[80:81], v[82:83], v[80:81]
	v_add_f64 v[90:91], v[88:89], v[86:87]
	;; [unrolled: 1-line block ×3, first 2 shown]
	v_cmp_lt_f64_e64 s[68:69], |v[68:69]|, 1.0
	v_mul_f64 v[92:93], v[90:91], v[82:83]
	v_add_f64 v[94:95], v[94:95], -v[82:83]
	v_add_f64 v[80:81], v[80:81], v[94:95]
	v_fma_f64 v[94:95], v[90:91], v[82:83], -v[92:93]
	s_xor_b64 s[12:13], s[66:67], s[68:69]
	v_fmac_f64_e32 v[94:95], v[90:91], v[80:81]
	v_cndmask_b32_e64 v80, v71, 0, s[12:13]
	v_cmp_neq_f64_e64 s[12:13], |v[68:69]|, 1.0
	v_ldexp_f64 v[76:77], v[76:77], 1
	v_ldexp_f64 v[74:75], v[74:75], 1
	v_cndmask_b32_e64 v96, v70, v80, s[12:13]
	v_add_f64 v[80:81], v[90:91], -v[88:89]
	v_add_f64 v[80:81], v[86:87], -v[80:81]
	v_fmac_f64_e32 v[94:95], v[80:81], v[82:83]
	v_add_f64 v[80:81], v[92:93], v[94:95]
	v_add_f64 v[82:83], v[76:77], v[80:81]
	v_add_f64 v[86:87], v[80:81], -v[92:93]
	v_add_f64 v[86:87], v[94:95], -v[86:87]
	;; [unrolled: 1-line block ×3, first 2 shown]
	v_add_f64 v[74:75], v[74:75], v[86:87]
	v_add_f64 v[76:77], v[80:81], -v[76:77]
	v_add_f64 v[74:75], v[74:75], v[76:77]
	v_add_f64 v[88:89], v[78:79], v[84:85]
	;; [unrolled: 1-line block ×4, first 2 shown]
	v_add_f64 v[78:79], v[88:89], -v[78:79]
	v_add_f64 v[78:79], v[84:85], -v[78:79]
	;; [unrolled: 1-line block ×7, first 2 shown]
	v_add_f64 v[82:83], v[78:79], v[74:75]
	v_add_f64 v[84:85], v[88:89], -v[84:85]
	v_add_f64 v[76:77], v[76:77], v[84:85]
	v_add_f64 v[86:87], v[82:83], -v[78:79]
	;; [unrolled: 2-line block ×4, first 2 shown]
	v_add_f64 v[78:79], v[78:79], -v[82:83]
	v_add_f64 v[74:75], v[74:75], v[78:79]
	v_add_f64 v[78:79], v[84:85], -v[80:81]
	v_add_f64 v[76:77], v[76:77], -v[78:79]
	v_add_f64 v[74:75], v[74:75], v[76:77]
	v_add_f64 v[76:77], v[84:85], v[74:75]
	v_mul_f64 v[78:79], v[66:67], v[76:77]
	v_add_f64 v[80:81], v[76:77], -v[84:85]
	v_add_f64 v[74:75], v[74:75], -v[80:81]
	v_fma_f64 v[76:77], v[66:67], v[76:77], -v[78:79]
	v_fmac_f64_e32 v[76:77], v[66:67], v[74:75]
	v_add_f64 v[74:75], v[78:79], v[76:77]
	v_cmp_class_f64_e64 s[12:13], v[78:79], s70
	s_mov_b32 s50, s38
	s_mov_b32 s52, s40
	v_cndmask_b32_e64 v81, v75, v79, s[12:13]
	v_cndmask_b32_e64 v80, v74, v78, s[12:13]
	v_mul_f64 v[82:83], v[80:81], s[48:49]
	v_rndne_f64_e32 v[82:83], v[82:83]
	v_fma_f64 v[84:85], s[50:51], v[82:83], v[80:81]
	v_fmac_f64_e32 v[84:85], s[52:53], v[82:83]
	v_mov_b64_e32 v[86:87], v[40:41]
	v_fmac_f64_e32 v[86:87], s[54:55], v[84:85]
	v_mov_b64_e32 v[88:89], v[42:43]
	;; [unrolled: 2-line block ×9, first 2 shown]
	v_fmac_f64_e32 v[86:87], v[84:85], v[88:89]
	v_fma_f64 v[86:87], v[84:85], v[86:87], 1.0
	v_fma_f64 v[84:85], v[84:85], v[86:87], 1.0
	v_cvt_i32_f64_e32 v82, v[82:83]
	v_ldexp_f64 v[82:83], v[84:85], v82
	v_cmp_nlt_f64_e64 s[12:13], s[56:57], v[80:81]
	v_cmp_ngt_f64_e64 s[14:15], s[58:59], v[80:81]
	v_add_f64 v[74:75], v[74:75], -v[78:79]
	v_cndmask_b32_e64 v83, v71, v83, s[12:13]
	s_and_b64 s[12:13], s[14:15], s[12:13]
	v_cndmask_b32_e64 v83, 0, v83, s[14:15]
	v_cndmask_b32_e64 v82, 0, v82, s[12:13]
	v_add_f64 v[74:75], v[76:77], -v[74:75]
	v_cmp_neq_f64_e64 s[12:13], |v[80:81]|, s[60:61]
	v_mov_b64_e32 v[76:77], v[82:83]
	v_cmp_class_f64_e64 s[64:65], v[68:69], s70
	v_cndmask_b32_e64 v75, 0, v75, s[12:13]
	v_cndmask_b32_e64 v74, 0, v74, s[12:13]
	v_fmac_f64_e32 v[76:77], v[76:77], v[74:75]
	v_cmp_class_f64_e64 s[12:13], v[82:83], s70
	s_or_b64 s[6:7], s[6:7], s[64:65]
	v_lshl_add_u64 v[64:65], v[4:5], 0, s[18:19]
	v_cndmask_b32_e64 v74, v76, v82, s[12:13]
	v_cndmask_b32_e64 v75, v77, v83, s[12:13]
	;; [unrolled: 1-line block ×3, first 2 shown]
	v_bfi_b32 v75, s71, v75, v76
	v_cndmask_b32_e64 v76, v72, v75, s[8:9]
	v_cndmask_b32_e64 v77, 0, v74, s[8:9]
	v_cmp_gt_f64_e64 s[8:9], 0, v[68:69]
	s_nop 1
	v_cndmask_b32_e64 v74, v74, v77, s[8:9]
	v_cndmask_b32_e64 v75, v75, v76, s[8:9]
	v_cmp_class_f64_e64 s[8:9], v[66:67], s70
	s_nop 1
	v_cndmask_b32_e64 v75, v75, v96, s[8:9]
	v_cndmask_b32_e64 v73, v75, v73, s[6:7]
	s_or_b64 s[6:7], s[6:7], s[8:9]
	v_cndmask_b32_e64 v74, v74, 0, s[6:7]
	v_cmp_o_f64_e64 s[6:7], v[68:69], v[66:67]
	s_nop 1
	v_cndmask_b32_e64 v66, 0, v74, s[6:7]
	v_cndmask_b32_e64 v67, v72, v73, s[6:7]
	global_store_dwordx2 v[64:65], v[66:67], off
	s_or_b64 exec, exec, s[62:63]
	s_and_saveexec_b64 s[12:13], s[4:5]
	s_cbranch_execz .LBB66_13
.LBB66_17:                              ;   in Loop: Header=BB66_4 Depth=1
	v_mov_b32_e32 v64, s17
	s_waitcnt vmcnt(0)
	v_cmp_neq_f64_e64 s[4:5], 1.0, v[62:63]
	s_mov_b32 s46, s36
	s_mov_b32 s50, s38
	v_cndmask_b32_e64 v65, v70, v64, s[4:5]
	v_mov_b32_e32 v64, s16
	v_cndmask_b32_e64 v64, 0, v64, s[4:5]
	v_cmp_neq_f64_e64 s[4:5], 0, v[64:65]
	s_mov_b32 s52, s40
	v_cmp_gt_f64_e64 s[10:11], 0, v[64:65]
	v_cndmask_b32_e64 v63, v70, v63, s[4:5]
	v_cndmask_b32_e64 v62, 0, v62, s[4:5]
	v_frexp_mant_f64_e64 v[66:67], |v[62:63]|
	v_cmp_gt_f64_e64 s[4:5], s[36:37], v[66:67]
	v_frexp_exp_i32_f64_e32 v68, v[62:63]
	v_cmp_lt_f64_e64 s[8:9], |v[62:63]|, 1.0
	v_cndmask_b32_e64 v69, 0, 1, s[4:5]
	v_ldexp_f64 v[66:67], v[66:67], v69
	v_subbrev_co_u32_e64 v73, s[4:5], 0, v68, s[4:5]
	v_add_f64 v[68:69], v[66:67], 1.0
	v_rcp_f64_e32 v[74:75], v[68:69]
	v_add_f64 v[78:79], v[68:69], -1.0
	v_add_f64 v[76:77], v[66:67], -1.0
	v_add_f64 v[66:67], v[66:67], -v[78:79]
	v_fma_f64 v[78:79], -v[68:69], v[74:75], 1.0
	v_fmac_f64_e32 v[74:75], v[78:79], v[74:75]
	v_fma_f64 v[78:79], -v[68:69], v[74:75], 1.0
	v_fmac_f64_e32 v[74:75], v[78:79], v[74:75]
	v_mul_f64 v[78:79], v[76:77], v[74:75]
	v_mul_f64 v[80:81], v[68:69], v[78:79]
	v_fma_f64 v[68:69], v[78:79], v[68:69], -v[80:81]
	v_fmac_f64_e32 v[68:69], v[78:79], v[66:67]
	v_add_f64 v[66:67], v[80:81], v[68:69]
	v_add_f64 v[82:83], v[76:77], -v[66:67]
	v_add_f64 v[80:81], v[66:67], -v[80:81]
	;; [unrolled: 1-line block ×5, first 2 shown]
	v_add_f64 v[66:67], v[68:69], v[66:67]
	v_add_f64 v[66:67], v[82:83], v[66:67]
	v_mul_f64 v[66:67], v[74:75], v[66:67]
	v_add_f64 v[68:69], v[78:79], v[66:67]
	v_add_f64 v[74:75], v[68:69], -v[78:79]
	v_add_f64 v[66:67], v[66:67], -v[74:75]
	v_mul_f64 v[74:75], v[68:69], v[68:69]
	v_fma_f64 v[76:77], v[68:69], v[68:69], -v[74:75]
	v_add_f64 v[78:79], v[66:67], v[66:67]
	v_fmac_f64_e32 v[76:77], v[68:69], v[78:79]
	v_add_f64 v[78:79], v[74:75], v[76:77]
	v_add_f64 v[74:75], v[78:79], -v[74:75]
	v_add_f64 v[74:75], v[76:77], -v[74:75]
	v_mov_b64_e32 v[76:77], v[24:25]
	v_fmac_f64_e32 v[76:77], s[42:43], v[78:79]
	v_mov_b64_e32 v[80:81], v[26:27]
	v_fmac_f64_e32 v[80:81], v[78:79], v[76:77]
	;; [unrolled: 2-line block ×8, first 2 shown]
	v_cvt_f64_i32_e32 v[76:77], v73
	v_mul_f64 v[82:83], v[76:77], s[38:39]
	v_mul_f64 v[88:89], v[68:69], v[78:79]
	v_fma_f64 v[84:85], v[76:77], s[38:39], -v[82:83]
	v_fma_f64 v[90:91], v[78:79], v[68:69], -v[88:89]
	v_fmac_f64_e32 v[84:85], s[40:41], v[76:77]
	v_fmac_f64_e32 v[90:91], v[78:79], v[66:67]
	v_add_f64 v[76:77], v[82:83], v[84:85]
	v_fmac_f64_e32 v[90:91], v[74:75], v[68:69]
	v_add_f64 v[82:83], v[76:77], -v[82:83]
	v_ldexp_f64 v[86:87], v[66:67], 1
	v_add_f64 v[66:67], v[88:89], v[90:91]
	v_add_f64 v[82:83], v[84:85], -v[82:83]
	v_ldexp_f64 v[84:85], v[68:69], 1
	v_add_f64 v[68:69], v[66:67], -v[88:89]
	v_mul_f64 v[88:89], v[78:79], v[80:81]
	v_fma_f64 v[78:79], v[78:79], v[80:81], -v[88:89]
	v_fmac_f64_e32 v[78:79], v[74:75], v[80:81]
	v_add_f64 v[74:75], v[88:89], v[78:79]
	v_add_f64 v[80:81], v[74:75], -v[88:89]
	v_add_f64 v[78:79], v[78:79], -v[80:81]
	v_add_f64 v[80:81], v[74:75], s[36:37]
	v_add_f64 v[88:89], v[80:81], s[46:47]
	v_add_f64 v[74:75], v[74:75], -v[88:89]
	v_add_f64 v[78:79], v[78:79], s[44:45]
	v_add_f64 v[74:75], v[78:79], v[74:75]
	;; [unrolled: 1-line block ×3, first 2 shown]
	v_add_f64 v[80:81], v[80:81], -v[78:79]
	v_add_f64 v[74:75], v[74:75], v[80:81]
	v_mul_f64 v[80:81], v[66:67], v[78:79]
	v_fma_f64 v[88:89], v[66:67], v[78:79], -v[80:81]
	v_add_f64 v[68:69], v[90:91], -v[68:69]
	v_fmac_f64_e32 v[88:89], v[66:67], v[74:75]
	v_fmac_f64_e32 v[88:89], v[68:69], v[78:79]
	v_add_f64 v[66:67], v[80:81], v[88:89]
	v_add_f64 v[68:69], v[66:67], -v[80:81]
	v_add_f64 v[74:75], v[84:85], v[66:67]
	v_add_f64 v[68:69], v[88:89], -v[68:69]
	v_add_f64 v[78:79], v[74:75], -v[84:85]
	;; [unrolled: 1-line block ×3, first 2 shown]
	v_add_f64 v[68:69], v[86:87], v[68:69]
	v_add_f64 v[66:67], v[68:69], v[66:67]
	;; [unrolled: 1-line block ×3, first 2 shown]
	v_add_f64 v[74:75], v[68:69], -v[74:75]
	v_add_f64 v[66:67], v[66:67], -v[74:75]
	v_add_f64 v[74:75], v[76:77], v[68:69]
	v_add_f64 v[78:79], v[74:75], -v[76:77]
	v_add_f64 v[80:81], v[74:75], -v[78:79]
	v_add_f64 v[76:77], v[76:77], -v[80:81]
	v_add_f64 v[68:69], v[68:69], -v[78:79]
	v_add_f64 v[68:69], v[68:69], v[76:77]
	v_add_f64 v[76:77], v[82:83], v[66:67]
	v_add_f64 v[78:79], v[76:77], -v[82:83]
	v_add_f64 v[68:69], v[76:77], v[68:69]
	v_add_f64 v[80:81], v[76:77], -v[78:79]
	;; [unrolled: 2-line block ×3, first 2 shown]
	v_add_f64 v[66:67], v[66:67], -v[78:79]
	v_add_f64 v[74:75], v[76:77], -v[74:75]
	v_add_f64 v[66:67], v[66:67], v[80:81]
	v_add_f64 v[68:69], v[68:69], -v[74:75]
	v_add_f64 v[66:67], v[66:67], v[68:69]
	v_add_f64 v[68:69], v[76:77], v[66:67]
	v_add_f64 v[74:75], v[68:69], -v[76:77]
	v_add_f64 v[66:67], v[66:67], -v[74:75]
	v_mul_f64 v[74:75], v[64:65], v[68:69]
	v_fma_f64 v[68:69], v[64:65], v[68:69], -v[74:75]
	v_fmac_f64_e32 v[68:69], v[64:65], v[66:67]
	v_add_f64 v[66:67], v[74:75], v[68:69]
	v_cmp_class_f64_e64 s[4:5], v[74:75], s70
	v_add_f64 v[76:77], v[66:67], -v[74:75]
	v_add_f64 v[68:69], v[68:69], -v[76:77]
	v_cndmask_b32_e64 v67, v67, v75, s[4:5]
	v_cndmask_b32_e64 v66, v66, v74, s[4:5]
	v_mul_f64 v[74:75], v[66:67], s[48:49]
	v_rndne_f64_e32 v[74:75], v[74:75]
	v_fma_f64 v[76:77], s[50:51], v[74:75], v[66:67]
	v_fmac_f64_e32 v[76:77], s[52:53], v[74:75]
	v_mov_b64_e32 v[78:79], v[40:41]
	v_fmac_f64_e32 v[78:79], s[54:55], v[76:77]
	v_mov_b64_e32 v[80:81], v[42:43]
	;; [unrolled: 2-line block ×9, first 2 shown]
	v_fmac_f64_e32 v[78:79], v[76:77], v[80:81]
	v_fma_f64 v[78:79], v[76:77], v[78:79], 1.0
	v_cmp_neq_f64_e64 s[4:5], |v[66:67]|, s[60:61]
	v_fma_f64 v[76:77], v[76:77], v[78:79], 1.0
	v_cvt_i32_f64_e32 v73, v[74:75]
	v_cndmask_b32_e64 v69, 0, v69, s[4:5]
	v_cndmask_b32_e64 v68, 0, v68, s[4:5]
	v_ldexp_f64 v[74:75], v[76:77], v73
	v_cmp_nlt_f64_e64 s[4:5], s[56:57], v[66:67]
	v_cmp_ngt_f64_e64 s[6:7], s[58:59], v[66:67]
	v_cmp_class_f64_e64 s[14:15], v[62:63], s70
	v_cndmask_b32_e64 v73, v71, v75, s[4:5]
	s_and_b64 s[4:5], s[6:7], s[4:5]
	v_cndmask_b32_e64 v67, 0, v73, s[6:7]
	v_cndmask_b32_e64 v66, 0, v74, s[4:5]
	v_mov_b64_e32 v[74:75], v[66:67]
	v_fmac_f64_e32 v[74:75], v[74:75], v[68:69]
	v_cmp_class_f64_e64 s[4:5], v[66:67], s70
	s_nop 1
	v_cndmask_b32_e64 v73, v74, v66, s[4:5]
	v_cndmask_b32_e64 v74, v75, v67, s[4:5]
	v_trunc_f64_e32 v[66:67], v[64:65]
	v_cmp_eq_f64_e64 s[4:5], v[66:67], v[64:65]
	v_mul_f64 v[66:67], v[64:65], 0.5
	v_trunc_f64_e32 v[68:69], v[66:67]
	v_cmp_neq_f64_e64 s[6:7], v[68:69], v[66:67]
	s_and_b64 s[6:7], s[4:5], s[6:7]
	v_cndmask_b32_e64 v68, 0, v73, s[4:5]
	v_cndmask_b32_e64 v66, v70, v63, s[6:7]
	v_bfi_b32 v66, s71, v74, v66
	v_cndmask_b32_e64 v67, v72, v66, s[4:5]
	v_cmp_gt_f64_e64 s[4:5], 0, v[62:63]
	v_cndmask_b32_e64 v69, 0, v63, s[6:7]
	s_nop 0
	v_cndmask_b32_e64 v68, v73, v68, s[4:5]
	v_cndmask_b32_e64 v66, v66, v67, s[4:5]
	v_cmp_neq_f64_e64 s[4:5], v[64:65], |v[64:65]|
	s_xor_b64 s[4:5], s[4:5], s[8:9]
	v_cmp_eq_f64_e64 s[8:9], 0, v[62:63]
	v_cndmask_b32_e64 v67, v71, 0, s[4:5]
	v_cmp_neq_f64_e64 s[4:5], |v[62:63]|, 1.0
	s_xor_b64 s[10:11], s[10:11], s[8:9]
	s_or_b64 s[6:7], s[8:9], s[14:15]
	v_cndmask_b32_e64 v67, v70, v67, s[4:5]
	v_cmp_class_f64_e64 s[4:5], v[64:65], s70
	s_nop 1
	v_cndmask_b32_e64 v66, v66, v67, s[4:5]
	v_cndmask_b32_e64 v67, v71, 0, s[10:11]
	v_bfi_b32 v67, s71, v67, v69
	s_or_b64 s[4:5], s[6:7], s[4:5]
	v_cndmask_b32_e64 v66, v66, v67, s[6:7]
	v_cndmask_b32_e64 v67, v68, 0, s[4:5]
	v_cmp_o_f64_e64 s[4:5], v[62:63], v[64:65]
	v_lshl_add_u64 v[64:65], v[22:23], 0, s[18:19]
	s_nop 0
	v_cndmask_b32_e64 v62, 0, v67, s[4:5]
	v_cndmask_b32_e64 v63, v72, v66, s[4:5]
	global_store_dwordx2 v[64:65], v[62:63], off
	s_or_b64 exec, exec, s[12:13]
	s_and_saveexec_b64 s[10:11], s[2:3]
	s_cbranch_execz .LBB66_14
.LBB66_18:                              ;   in Loop: Header=BB66_4 Depth=1
	s_waitcnt vmcnt(0)
	v_mov_b32_e32 v62, s17
	v_cmp_neq_f64_e64 s[2:3], 1.0, v[60:61]
	s_mov_b32 s46, s36
	s_mov_b32 s50, s38
	v_cndmask_b32_e64 v63, v70, v62, s[2:3]
	v_mov_b32_e32 v62, s16
	v_cndmask_b32_e64 v62, 0, v62, s[2:3]
	v_cmp_neq_f64_e64 s[2:3], 0, v[62:63]
	s_mov_b32 s52, s40
	v_cmp_gt_f64_e64 s[8:9], 0, v[62:63]
	v_cndmask_b32_e64 v61, v70, v61, s[2:3]
	v_cndmask_b32_e64 v60, 0, v60, s[2:3]
	v_frexp_mant_f64_e64 v[64:65], |v[60:61]|
	v_cmp_gt_f64_e64 s[2:3], s[36:37], v[64:65]
	v_frexp_exp_i32_f64_e32 v66, v[60:61]
	v_cmp_lt_f64_e64 s[6:7], |v[60:61]|, 1.0
	v_cndmask_b32_e64 v67, 0, 1, s[2:3]
	v_ldexp_f64 v[64:65], v[64:65], v67
	v_subbrev_co_u32_e64 v73, s[2:3], 0, v66, s[2:3]
	v_add_f64 v[66:67], v[64:65], 1.0
	v_rcp_f64_e32 v[68:69], v[66:67]
	v_add_f64 v[76:77], v[66:67], -1.0
	v_add_f64 v[74:75], v[64:65], -1.0
	v_add_f64 v[64:65], v[64:65], -v[76:77]
	v_fma_f64 v[76:77], -v[66:67], v[68:69], 1.0
	v_fmac_f64_e32 v[68:69], v[76:77], v[68:69]
	v_fma_f64 v[76:77], -v[66:67], v[68:69], 1.0
	v_fmac_f64_e32 v[68:69], v[76:77], v[68:69]
	v_mul_f64 v[76:77], v[74:75], v[68:69]
	v_mul_f64 v[78:79], v[66:67], v[76:77]
	v_fma_f64 v[66:67], v[76:77], v[66:67], -v[78:79]
	v_fmac_f64_e32 v[66:67], v[76:77], v[64:65]
	v_add_f64 v[64:65], v[78:79], v[66:67]
	v_add_f64 v[80:81], v[74:75], -v[64:65]
	v_add_f64 v[78:79], v[64:65], -v[78:79]
	;; [unrolled: 1-line block ×5, first 2 shown]
	v_add_f64 v[64:65], v[66:67], v[64:65]
	v_add_f64 v[64:65], v[80:81], v[64:65]
	v_mul_f64 v[64:65], v[68:69], v[64:65]
	v_add_f64 v[66:67], v[76:77], v[64:65]
	v_add_f64 v[68:69], v[66:67], -v[76:77]
	v_add_f64 v[64:65], v[64:65], -v[68:69]
	v_mul_f64 v[68:69], v[66:67], v[66:67]
	v_fma_f64 v[74:75], v[66:67], v[66:67], -v[68:69]
	v_add_f64 v[76:77], v[64:65], v[64:65]
	v_fmac_f64_e32 v[74:75], v[66:67], v[76:77]
	v_add_f64 v[76:77], v[68:69], v[74:75]
	v_add_f64 v[68:69], v[76:77], -v[68:69]
	v_add_f64 v[68:69], v[74:75], -v[68:69]
	v_mov_b64_e32 v[74:75], v[24:25]
	v_fmac_f64_e32 v[74:75], s[42:43], v[76:77]
	v_mov_b64_e32 v[78:79], v[26:27]
	v_fmac_f64_e32 v[78:79], v[76:77], v[74:75]
	;; [unrolled: 2-line block ×8, first 2 shown]
	v_cvt_f64_i32_e32 v[74:75], v73
	v_mul_f64 v[80:81], v[74:75], s[38:39]
	v_mul_f64 v[86:87], v[66:67], v[76:77]
	v_fma_f64 v[82:83], v[74:75], s[38:39], -v[80:81]
	v_fma_f64 v[88:89], v[76:77], v[66:67], -v[86:87]
	v_fmac_f64_e32 v[82:83], s[40:41], v[74:75]
	v_fmac_f64_e32 v[88:89], v[76:77], v[64:65]
	v_add_f64 v[74:75], v[80:81], v[82:83]
	v_fmac_f64_e32 v[88:89], v[68:69], v[66:67]
	v_add_f64 v[80:81], v[74:75], -v[80:81]
	v_ldexp_f64 v[84:85], v[64:65], 1
	v_add_f64 v[64:65], v[86:87], v[88:89]
	v_add_f64 v[80:81], v[82:83], -v[80:81]
	v_ldexp_f64 v[82:83], v[66:67], 1
	v_add_f64 v[66:67], v[64:65], -v[86:87]
	v_mul_f64 v[86:87], v[76:77], v[78:79]
	v_fma_f64 v[76:77], v[76:77], v[78:79], -v[86:87]
	v_fmac_f64_e32 v[76:77], v[68:69], v[78:79]
	v_add_f64 v[68:69], v[86:87], v[76:77]
	v_add_f64 v[78:79], v[68:69], -v[86:87]
	v_add_f64 v[76:77], v[76:77], -v[78:79]
	v_add_f64 v[78:79], v[68:69], s[36:37]
	v_add_f64 v[86:87], v[78:79], s[46:47]
	v_add_f64 v[68:69], v[68:69], -v[86:87]
	v_add_f64 v[76:77], v[76:77], s[44:45]
	v_add_f64 v[68:69], v[76:77], v[68:69]
	;; [unrolled: 1-line block ×3, first 2 shown]
	v_add_f64 v[78:79], v[78:79], -v[76:77]
	v_add_f64 v[68:69], v[68:69], v[78:79]
	v_mul_f64 v[78:79], v[64:65], v[76:77]
	v_fma_f64 v[86:87], v[64:65], v[76:77], -v[78:79]
	v_add_f64 v[66:67], v[88:89], -v[66:67]
	v_fmac_f64_e32 v[86:87], v[64:65], v[68:69]
	v_fmac_f64_e32 v[86:87], v[66:67], v[76:77]
	v_add_f64 v[64:65], v[78:79], v[86:87]
	v_add_f64 v[66:67], v[64:65], -v[78:79]
	v_add_f64 v[68:69], v[82:83], v[64:65]
	v_add_f64 v[66:67], v[86:87], -v[66:67]
	v_add_f64 v[76:77], v[68:69], -v[82:83]
	;; [unrolled: 1-line block ×3, first 2 shown]
	v_add_f64 v[66:67], v[84:85], v[66:67]
	v_add_f64 v[64:65], v[66:67], v[64:65]
	;; [unrolled: 1-line block ×3, first 2 shown]
	v_add_f64 v[68:69], v[66:67], -v[68:69]
	v_add_f64 v[64:65], v[64:65], -v[68:69]
	v_add_f64 v[68:69], v[74:75], v[66:67]
	v_add_f64 v[76:77], v[68:69], -v[74:75]
	v_add_f64 v[78:79], v[68:69], -v[76:77]
	;; [unrolled: 1-line block ×4, first 2 shown]
	v_add_f64 v[66:67], v[66:67], v[74:75]
	v_add_f64 v[74:75], v[80:81], v[64:65]
	v_add_f64 v[76:77], v[74:75], -v[80:81]
	v_add_f64 v[66:67], v[74:75], v[66:67]
	v_add_f64 v[78:79], v[74:75], -v[76:77]
	;; [unrolled: 2-line block ×3, first 2 shown]
	v_add_f64 v[64:65], v[64:65], -v[76:77]
	v_add_f64 v[68:69], v[74:75], -v[68:69]
	v_add_f64 v[64:65], v[64:65], v[78:79]
	v_add_f64 v[66:67], v[66:67], -v[68:69]
	v_add_f64 v[64:65], v[64:65], v[66:67]
	v_add_f64 v[66:67], v[74:75], v[64:65]
	v_add_f64 v[68:69], v[66:67], -v[74:75]
	v_add_f64 v[64:65], v[64:65], -v[68:69]
	v_mul_f64 v[68:69], v[62:63], v[66:67]
	v_fma_f64 v[66:67], v[62:63], v[66:67], -v[68:69]
	v_fmac_f64_e32 v[66:67], v[62:63], v[64:65]
	v_add_f64 v[64:65], v[68:69], v[66:67]
	v_cmp_class_f64_e64 s[2:3], v[68:69], s70
	v_add_f64 v[74:75], v[64:65], -v[68:69]
	v_add_f64 v[66:67], v[66:67], -v[74:75]
	v_cndmask_b32_e64 v65, v65, v69, s[2:3]
	v_cndmask_b32_e64 v64, v64, v68, s[2:3]
	v_mul_f64 v[68:69], v[64:65], s[48:49]
	v_rndne_f64_e32 v[68:69], v[68:69]
	v_fma_f64 v[74:75], s[50:51], v[68:69], v[64:65]
	v_fmac_f64_e32 v[74:75], s[52:53], v[68:69]
	v_mov_b64_e32 v[76:77], v[40:41]
	v_fmac_f64_e32 v[76:77], s[54:55], v[74:75]
	v_mov_b64_e32 v[78:79], v[42:43]
	;; [unrolled: 2-line block ×9, first 2 shown]
	v_fmac_f64_e32 v[76:77], v[74:75], v[78:79]
	v_fma_f64 v[76:77], v[74:75], v[76:77], 1.0
	v_cmp_neq_f64_e64 s[2:3], |v[64:65]|, s[60:61]
	v_fma_f64 v[74:75], v[74:75], v[76:77], 1.0
	v_cvt_i32_f64_e32 v68, v[68:69]
	v_cndmask_b32_e64 v67, 0, v67, s[2:3]
	v_cndmask_b32_e64 v66, 0, v66, s[2:3]
	v_ldexp_f64 v[68:69], v[74:75], v68
	v_cmp_nlt_f64_e64 s[2:3], s[56:57], v[64:65]
	v_cmp_ngt_f64_e64 s[4:5], s[58:59], v[64:65]
	v_cmp_class_f64_e64 s[12:13], v[60:61], s70
	v_cndmask_b32_e64 v69, v71, v69, s[2:3]
	s_and_b64 s[2:3], s[4:5], s[2:3]
	v_cndmask_b32_e64 v65, 0, v69, s[4:5]
	v_cndmask_b32_e64 v64, 0, v68, s[2:3]
	v_mov_b64_e32 v[68:69], v[64:65]
	v_fmac_f64_e32 v[68:69], v[68:69], v[66:67]
	v_cmp_class_f64_e64 s[2:3], v[64:65], s70
	s_nop 1
	v_cndmask_b32_e64 v68, v68, v64, s[2:3]
	v_cndmask_b32_e64 v69, v69, v65, s[2:3]
	v_trunc_f64_e32 v[64:65], v[62:63]
	v_cmp_eq_f64_e64 s[2:3], v[64:65], v[62:63]
	v_mul_f64 v[64:65], v[62:63], 0.5
	v_trunc_f64_e32 v[66:67], v[64:65]
	v_cmp_neq_f64_e64 s[4:5], v[66:67], v[64:65]
	s_and_b64 s[4:5], s[2:3], s[4:5]
	v_cndmask_b32_e64 v66, 0, v68, s[2:3]
	v_cndmask_b32_e64 v64, v70, v61, s[4:5]
	v_bfi_b32 v64, s71, v69, v64
	v_cndmask_b32_e64 v65, v72, v64, s[2:3]
	v_cmp_gt_f64_e64 s[2:3], 0, v[60:61]
	v_cndmask_b32_e64 v67, 0, v61, s[4:5]
	s_nop 0
	v_cndmask_b32_e64 v66, v68, v66, s[2:3]
	v_cndmask_b32_e64 v64, v64, v65, s[2:3]
	v_cmp_neq_f64_e64 s[2:3], v[62:63], |v[62:63]|
	s_xor_b64 s[2:3], s[2:3], s[6:7]
	v_cmp_eq_f64_e64 s[6:7], 0, v[60:61]
	v_cndmask_b32_e64 v65, v71, 0, s[2:3]
	v_cmp_neq_f64_e64 s[2:3], |v[60:61]|, 1.0
	s_xor_b64 s[8:9], s[8:9], s[6:7]
	s_or_b64 s[4:5], s[6:7], s[12:13]
	v_cndmask_b32_e64 v65, v70, v65, s[2:3]
	v_cmp_class_f64_e64 s[2:3], v[62:63], s70
	s_nop 1
	v_cndmask_b32_e64 v64, v64, v65, s[2:3]
	v_cndmask_b32_e64 v65, v71, 0, s[8:9]
	v_bfi_b32 v65, s71, v65, v67
	s_or_b64 s[2:3], s[4:5], s[2:3]
	v_cndmask_b32_e64 v64, v64, v65, s[4:5]
	v_cndmask_b32_e64 v65, v66, 0, s[2:3]
	v_cmp_o_f64_e64 s[2:3], v[60:61], v[62:63]
	v_lshl_add_u64 v[62:63], v[14:15], 0, s[18:19]
	s_nop 0
	v_cndmask_b32_e64 v60, 0, v65, s[2:3]
	v_cndmask_b32_e64 v61, v72, v64, s[2:3]
	global_store_dwordx2 v[62:63], v[60:61], off
	s_or_b64 exec, exec, s[10:11]
	s_and_saveexec_b64 s[8:9], vcc
	s_cbranch_execz .LBB66_3
.LBB66_19:                              ;   in Loop: Header=BB66_4 Depth=1
	s_waitcnt vmcnt(0)
	v_mov_b32_e32 v60, s17
	v_cmp_neq_f64_e32 vcc, 1.0, v[58:59]
	s_mov_b32 s46, s36
	s_mov_b32 s50, s38
	v_cndmask_b32_e32 v61, v70, v60, vcc
	v_mov_b32_e32 v60, s16
	v_cndmask_b32_e32 v60, 0, v60, vcc
	v_cmp_neq_f64_e32 vcc, 0, v[60:61]
	s_mov_b32 s52, s40
	v_cmp_neq_f64_e64 s[4:5], v[60:61], |v[60:61]|
	v_cndmask_b32_e32 v59, v70, v59, vcc
	v_cndmask_b32_e32 v58, 0, v58, vcc
	v_frexp_mant_f64_e64 v[62:63], |v[58:59]|
	v_cmp_gt_f64_e32 vcc, s[36:37], v[62:63]
	v_frexp_exp_i32_f64_e32 v64, v[58:59]
	v_cmp_lt_f64_e64 s[6:7], |v[58:59]|, 1.0
	v_cndmask_b32_e64 v65, 0, 1, vcc
	v_ldexp_f64 v[62:63], v[62:63], v65
	v_subbrev_co_u32_e32 v73, vcc, 0, v64, vcc
	v_add_f64 v[64:65], v[62:63], 1.0
	v_rcp_f64_e32 v[66:67], v[64:65]
	v_add_f64 v[74:75], v[64:65], -1.0
	v_add_f64 v[68:69], v[62:63], -1.0
	v_add_f64 v[62:63], v[62:63], -v[74:75]
	v_fma_f64 v[74:75], -v[64:65], v[66:67], 1.0
	v_fmac_f64_e32 v[66:67], v[74:75], v[66:67]
	v_fma_f64 v[74:75], -v[64:65], v[66:67], 1.0
	v_fmac_f64_e32 v[66:67], v[74:75], v[66:67]
	v_mul_f64 v[74:75], v[68:69], v[66:67]
	v_mul_f64 v[76:77], v[64:65], v[74:75]
	v_fma_f64 v[64:65], v[74:75], v[64:65], -v[76:77]
	v_fmac_f64_e32 v[64:65], v[74:75], v[62:63]
	v_add_f64 v[62:63], v[76:77], v[64:65]
	v_add_f64 v[78:79], v[68:69], -v[62:63]
	v_add_f64 v[76:77], v[62:63], -v[76:77]
	v_add_f64 v[68:69], v[68:69], -v[78:79]
	v_add_f64 v[62:63], v[68:69], -v[62:63]
	v_add_f64 v[64:65], v[76:77], -v[64:65]
	v_add_f64 v[62:63], v[64:65], v[62:63]
	v_add_f64 v[62:63], v[78:79], v[62:63]
	v_mul_f64 v[62:63], v[66:67], v[62:63]
	v_add_f64 v[64:65], v[74:75], v[62:63]
	v_add_f64 v[66:67], v[64:65], -v[74:75]
	v_add_f64 v[62:63], v[62:63], -v[66:67]
	v_mul_f64 v[66:67], v[64:65], v[64:65]
	v_fma_f64 v[68:69], v[64:65], v[64:65], -v[66:67]
	v_add_f64 v[74:75], v[62:63], v[62:63]
	v_fmac_f64_e32 v[68:69], v[64:65], v[74:75]
	v_add_f64 v[74:75], v[66:67], v[68:69]
	v_add_f64 v[66:67], v[74:75], -v[66:67]
	v_add_f64 v[66:67], v[68:69], -v[66:67]
	v_mov_b64_e32 v[68:69], v[24:25]
	v_fmac_f64_e32 v[68:69], s[42:43], v[74:75]
	v_mov_b64_e32 v[76:77], v[26:27]
	v_fmac_f64_e32 v[76:77], v[74:75], v[68:69]
	;; [unrolled: 2-line block ×8, first 2 shown]
	v_cvt_f64_i32_e32 v[68:69], v73
	v_mul_f64 v[78:79], v[68:69], s[38:39]
	v_mul_f64 v[84:85], v[64:65], v[74:75]
	v_fma_f64 v[80:81], v[68:69], s[38:39], -v[78:79]
	v_fma_f64 v[86:87], v[74:75], v[64:65], -v[84:85]
	v_fmac_f64_e32 v[80:81], s[40:41], v[68:69]
	v_fmac_f64_e32 v[86:87], v[74:75], v[62:63]
	v_add_f64 v[68:69], v[78:79], v[80:81]
	v_fmac_f64_e32 v[86:87], v[66:67], v[64:65]
	v_add_f64 v[78:79], v[68:69], -v[78:79]
	v_ldexp_f64 v[82:83], v[62:63], 1
	v_add_f64 v[62:63], v[84:85], v[86:87]
	v_add_f64 v[78:79], v[80:81], -v[78:79]
	v_ldexp_f64 v[80:81], v[64:65], 1
	v_add_f64 v[64:65], v[62:63], -v[84:85]
	v_mul_f64 v[84:85], v[74:75], v[76:77]
	v_fma_f64 v[74:75], v[74:75], v[76:77], -v[84:85]
	v_fmac_f64_e32 v[74:75], v[66:67], v[76:77]
	v_add_f64 v[66:67], v[84:85], v[74:75]
	v_add_f64 v[76:77], v[66:67], -v[84:85]
	v_add_f64 v[74:75], v[74:75], -v[76:77]
	v_add_f64 v[76:77], v[66:67], s[36:37]
	v_add_f64 v[84:85], v[76:77], s[46:47]
	v_add_f64 v[66:67], v[66:67], -v[84:85]
	v_add_f64 v[74:75], v[74:75], s[44:45]
	v_add_f64 v[66:67], v[74:75], v[66:67]
	;; [unrolled: 1-line block ×3, first 2 shown]
	v_add_f64 v[76:77], v[76:77], -v[74:75]
	v_add_f64 v[66:67], v[66:67], v[76:77]
	v_mul_f64 v[76:77], v[62:63], v[74:75]
	v_fma_f64 v[84:85], v[62:63], v[74:75], -v[76:77]
	v_add_f64 v[64:65], v[86:87], -v[64:65]
	v_fmac_f64_e32 v[84:85], v[62:63], v[66:67]
	v_fmac_f64_e32 v[84:85], v[64:65], v[74:75]
	v_add_f64 v[62:63], v[76:77], v[84:85]
	v_add_f64 v[64:65], v[62:63], -v[76:77]
	v_add_f64 v[66:67], v[80:81], v[62:63]
	v_add_f64 v[64:65], v[84:85], -v[64:65]
	v_add_f64 v[74:75], v[66:67], -v[80:81]
	;; [unrolled: 1-line block ×3, first 2 shown]
	v_add_f64 v[64:65], v[82:83], v[64:65]
	v_add_f64 v[62:63], v[64:65], v[62:63]
	;; [unrolled: 1-line block ×3, first 2 shown]
	v_add_f64 v[66:67], v[64:65], -v[66:67]
	v_add_f64 v[62:63], v[62:63], -v[66:67]
	v_add_f64 v[66:67], v[68:69], v[64:65]
	v_add_f64 v[74:75], v[66:67], -v[68:69]
	v_add_f64 v[76:77], v[66:67], -v[74:75]
	;; [unrolled: 1-line block ×4, first 2 shown]
	v_add_f64 v[64:65], v[64:65], v[68:69]
	v_add_f64 v[68:69], v[78:79], v[62:63]
	v_add_f64 v[74:75], v[68:69], -v[78:79]
	v_add_f64 v[64:65], v[68:69], v[64:65]
	v_add_f64 v[76:77], v[68:69], -v[74:75]
	;; [unrolled: 2-line block ×3, first 2 shown]
	v_add_f64 v[62:63], v[62:63], -v[74:75]
	v_add_f64 v[66:67], v[68:69], -v[66:67]
	v_add_f64 v[62:63], v[62:63], v[76:77]
	v_add_f64 v[64:65], v[64:65], -v[66:67]
	v_add_f64 v[62:63], v[62:63], v[64:65]
	v_add_f64 v[64:65], v[68:69], v[62:63]
	v_add_f64 v[66:67], v[64:65], -v[68:69]
	v_add_f64 v[62:63], v[62:63], -v[66:67]
	v_mul_f64 v[66:67], v[60:61], v[64:65]
	v_fma_f64 v[64:65], v[60:61], v[64:65], -v[66:67]
	v_fmac_f64_e32 v[64:65], v[60:61], v[62:63]
	v_add_f64 v[62:63], v[66:67], v[64:65]
	v_cmp_class_f64_e64 vcc, v[66:67], s70
	v_add_f64 v[68:69], v[62:63], -v[66:67]
	v_add_f64 v[64:65], v[64:65], -v[68:69]
	v_cndmask_b32_e32 v63, v63, v67, vcc
	v_cndmask_b32_e32 v62, v62, v66, vcc
	v_mul_f64 v[66:67], v[62:63], s[48:49]
	v_rndne_f64_e32 v[66:67], v[66:67]
	v_fma_f64 v[68:69], s[50:51], v[66:67], v[62:63]
	v_fmac_f64_e32 v[68:69], s[52:53], v[66:67]
	v_mov_b64_e32 v[74:75], v[40:41]
	v_fmac_f64_e32 v[74:75], s[54:55], v[68:69]
	v_mov_b64_e32 v[76:77], v[42:43]
	;; [unrolled: 2-line block ×9, first 2 shown]
	v_fmac_f64_e32 v[74:75], v[68:69], v[76:77]
	v_fma_f64 v[74:75], v[68:69], v[74:75], 1.0
	v_cmp_neq_f64_e64 vcc, |v[62:63]|, s[60:61]
	v_fma_f64 v[68:69], v[68:69], v[74:75], 1.0
	v_cvt_i32_f64_e32 v66, v[66:67]
	v_cndmask_b32_e32 v65, 0, v65, vcc
	v_cndmask_b32_e32 v64, 0, v64, vcc
	v_ldexp_f64 v[66:67], v[68:69], v66
	v_cmp_nlt_f64_e32 vcc, s[56:57], v[62:63]
	v_cmp_ngt_f64_e64 s[2:3], s[58:59], v[62:63]
	s_xor_b64 s[4:5], s[4:5], s[6:7]
	v_cndmask_b32_e32 v67, v71, v67, vcc
	s_and_b64 vcc, s[2:3], vcc
	v_cndmask_b32_e64 v63, 0, v67, s[2:3]
	v_cndmask_b32_e32 v62, 0, v66, vcc
	v_mov_b64_e32 v[66:67], v[62:63]
	v_fmac_f64_e32 v[66:67], v[66:67], v[64:65]
	v_cmp_class_f64_e64 vcc, v[62:63], s70
	v_cmp_gt_f64_e64 s[6:7], 0, v[60:61]
	v_cmp_class_f64_e64 s[10:11], v[58:59], s70
	v_cndmask_b32_e32 v66, v66, v62, vcc
	v_cndmask_b32_e32 v67, v67, v63, vcc
	v_trunc_f64_e32 v[62:63], v[60:61]
	v_cmp_eq_f64_e32 vcc, v[62:63], v[60:61]
	v_mul_f64 v[62:63], v[60:61], 0.5
	v_trunc_f64_e32 v[64:65], v[62:63]
	v_cmp_neq_f64_e64 s[2:3], v[64:65], v[62:63]
	s_and_b64 s[2:3], vcc, s[2:3]
	v_cndmask_b32_e32 v64, 0, v66, vcc
	v_cndmask_b32_e64 v62, v70, v59, s[2:3]
	v_bfi_b32 v62, s71, v67, v62
	v_cndmask_b32_e32 v63, v72, v62, vcc
	v_cmp_gt_f64_e32 vcc, 0, v[58:59]
	v_cndmask_b32_e64 v65, 0, v59, s[2:3]
	s_nop 0
	v_cndmask_b32_e32 v64, v66, v64, vcc
	v_cndmask_b32_e32 v62, v62, v63, vcc
	v_cndmask_b32_e64 v63, v71, 0, s[4:5]
	v_cmp_neq_f64_e64 vcc, |v[58:59]|, 1.0
	v_cmp_eq_f64_e64 s[4:5], 0, v[58:59]
	s_xor_b64 s[6:7], s[6:7], s[4:5]
	v_cndmask_b32_e32 v63, v70, v63, vcc
	v_cmp_class_f64_e64 vcc, v[60:61], s70
	s_or_b64 s[2:3], s[4:5], s[10:11]
	s_nop 0
	v_cndmask_b32_e32 v62, v62, v63, vcc
	v_cndmask_b32_e64 v63, v71, 0, s[6:7]
	v_bfi_b32 v63, s71, v63, v65
	v_cndmask_b32_e64 v62, v62, v63, s[2:3]
	s_or_b64 s[2:3], s[2:3], vcc
	v_cndmask_b32_e64 v63, v64, 0, s[2:3]
	v_cmp_o_f64_e32 vcc, v[58:59], v[60:61]
	v_lshl_add_u64 v[60:61], v[8:9], 0, s[18:19]
	s_nop 0
	v_cndmask_b32_e32 v58, 0, v63, vcc
	v_cndmask_b32_e32 v59, v72, v62, vcc
	global_store_dwordx2 v[60:61], v[58:59], off
	s_branch .LBB66_3
.LBB66_20:
	s_mov_b64 s[2:3], 0
.LBB66_21:
	s_andn2_b64 vcc, exec, s[2:3]
	s_cbranch_vccnz .LBB66_25
; %bb.22:
	v_mov_b64_e32 v[4:5], 0x10000
	v_cmp_lt_i64_e32 vcc, s[26:27], v[4:5]
	s_and_b64 s[2:3], vcc, exec
	v_mov_b32_e32 v3, 0
	s_cselect_b32 s27, s27, 0
	s_cselect_b32 s26, s26, 0x10000
	v_lshlrev_b32_e32 v2, 2, v0
	s_mov_b32 s25, 0
	v_cmp_gt_i64_e32 vcc, s[26:27], v[2:3]
	s_and_saveexec_b64 s[2:3], vcc
	s_cbranch_execz .LBB66_25
; %bb.23:
	s_load_dword s0, s[0:1], 0xc64
	v_lshlrev_b32_e32 v2, 5, v0
	s_mov_b32 s34, 0x55555555
	s_mov_b32 s36, 0x55555555
	;; [unrolled: 1-line block ×3, first 2 shown]
	s_waitcnt lgkmcnt(0)
	s_and_b32 s24, s0, 0xffff
	s_mov_b32 s0, 0x968915a9
	s_mov_b32 s1, 0x3fba6564
	v_mov_b64_e32 v[4:5], s[0:1]
	s_mov_b32 s0, 0xfca7ab0c
	s_mov_b32 s40, 0x3abe935a
	;; [unrolled: 1-line block ×27, first 2 shown]
	v_mov_b32_e32 v1, v3
	s_mov_b32 s29, s25
	v_lshl_add_u64 v[2:3], s[18:19], 0, v[2:3]
	s_lshl_b32 s28, s24, 5
	s_mov_b64 s[30:31], 0
	v_mov_b32_e32 v42, 0x3ff00000
	v_mov_b32_e32 v43, s17
	;; [unrolled: 1-line block ×3, first 2 shown]
	s_mov_b32 s35, 0x3fe55555
	s_mov_b32 s37, 0xbfe55555
	;; [unrolled: 1-line block ×15, first 2 shown]
	s_movk_i32 s33, 0x204
	s_mov_b32 s65, 0x7ff00000
	s_mov_b32 s67, 0x3ff71547
	s_mov_b32 s69, 0x3e5ade15
	v_mov_b64_e32 v[6:7], s[0:1]
	s_mov_b32 s71, 0x3ec71dee
	s_mov_b32 s73, 0x3efa0199
	;; [unrolled: 1-line block ×9, first 2 shown]
	v_mov_b32_e32 v45, 0x7ff00000
	s_mov_b32 s89, 0xc090cc00
	s_brev_b32 s92, -2
	v_mov_b32_e32 v46, 0x7ff80000
.LBB66_24:                              ; =>This Inner Loop Header: Depth=1
	v_lshl_add_u64 v[8:9], s[20:21], 0, v[2:3]
	global_load_dwordx4 v[18:21], v[8:9], off
	global_load_dwordx4 v[22:25], v[8:9], off offset:16
	v_lshl_add_u64 v[0:1], v[0:1], 0, s[24:25]
	v_lshlrev_b64 v[8:9], 2, v[0:1]
	v_cmp_le_i64_e32 vcc, s[26:27], v[8:9]
	v_lshl_add_u64 v[10:11], s[22:23], 0, v[2:3]
	v_lshl_add_u64 v[2:3], v[2:3], 0, s[28:29]
	s_waitcnt vmcnt(1)
	v_cmp_neq_f64_e64 s[0:1], 1.0, v[18:19]
	s_nop 1
	v_cndmask_b32_e64 v9, v42, v43, s[0:1]
	v_cndmask_b32_e64 v8, 0, v44, s[0:1]
	v_cmp_neq_f64_e64 s[0:1], 0, v[8:9]
	v_cmp_neq_f64_e64 s[2:3], 1.0, v[20:21]
	v_cmp_neq_f64_e64 s[18:19], v[8:9], |v[8:9]|
	v_cndmask_b32_e64 v19, v42, v19, s[0:1]
	v_cndmask_b32_e64 v18, 0, v18, s[0:1]
	v_cmp_lt_f64_e64 s[0:1], |v[18:19]|, 1.0
	v_cndmask_b32_e64 v17, v42, v43, s[2:3]
	s_waitcnt vmcnt(0)
	v_cmp_neq_f64_e64 s[4:5], 1.0, v[22:23]
	v_cndmask_b32_e64 v16, 0, v44, s[2:3]
	s_xor_b64 s[0:1], s[18:19], s[0:1]
	v_cndmask_b32_e64 v15, v42, v43, s[4:5]
	v_cndmask_b32_e64 v14, 0, v44, s[4:5]
	v_cmp_gt_f64_e64 s[2:3], 0, v[8:9]
	v_cmp_neq_f64_e64 s[4:5], 0, v[16:17]
	v_cndmask_b32_e64 v47, v45, 0, s[0:1]
	v_cmp_eq_f64_e64 s[0:1], 0, v[18:19]
	v_cndmask_b32_e64 v21, v42, v21, s[4:5]
	v_cndmask_b32_e64 v20, 0, v20, s[4:5]
	s_xor_b64 s[2:3], s[2:3], s[0:1]
	v_cmp_neq_f64_e64 s[90:91], v[16:17], |v[16:17]|
	v_cndmask_b32_e64 v48, v45, 0, s[2:3]
	v_cmp_lt_f64_e64 s[2:3], |v[20:21]|, 1.0
	v_cmp_neq_f64_e64 s[6:7], 1.0, v[24:25]
	s_xor_b64 s[2:3], s[90:91], s[2:3]
	v_cmp_neq_f64_e64 s[8:9], 0, v[14:15]
	v_cndmask_b32_e64 v13, v42, v43, s[6:7]
	v_cndmask_b32_e64 v12, 0, v44, s[6:7]
	v_cmp_gt_f64_e64 s[6:7], 0, v[16:17]
	v_cndmask_b32_e64 v52, v45, 0, s[2:3]
	v_cmp_eq_f64_e64 s[2:3], 0, v[20:21]
	v_cndmask_b32_e64 v23, v42, v23, s[8:9]
	v_cndmask_b32_e64 v22, 0, v22, s[8:9]
	s_xor_b64 s[6:7], s[6:7], s[2:3]
	v_cmp_neq_f64_e64 s[94:95], v[14:15], |v[14:15]|
	v_cndmask_b32_e64 v49, v45, 0, s[6:7]
	v_cmp_lt_f64_e64 s[6:7], |v[22:23]|, 1.0
	s_xor_b64 s[6:7], s[94:95], s[6:7]
	v_cmp_gt_f64_e64 s[12:13], 0, v[14:15]
	v_cmp_neq_f64_e64 s[14:15], 0, v[12:13]
	v_cndmask_b32_e64 v54, v45, 0, s[6:7]
	v_cmp_eq_f64_e64 s[6:7], 0, v[22:23]
	v_cndmask_b32_e64 v25, v42, v25, s[14:15]
	v_cndmask_b32_e64 v24, 0, v24, s[14:15]
	s_xor_b64 s[12:13], s[12:13], s[6:7]
	v_cmp_neq_f64_e64 s[96:97], v[12:13], |v[12:13]|
	v_cndmask_b32_e64 v51, v45, 0, s[12:13]
	v_cmp_lt_f64_e64 s[12:13], |v[24:25]|, 1.0
	v_trunc_f64_e32 v[26:27], v[8:9]
	v_mul_f64 v[28:29], v[8:9], 0.5
	s_xor_b64 s[12:13], s[96:97], s[12:13]
	v_cmp_gt_f64_e64 s[16:17], 0, v[12:13]
	v_cmp_eq_f64_e64 s[10:11], v[26:27], v[8:9]
	v_trunc_f64_e32 v[26:27], v[28:29]
	v_cndmask_b32_e64 v64, v45, 0, s[12:13]
	v_cmp_eq_f64_e64 s[12:13], 0, v[24:25]
	v_frexp_mant_f64_e64 v[62:63], |v[18:19]|
	v_cmp_neq_f64_e64 s[18:19], v[26:27], v[28:29]
	s_xor_b64 s[16:17], s[16:17], s[12:13]
	v_frexp_exp_i32_f64_e32 v50, v[18:19]
	v_frexp_mant_f64_e64 v[26:27], |v[20:21]|
	v_cndmask_b32_e64 v53, v45, 0, s[16:17]
	v_cmp_gt_f64_e64 s[16:17], s[34:35], v[62:63]
	s_and_b64 s[18:19], s[10:11], s[18:19]
	v_trunc_f64_e32 v[30:31], v[16:17]
	v_mul_f64 v[32:33], v[16:17], 0.5
	v_frexp_exp_i32_f64_e32 v57, v[20:21]
	v_cndmask_b32_e64 v65, 0, 1, s[16:17]
	v_subbrev_co_u32_e64 v68, s[16:17], 0, v50, s[16:17]
	v_cndmask_b32_e64 v56, v42, v19, s[18:19]
	v_cndmask_b32_e64 v55, 0, v19, s[18:19]
	v_cmp_gt_f64_e64 s[18:19], s[34:35], v[26:27]
	v_trunc_f64_e32 v[34:35], v[14:15]
	v_mul_f64 v[36:37], v[14:15], 0.5
	v_cmp_eq_f64_e64 s[4:5], v[30:31], v[16:17]
	v_trunc_f64_e32 v[30:31], v[32:33]
	v_cmp_neq_f64_e64 s[16:17], |v[18:19]|, 1.0
	v_cndmask_b32_e64 v66, 0, 1, s[18:19]
	v_subbrev_co_u32_e64 v72, s[18:19], 0, v57, s[18:19]
	v_cmp_eq_f64_e64 s[8:9], v[34:35], v[14:15]
	v_trunc_f64_e32 v[34:35], v[36:37]
	v_cndmask_b32_e64 v47, v42, v47, s[16:17]
	v_cmp_neq_f64_e64 s[16:17], v[30:31], v[32:33]
	v_cmp_neq_f64_e64 s[18:19], |v[20:21]|, 1.0
	v_frexp_mant_f64_e64 v[28:29], |v[22:23]|
	s_and_b64 s[16:17], s[4:5], s[16:17]
	v_cndmask_b32_e64 v50, v42, v52, s[18:19]
	v_cmp_neq_f64_e64 s[18:19], v[34:35], v[36:37]
	v_frexp_exp_i32_f64_e32 v32, v[22:23]
	v_frexp_mant_f64_e64 v[30:31], |v[24:25]|
	v_cndmask_b32_e64 v57, v42, v21, s[16:17]
	v_cndmask_b32_e64 v58, 0, v21, s[16:17]
	v_cmp_gt_f64_e64 s[16:17], s[34:35], v[28:29]
	s_and_b64 s[18:19], s[8:9], s[18:19]
	v_trunc_f64_e32 v[38:39], v[12:13]
	v_mul_f64 v[40:41], v[12:13], 0.5
	v_cndmask_b32_e64 v34, 0, 1, s[16:17]
	v_subbrev_co_u32_e64 v76, s[16:17], 0, v32, s[16:17]
	v_cndmask_b32_e64 v59, v42, v23, s[18:19]
	v_cndmask_b32_e64 v60, 0, v23, s[18:19]
	v_cmp_gt_f64_e64 s[18:19], s[34:35], v[30:31]
	v_cmp_eq_f64_e64 s[14:15], v[38:39], v[12:13]
	v_trunc_f64_e32 v[38:39], v[40:41]
	v_frexp_exp_i32_f64_e32 v33, v[24:25]
	v_cmp_neq_f64_e64 s[16:17], |v[22:23]|, 1.0
	v_cndmask_b32_e64 v35, 0, 1, s[18:19]
	v_ldexp_f64 v[26:27], v[26:27], v66
	v_cndmask_b32_e64 v52, v42, v54, s[16:17]
	v_cmp_neq_f64_e64 s[16:17], v[38:39], v[40:41]
	v_subbrev_co_u32_e64 v40, s[18:19], 0, v33, s[18:19]
	v_ldexp_f64 v[32:33], v[62:63], v65
	v_ldexp_f64 v[30:31], v[30:31], v35
	;; [unrolled: 1-line block ×3, first 2 shown]
	v_add_f64 v[66:67], v[32:33], 1.0
	v_add_f64 v[70:71], v[26:27], 1.0
	;; [unrolled: 1-line block ×3, first 2 shown]
	v_cvt_f64_i32_e32 v[34:35], v68
	v_cvt_f64_i32_e32 v[36:37], v72
	v_add_f64 v[74:75], v[28:29], 1.0
	v_cvt_f64_i32_e32 v[40:41], v40
	v_rcp_f64_e32 v[82:83], v[66:67]
	v_rcp_f64_e32 v[88:89], v[70:71]
	;; [unrolled: 1-line block ×3, first 2 shown]
	v_cmp_neq_f64_e64 s[18:19], |v[24:25]|, 1.0
	v_cvt_f64_i32_e32 v[38:39], v76
	v_add_f64 v[80:81], v[66:67], -1.0
	v_mul_f64 v[84:85], v[34:35], s[54:55]
	v_mul_f64 v[90:91], v[36:37], s[54:55]
	v_rcp_f64_e32 v[94:95], v[74:75]
	v_mul_f64 v[102:103], v[40:41], s[54:55]
	v_cndmask_b32_e64 v54, v42, v64, s[18:19]
	v_add_f64 v[64:65], v[32:33], -1.0
	v_mul_f64 v[96:97], v[38:39], s[54:55]
	v_add_f64 v[80:81], v[32:33], -v[80:81]
	v_fma_f64 v[32:33], v[34:35], s[54:55], -v[84:85]
	v_fma_f64 v[104:105], v[36:37], s[54:55], -v[90:91]
	;; [unrolled: 1-line block ×3, first 2 shown]
	v_add_f64 v[86:87], v[70:71], -1.0
	v_add_f64 v[98:99], v[78:79], -1.0
	v_fma_f64 v[106:107], v[38:39], s[54:55], -v[96:97]
	v_fmac_f64_e32 v[32:33], s[58:59], v[34:35]
	v_fmac_f64_e32 v[104:105], s[58:59], v[36:37]
	v_fmac_f64_e32 v[108:109], s[58:59], v[40:41]
	v_add_f64 v[68:69], v[26:27], -1.0
	v_add_f64 v[76:77], v[30:31], -1.0
	v_add_f64 v[92:93], v[74:75], -1.0
	v_add_f64 v[86:87], v[26:27], -v[86:87]
	v_add_f64 v[98:99], v[30:31], -v[98:99]
	v_fmac_f64_e32 v[106:107], s[58:59], v[38:39]
	v_add_f64 v[40:41], v[84:85], v[32:33]
	v_add_f64 v[38:39], v[90:91], v[104:105]
	;; [unrolled: 1-line block ×3, first 2 shown]
	v_fma_f64 v[26:27], -v[66:67], v[82:83], 1.0
	v_fma_f64 v[30:31], -v[70:71], v[88:89], 1.0
	;; [unrolled: 1-line block ×3, first 2 shown]
	v_add_f64 v[72:73], v[28:29], -1.0
	v_add_f64 v[92:93], v[28:29], -v[92:93]
	v_add_f64 v[28:29], v[40:41], -v[84:85]
	;; [unrolled: 1-line block ×3, first 2 shown]
	v_fma_f64 v[90:91], -v[74:75], v[94:95], 1.0
	v_add_f64 v[102:103], v[34:35], -v[102:103]
	v_fmac_f64_e32 v[82:83], v[26:27], v[82:83]
	v_fmac_f64_e32 v[88:89], v[30:31], v[88:89]
	;; [unrolled: 1-line block ×3, first 2 shown]
	v_add_f64 v[36:37], v[96:97], v[106:107]
	v_add_f64 v[26:27], v[32:33], -v[28:29]
	v_add_f64 v[28:29], v[104:105], -v[84:85]
	v_fmac_f64_e32 v[94:95], v[90:91], v[94:95]
	v_add_f64 v[32:33], v[108:109], -v[102:103]
	v_fma_f64 v[84:85], -v[66:67], v[82:83], 1.0
	v_fma_f64 v[90:91], -v[70:71], v[88:89], 1.0
	;; [unrolled: 1-line block ×3, first 2 shown]
	v_add_f64 v[96:97], v[36:37], -v[96:97]
	v_fmac_f64_e32 v[82:83], v[84:85], v[82:83]
	v_fmac_f64_e32 v[88:89], v[90:91], v[88:89]
	v_fmac_f64_e32 v[100:101], v[102:103], v[100:101]
	v_add_f64 v[30:31], v[106:107], -v[96:97]
	v_fma_f64 v[96:97], -v[74:75], v[94:95], 1.0
	v_mul_f64 v[84:85], v[64:65], v[82:83]
	v_mul_f64 v[90:91], v[68:69], v[88:89]
	;; [unrolled: 1-line block ×3, first 2 shown]
	v_fmac_f64_e32 v[94:95], v[96:97], v[94:95]
	v_mul_f64 v[104:105], v[66:67], v[84:85]
	v_mul_f64 v[106:107], v[70:71], v[90:91]
	v_mul_f64 v[110:111], v[78:79], v[102:103]
	v_mul_f64 v[96:97], v[72:73], v[94:95]
	v_fma_f64 v[66:67], v[84:85], v[66:67], -v[104:105]
	v_fma_f64 v[70:71], v[90:91], v[70:71], -v[106:107]
	;; [unrolled: 1-line block ×3, first 2 shown]
	v_mul_f64 v[108:109], v[74:75], v[96:97]
	v_fmac_f64_e32 v[66:67], v[84:85], v[80:81]
	v_fmac_f64_e32 v[70:71], v[90:91], v[86:87]
	;; [unrolled: 1-line block ×3, first 2 shown]
	v_fma_f64 v[74:75], v[96:97], v[74:75], -v[108:109]
	v_add_f64 v[80:81], v[104:105], v[66:67]
	v_add_f64 v[86:87], v[106:107], v[70:71]
	;; [unrolled: 1-line block ×3, first 2 shown]
	v_fmac_f64_e32 v[74:75], v[96:97], v[92:93]
	v_add_f64 v[112:113], v[64:65], -v[80:81]
	v_add_f64 v[114:115], v[68:69], -v[86:87]
	;; [unrolled: 1-line block ×3, first 2 shown]
	v_add_f64 v[92:93], v[108:109], v[74:75]
	v_add_f64 v[104:105], v[80:81], -v[104:105]
	v_add_f64 v[106:107], v[86:87], -v[106:107]
	;; [unrolled: 1-line block ×15, first 2 shown]
	v_add_f64 v[64:65], v[66:67], v[64:65]
	v_add_f64 v[66:67], v[70:71], v[68:69]
	;; [unrolled: 1-line block ×3, first 2 shown]
	v_add_f64 v[74:75], v[108:109], -v[74:75]
	v_add_f64 v[72:73], v[72:73], -v[92:93]
	v_add_f64 v[64:65], v[112:113], v[64:65]
	v_add_f64 v[70:71], v[118:119], v[70:71]
	;; [unrolled: 1-line block ×4, first 2 shown]
	v_mul_f64 v[64:65], v[82:83], v[64:65]
	v_mul_f64 v[70:71], v[100:101], v[70:71]
	v_add_f64 v[68:69], v[116:117], v[68:69]
	v_mul_f64 v[66:67], v[88:89], v[66:67]
	v_add_f64 v[72:73], v[84:85], v[64:65]
	v_add_f64 v[78:79], v[102:103], v[70:71]
	v_mul_f64 v[68:69], v[94:95], v[68:69]
	v_add_f64 v[74:75], v[90:91], v[66:67]
	v_add_f64 v[80:81], v[72:73], -v[84:85]
	v_add_f64 v[98:99], v[78:79], -v[102:103]
	v_add_f64 v[76:77], v[96:97], v[68:69]
	v_mul_f64 v[82:83], v[72:73], v[72:73]
	v_add_f64 v[86:87], v[74:75], -v[90:91]
	v_mul_f64 v[100:101], v[78:79], v[78:79]
	v_add_f64 v[64:65], v[64:65], -v[80:81]
	v_add_f64 v[70:71], v[70:71], -v[98:99]
	v_mul_f64 v[88:89], v[74:75], v[74:75]
	v_add_f64 v[92:93], v[76:77], -v[96:97]
	v_fma_f64 v[80:81], v[72:73], v[72:73], -v[82:83]
	v_add_f64 v[66:67], v[66:67], -v[86:87]
	v_fma_f64 v[98:99], v[78:79], v[78:79], -v[100:101]
	v_add_f64 v[104:105], v[64:65], v[64:65]
	v_add_f64 v[116:117], v[70:71], v[70:71]
	v_mul_f64 v[94:95], v[76:77], v[76:77]
	v_fma_f64 v[86:87], v[74:75], v[74:75], -v[88:89]
	v_add_f64 v[68:69], v[68:69], -v[92:93]
	v_add_f64 v[108:109], v[66:67], v[66:67]
	v_fmac_f64_e32 v[80:81], v[72:73], v[104:105]
	v_fmac_f64_e32 v[98:99], v[78:79], v[116:117]
	v_fma_f64 v[92:93], v[76:77], v[76:77], -v[94:95]
	v_add_f64 v[112:113], v[68:69], v[68:69]
	v_fmac_f64_e32 v[86:87], v[74:75], v[108:109]
	v_add_f64 v[104:105], v[82:83], v[80:81]
	v_add_f64 v[116:117], v[100:101], v[98:99]
	v_fmac_f64_e32 v[92:93], v[76:77], v[112:113]
	v_add_f64 v[108:109], v[88:89], v[86:87]
	v_add_f64 v[82:83], v[104:105], -v[82:83]
	v_mul_f64 v[122:123], v[72:73], v[104:105]
	v_add_f64 v[100:101], v[116:117], -v[100:101]
	v_add_f64 v[112:113], v[94:95], v[92:93]
	v_add_f64 v[88:89], v[108:109], -v[88:89]
	v_add_f64 v[80:81], v[80:81], -v[82:83]
	v_mul_f64 v[82:83], v[74:75], v[108:109]
	v_add_f64 v[98:99], v[98:99], -v[100:101]
	v_fma_f64 v[100:101], v[104:105], v[72:73], -v[122:123]
	v_ldexp_f64 v[106:107], v[64:65], 1
	v_add_f64 v[94:95], v[112:113], -v[94:95]
	v_add_f64 v[86:87], v[86:87], -v[88:89]
	v_mul_f64 v[88:89], v[76:77], v[112:113]
	v_fmac_f64_e32 v[100:101], v[104:105], v[64:65]
	v_fma_f64 v[64:65], v[108:109], v[74:75], -v[82:83]
	v_ldexp_f64 v[110:111], v[66:67], 1
	v_fma_f64 v[120:121], s[38:39], v[104:105], v[4:5]
	v_add_f64 v[92:93], v[92:93], -v[94:95]
	v_mul_f64 v[94:95], v[78:79], v[116:117]
	v_fmac_f64_e32 v[64:65], v[108:109], v[66:67]
	v_fma_f64 v[66:67], v[112:113], v[76:77], -v[88:89]
	v_ldexp_f64 v[114:115], v[68:69], 1
	v_fmac_f64_e32 v[66:67], v[112:113], v[68:69]
	v_fma_f64 v[68:69], v[116:117], v[78:79], -v[94:95]
	v_fma_f64 v[120:121], v[104:105], v[120:121], s[40:41]
	v_ldexp_f64 v[84:85], v[72:73], 1
	v_ldexp_f64 v[90:91], v[74:75], 1
	;; [unrolled: 1-line block ×3, first 2 shown]
	v_fmac_f64_e32 v[68:69], v[116:117], v[70:71]
	v_fma_f64 v[70:71], s[38:39], v[108:109], v[4:5]
	v_fmac_f64_e32 v[100:101], v[80:81], v[72:73]
	v_fma_f64 v[72:73], s[38:39], v[112:113], v[4:5]
	;; [unrolled: 2-line block ×3, first 2 shown]
	v_fma_f64 v[120:121], v[104:105], v[120:121], s[42:43]
	v_fma_f64 v[70:71], v[108:109], v[70:71], s[40:41]
	;; [unrolled: 1-line block ×5, first 2 shown]
	v_ldexp_f64 v[96:97], v[76:77], 1
	v_ldexp_f64 v[102:103], v[78:79], 1
	v_fma_f64 v[70:71], v[108:109], v[70:71], s[42:43]
	v_fma_f64 v[72:73], v[112:113], v[72:73], s[42:43]
	;; [unrolled: 1-line block ×3, first 2 shown]
	v_fmac_f64_e32 v[66:67], v[92:93], v[76:77]
	v_fmac_f64_e32 v[68:69], v[98:99], v[78:79]
	v_fma_f64 v[76:77], v[104:105], v[120:121], s[46:47]
	v_add_f64 v[78:79], v[122:123], v[100:101]
	v_fma_f64 v[70:71], v[108:109], v[70:71], s[44:45]
	v_fma_f64 v[72:73], v[112:113], v[72:73], s[44:45]
	;; [unrolled: 1-line block ×3, first 2 shown]
	v_add_f64 v[122:123], v[78:79], -v[122:123]
	v_fma_f64 v[76:77], v[104:105], v[76:77], s[48:49]
	v_fma_f64 v[70:71], v[108:109], v[70:71], s[46:47]
	v_add_f64 v[120:121], v[82:83], v[64:65]
	v_fma_f64 v[72:73], v[112:113], v[72:73], s[46:47]
	v_add_f64 v[100:101], v[100:101], -v[122:123]
	v_add_f64 v[122:123], v[88:89], v[66:67]
	v_fma_f64 v[74:75], v[116:117], v[74:75], s[46:47]
	v_fma_f64 v[76:77], v[104:105], v[76:77], s[50:51]
	v_add_f64 v[82:83], v[120:121], -v[82:83]
	v_fma_f64 v[70:71], v[108:109], v[70:71], s[48:49]
	v_fma_f64 v[72:73], v[112:113], v[72:73], s[48:49]
	v_add_f64 v[88:89], v[122:123], -v[88:89]
	;; [unrolled: 3-line block ×3, first 2 shown]
	v_add_f64 v[82:83], v[94:95], v[68:69]
	v_fma_f64 v[70:71], v[108:109], v[70:71], s[50:51]
	v_fma_f64 v[72:73], v[112:113], v[72:73], s[50:51]
	v_add_f64 v[66:67], v[66:67], -v[88:89]
	v_fma_f64 v[74:75], v[116:117], v[74:75], s[50:51]
	v_mul_f64 v[88:89], v[104:105], v[76:77]
	v_add_f64 v[94:95], v[82:83], -v[94:95]
	v_fma_f64 v[70:71], v[108:109], v[70:71], s[52:53]
	v_fma_f64 v[72:73], v[112:113], v[72:73], s[52:53]
	;; [unrolled: 1-line block ×3, first 2 shown]
	v_fma_f64 v[104:105], v[104:105], v[76:77], -v[88:89]
	v_add_f64 v[68:69], v[68:69], -v[94:95]
	v_mul_f64 v[94:95], v[108:109], v[70:71]
	v_fmac_f64_e32 v[104:105], v[80:81], v[76:77]
	v_mul_f64 v[76:77], v[112:113], v[72:73]
	v_mul_f64 v[80:81], v[116:117], v[74:75]
	v_fma_f64 v[108:109], v[108:109], v[70:71], -v[94:95]
	v_fma_f64 v[112:113], v[112:113], v[72:73], -v[76:77]
	;; [unrolled: 1-line block ×3, first 2 shown]
	v_fmac_f64_e32 v[108:109], v[86:87], v[70:71]
	v_fmac_f64_e32 v[112:113], v[92:93], v[72:73]
	;; [unrolled: 1-line block ×3, first 2 shown]
	v_add_f64 v[70:71], v[88:89], v[104:105]
	v_add_f64 v[72:73], v[94:95], v[108:109]
	v_add_f64 v[74:75], v[76:77], v[112:113]
	v_add_f64 v[86:87], v[80:81], v[116:117]
	v_add_f64 v[88:89], v[70:71], -v[88:89]
	v_add_f64 v[92:93], v[70:71], s[34:35]
	v_add_f64 v[94:95], v[72:73], -v[94:95]
	v_add_f64 v[98:99], v[72:73], s[34:35]
	v_add_f64 v[76:77], v[74:75], -v[76:77]
	v_add_f64 v[80:81], v[86:87], -v[80:81]
	;; [unrolled: 1-line block ×3, first 2 shown]
	v_add_f64 v[104:105], v[74:75], s[34:35]
	v_add_f64 v[94:95], v[108:109], -v[94:95]
	v_add_f64 v[108:109], v[86:87], s[34:35]
	v_add_f64 v[76:77], v[112:113], -v[76:77]
	;; [unrolled: 2-line block ×5, first 2 shown]
	v_add_f64 v[116:117], v[108:109], s[36:37]
	v_add_f64 v[88:89], v[88:89], s[62:63]
	v_add_f64 v[74:75], v[74:75], -v[112:113]
	v_add_f64 v[76:77], v[76:77], s[62:63]
	v_add_f64 v[86:87], v[86:87], -v[116:117]
	v_add_f64 v[80:81], v[80:81], s[62:63]
	v_add_f64 v[70:71], v[88:89], v[70:71]
	;; [unrolled: 1-line block ×7, first 2 shown]
	v_add_f64 v[92:93], v[92:93], -v[80:81]
	v_mul_f64 v[112:113], v[78:79], v[80:81]
	v_add_f64 v[86:87], v[98:99], v[72:73]
	v_add_f64 v[88:89], v[104:105], v[74:75]
	;; [unrolled: 1-line block ×4, first 2 shown]
	v_fma_f64 v[92:93], v[78:79], v[80:81], -v[112:113]
	v_add_f64 v[98:99], v[98:99], -v[86:87]
	v_mul_f64 v[116:117], v[120:121], v[86:87]
	v_add_f64 v[104:105], v[104:105], -v[88:89]
	v_fmac_f64_e32 v[92:93], v[78:79], v[70:71]
	v_mul_f64 v[70:71], v[122:123], v[88:89]
	v_add_f64 v[78:79], v[108:109], -v[94:95]
	v_mul_f64 v[108:109], v[82:83], v[94:95]
	v_add_f64 v[72:73], v[72:73], v[98:99]
	v_fma_f64 v[98:99], v[120:121], v[86:87], -v[116:117]
	v_add_f64 v[74:75], v[74:75], v[104:105]
	v_fma_f64 v[104:105], v[122:123], v[88:89], -v[70:71]
	;; [unrolled: 2-line block ×3, first 2 shown]
	v_fmac_f64_e32 v[98:99], v[120:121], v[72:73]
	v_fmac_f64_e32 v[104:105], v[122:123], v[74:75]
	;; [unrolled: 1-line block ×7, first 2 shown]
	v_add_f64 v[64:65], v[112:113], v[92:93]
	v_add_f64 v[68:69], v[70:71], v[104:105]
	;; [unrolled: 1-line block ×3, first 2 shown]
	v_add_f64 v[74:75], v[64:65], -v[112:113]
	v_add_f64 v[76:77], v[84:85], v[64:65]
	v_add_f64 v[66:67], v[116:117], v[98:99]
	v_add_f64 v[70:71], v[68:69], -v[70:71]
	v_add_f64 v[86:87], v[96:97], v[68:69]
	v_add_f64 v[88:89], v[72:73], -v[108:109]
	;; [unrolled: 2-line block ×3, first 2 shown]
	v_add_f64 v[84:85], v[76:77], -v[84:85]
	v_add_f64 v[80:81], v[66:67], -v[116:117]
	v_add_f64 v[82:83], v[90:91], v[66:67]
	v_add_f64 v[70:71], v[104:105], -v[70:71]
	v_add_f64 v[92:93], v[86:87], -v[96:97]
	;; [unrolled: 1-line block ×5, first 2 shown]
	v_add_f64 v[74:75], v[106:107], v[74:75]
	v_add_f64 v[80:81], v[98:99], -v[80:81]
	v_add_f64 v[90:91], v[82:83], -v[90:91]
	;; [unrolled: 1-line block ×3, first 2 shown]
	v_add_f64 v[70:71], v[114:115], v[70:71]
	v_add_f64 v[72:73], v[72:73], -v[88:89]
	v_add_f64 v[78:79], v[118:119], v[78:79]
	v_add_f64 v[64:65], v[74:75], v[64:65]
	v_add_f64 v[66:67], v[66:67], -v[90:91]
	v_add_f64 v[80:81], v[110:111], v[80:81]
	v_add_f64 v[68:69], v[70:71], v[68:69]
	;; [unrolled: 1-line block ×6, first 2 shown]
	v_add_f64 v[76:77], v[72:73], -v[76:77]
	v_add_f64 v[84:85], v[40:41], v[72:73]
	v_add_f64 v[74:75], v[82:83], v[66:67]
	v_add_f64 v[92:93], v[80:81], -v[94:95]
	v_add_f64 v[94:95], v[34:35], v[80:81]
	v_add_f64 v[64:65], v[64:65], -v[76:77]
	v_add_f64 v[76:77], v[84:85], -v[40:41]
	v_add_f64 v[78:79], v[86:87], v[68:69]
	v_add_f64 v[82:83], v[74:75], -v[82:83]
	v_add_f64 v[88:89], v[38:39], v[74:75]
	v_add_f64 v[70:71], v[70:71], -v[92:93]
	v_add_f64 v[92:93], v[94:95], -v[34:35]
	;; [unrolled: 1-line block ×4, first 2 shown]
	v_add_f64 v[76:77], v[26:27], v[64:65]
	v_add_f64 v[86:87], v[78:79], -v[86:87]
	v_add_f64 v[90:91], v[36:37], v[78:79]
	v_add_f64 v[66:67], v[66:67], -v[82:83]
	v_add_f64 v[82:83], v[88:89], -v[38:39]
	;; [unrolled: 1-line block ×4, first 2 shown]
	v_add_f64 v[92:93], v[32:33], v[70:71]
	v_add_f64 v[40:41], v[40:41], -v[96:97]
	v_add_f64 v[96:97], v[76:77], -v[26:27]
	;; [unrolled: 1-line block ×6, first 2 shown]
	v_add_f64 v[82:83], v[28:29], v[66:67]
	v_add_f64 v[34:35], v[34:35], -v[102:103]
	v_add_f64 v[102:103], v[92:93], -v[32:33]
	v_add_f64 v[40:41], v[72:73], v[40:41]
	v_add_f64 v[72:73], v[76:77], -v[96:97]
	v_add_f64 v[100:101], v[90:91], -v[86:87]
	v_add_f64 v[78:79], v[78:79], -v[86:87]
	v_add_f64 v[86:87], v[30:31], v[68:69]
	v_add_f64 v[38:39], v[38:39], -v[98:99]
	;; [unrolled: 4-line block ×3, first 2 shown]
	v_add_f64 v[26:27], v[26:27], -v[72:73]
	v_add_f64 v[40:41], v[76:77], v[40:41]
	v_add_f64 v[36:37], v[36:37], -v[100:101]
	v_add_f64 v[100:101], v[86:87], -v[30:31]
	v_add_f64 v[38:39], v[74:75], v[38:39]
	v_add_f64 v[74:75], v[82:83], -v[98:99]
	v_add_f64 v[70:71], v[70:71], -v[102:103]
	v_add_f64 v[32:33], v[32:33], -v[80:81]
	v_add_f64 v[34:35], v[92:93], v[34:35]
	v_add_f64 v[26:27], v[64:65], v[26:27]
	;; [unrolled: 1-line block ×3, first 2 shown]
	v_add_f64 v[66:67], v[66:67], -v[98:99]
	v_add_f64 v[36:37], v[78:79], v[36:37]
	v_add_f64 v[78:79], v[86:87], -v[100:101]
	v_add_f64 v[28:29], v[28:29], -v[74:75]
	v_add_f64 v[38:39], v[82:83], v[38:39]
	v_add_f64 v[32:33], v[70:71], v[32:33]
	;; [unrolled: 1-line block ×3, first 2 shown]
	v_add_f64 v[72:73], v[64:65], -v[84:85]
	v_add_f64 v[68:69], v[68:69], -v[100:101]
	;; [unrolled: 1-line block ×3, first 2 shown]
	v_add_f64 v[36:37], v[86:87], v[36:37]
	v_add_f64 v[28:29], v[66:67], v[28:29]
	;; [unrolled: 1-line block ×3, first 2 shown]
	v_add_f64 v[78:79], v[70:71], -v[94:95]
	v_add_f64 v[40:41], v[40:41], -v[72:73]
	v_add_f64 v[30:31], v[68:69], v[30:31]
	v_add_f64 v[68:69], v[90:91], v[36:37]
	v_add_f64 v[74:75], v[66:67], -v[88:89]
	v_add_f64 v[34:35], v[34:35], -v[78:79]
	v_add_f64 v[26:27], v[26:27], v[40:41]
	v_add_f64 v[76:77], v[68:69], -v[90:91]
	v_add_f64 v[38:39], v[38:39], -v[74:75]
	v_add_f64 v[32:33], v[32:33], v[34:35]
	v_add_f64 v[34:35], v[64:65], v[26:27]
	v_add_f64 v[36:37], v[36:37], -v[76:77]
	v_add_f64 v[28:29], v[28:29], v[38:39]
	v_add_f64 v[64:65], v[34:35], -v[64:65]
	v_mul_f64 v[72:73], v[8:9], v[34:35]
	v_add_f64 v[30:31], v[30:31], v[36:37]
	v_add_f64 v[36:37], v[66:67], v[28:29]
	v_add_f64 v[26:27], v[26:27], -v[64:65]
	v_fma_f64 v[34:35], v[8:9], v[34:35], -v[72:73]
	v_add_f64 v[66:67], v[36:37], -v[66:67]
	v_mul_f64 v[74:75], v[16:17], v[36:37]
	v_fmac_f64_e32 v[34:35], v[8:9], v[26:27]
	v_add_f64 v[38:39], v[68:69], v[30:31]
	v_add_f64 v[28:29], v[28:29], -v[66:67]
	v_fma_f64 v[36:37], v[16:17], v[36:37], -v[74:75]
	v_add_f64 v[26:27], v[72:73], v[34:35]
	v_cmp_class_f64_e64 s[18:19], v[72:73], s33
	v_add_f64 v[68:69], v[38:39], -v[68:69]
	v_mul_f64 v[76:77], v[14:15], v[38:39]
	v_fmac_f64_e32 v[36:37], v[16:17], v[28:29]
	v_cndmask_b32_e64 v65, v27, v73, s[18:19]
	v_cndmask_b32_e64 v64, v26, v72, s[18:19]
	v_add_f64 v[26:27], v[26:27], -v[72:73]
	v_add_f64 v[40:41], v[70:71], v[32:33]
	v_add_f64 v[30:31], v[30:31], -v[68:69]
	v_fma_f64 v[38:39], v[14:15], v[38:39], -v[76:77]
	v_add_f64 v[28:29], v[74:75], v[36:37]
	v_cmp_class_f64_e64 s[18:19], v[74:75], s33
	v_add_f64 v[26:27], v[34:35], -v[26:27]
	v_mul_f64 v[34:35], v[64:65], s[66:67]
	s_and_b64 s[16:17], s[14:15], s[16:17]
	v_add_f64 v[70:71], v[40:41], -v[70:71]
	v_mul_f64 v[78:79], v[12:13], v[40:41]
	v_fmac_f64_e32 v[38:39], v[14:15], v[30:31]
	v_cndmask_b32_e64 v67, v29, v75, s[18:19]
	v_cndmask_b32_e64 v66, v28, v74, s[18:19]
	v_add_f64 v[28:29], v[28:29], -v[74:75]
	v_rndne_f64_e32 v[34:35], v[34:35]
	v_cndmask_b32_e64 v61, v42, v25, s[16:17]
	v_cndmask_b32_e64 v62, 0, v25, s[16:17]
	v_add_f64 v[32:33], v[32:33], -v[70:71]
	v_fma_f64 v[40:41], v[12:13], v[40:41], -v[78:79]
	v_add_f64 v[30:31], v[76:77], v[38:39]
	v_cmp_class_f64_e64 s[16:17], v[76:77], s33
	v_add_f64 v[28:29], v[36:37], -v[28:29]
	v_mul_f64 v[36:37], v[66:67], s[66:67]
	v_fma_f64 v[72:73], s[56:57], v[34:35], v[64:65]
	v_fmac_f64_e32 v[40:41], v[12:13], v[32:33]
	v_add_f64 v[68:69], v[30:31], -v[76:77]
	v_cndmask_b32_e64 v31, v31, v77, s[16:17]
	v_cndmask_b32_e64 v30, v30, v76, s[16:17]
	v_rndne_f64_e32 v[36:37], v[36:37]
	v_fmac_f64_e32 v[72:73], s[60:61], v[34:35]
	v_add_f64 v[32:33], v[78:79], v[40:41]
	v_cmp_class_f64_e64 s[18:19], v[78:79], s33
	v_add_f64 v[38:39], v[38:39], -v[68:69]
	v_mul_f64 v[68:69], v[30:31], s[66:67]
	v_cvt_i32_f64_e32 v63, v[34:35]
	v_fma_f64 v[74:75], s[56:57], v[36:37], v[66:67]
	v_fma_f64 v[34:35], s[68:69], v[72:73], v[6:7]
	v_add_f64 v[70:71], v[32:33], -v[78:79]
	v_cndmask_b32_e64 v33, v33, v79, s[18:19]
	v_cndmask_b32_e64 v32, v32, v78, s[18:19]
	v_rndne_f64_e32 v[68:69], v[68:69]
	v_fmac_f64_e32 v[74:75], s[60:61], v[36:37]
	v_fma_f64 v[34:35], v[72:73], v[34:35], s[70:71]
	v_add_f64 v[40:41], v[40:41], -v[70:71]
	v_mul_f64 v[70:71], v[32:33], s[66:67]
	v_cvt_i32_f64_e32 v80, v[36:37]
	v_fma_f64 v[76:77], s[56:57], v[68:69], v[30:31]
	v_fma_f64 v[36:37], s[68:69], v[74:75], v[6:7]
	;; [unrolled: 1-line block ×3, first 2 shown]
	v_rndne_f64_e32 v[70:71], v[70:71]
	v_fmac_f64_e32 v[76:77], s[60:61], v[68:69]
	v_fma_f64 v[36:37], v[74:75], v[36:37], s[70:71]
	v_fma_f64 v[34:35], v[72:73], v[34:35], s[74:75]
	v_cvt_i32_f64_e32 v81, v[68:69]
	v_fma_f64 v[78:79], s[56:57], v[70:71], v[32:33]
	v_fma_f64 v[68:69], s[68:69], v[76:77], v[6:7]
	;; [unrolled: 1-line block ×4, first 2 shown]
	v_fmac_f64_e32 v[78:79], s[60:61], v[70:71]
	v_fma_f64 v[68:69], v[76:77], v[68:69], s[70:71]
	v_fma_f64 v[36:37], v[74:75], v[36:37], s[74:75]
	;; [unrolled: 1-line block ×3, first 2 shown]
	v_cvt_i32_f64_e32 v82, v[70:71]
	v_fma_f64 v[70:71], s[68:69], v[78:79], v[6:7]
	v_fma_f64 v[68:69], v[76:77], v[68:69], s[72:73]
	;; [unrolled: 1-line block ×12, first 2 shown]
	v_cmp_neq_f64_e64 s[18:19], |v[64:65]|, s[64:65]
	v_fma_f64 v[70:71], v[78:79], v[70:71], s[74:75]
	v_fma_f64 v[68:69], v[76:77], v[68:69], s[78:79]
	;; [unrolled: 1-line block ×3, first 2 shown]
	v_fma_f64 v[34:35], v[72:73], v[34:35], 1.0
	v_cmp_neq_f64_e64 s[16:17], |v[30:31]|, s[64:65]
	v_cndmask_b32_e64 v27, 0, v27, s[18:19]
	v_cndmask_b32_e64 v26, 0, v26, s[18:19]
	v_cmp_neq_f64_e64 s[18:19], |v[66:67]|, s[64:65]
	v_fma_f64 v[70:71], v[78:79], v[70:71], s[76:77]
	v_fma_f64 v[68:69], v[76:77], v[68:69], s[80:81]
	;; [unrolled: 1-line block ×3, first 2 shown]
	v_fma_f64 v[34:35], v[72:73], v[34:35], 1.0
	v_cndmask_b32_e64 v29, 0, v29, s[18:19]
	v_cndmask_b32_e64 v28, 0, v28, s[18:19]
	v_cmp_neq_f64_e64 s[18:19], |v[32:33]|, s[64:65]
	v_cndmask_b32_e64 v39, 0, v39, s[16:17]
	v_cndmask_b32_e64 v38, 0, v38, s[16:17]
	v_fma_f64 v[70:71], v[78:79], v[70:71], s[78:79]
	v_fma_f64 v[68:69], v[76:77], v[68:69], s[82:83]
	v_fma_f64 v[36:37], v[74:75], v[36:37], 1.0
	v_ldexp_f64 v[34:35], v[34:35], v63
	v_cmp_nlt_f64_e64 s[16:17], s[86:87], v[64:65]
	v_cndmask_b32_e64 v41, 0, v41, s[18:19]
	v_cndmask_b32_e64 v40, 0, v40, s[18:19]
	v_fma_f64 v[70:71], v[78:79], v[70:71], s[80:81]
	v_fma_f64 v[68:69], v[76:77], v[68:69], s[84:85]
	v_fma_f64 v[36:37], v[74:75], v[36:37], 1.0
	v_cndmask_b32_e64 v35, v45, v35, s[16:17]
	v_cmp_ngt_f64_e64 s[18:19], s[88:89], v[64:65]
	v_fma_f64 v[70:71], v[78:79], v[70:71], s[82:83]
	v_fma_f64 v[68:69], v[76:77], v[68:69], 1.0
	v_ldexp_f64 v[36:37], v[36:37], v80
	v_cndmask_b32_e64 v35, 0, v35, s[18:19]
	s_and_b64 s[16:17], s[18:19], s[16:17]
	v_cmp_nlt_f64_e64 s[18:19], s[86:87], v[66:67]
	v_fma_f64 v[70:71], v[78:79], v[70:71], s[84:85]
	v_fma_f64 v[68:69], v[76:77], v[68:69], 1.0
	v_cndmask_b32_e64 v37, v45, v37, s[18:19]
	v_cndmask_b32_e64 v34, 0, v34, s[16:17]
	v_cmp_ngt_f64_e64 s[16:17], s[88:89], v[66:67]
	v_fma_f64 v[70:71], v[78:79], v[70:71], 1.0
	v_ldexp_f64 v[68:69], v[68:69], v81
	v_cndmask_b32_e64 v37, 0, v37, s[16:17]
	s_and_b64 s[16:17], s[16:17], s[18:19]
	v_cmp_nlt_f64_e64 s[18:19], s[86:87], v[30:31]
	v_fma_f64 v[70:71], v[78:79], v[70:71], 1.0
	v_cndmask_b32_e64 v36, 0, v36, s[16:17]
	v_cndmask_b32_e64 v63, v45, v69, s[18:19]
	v_cmp_ngt_f64_e64 s[16:17], s[88:89], v[30:31]
	v_ldexp_f64 v[70:71], v[70:71], v82
	v_mov_b64_e32 v[64:65], v[34:35]
	v_cndmask_b32_e64 v31, 0, v63, s[16:17]
	s_and_b64 s[16:17], s[16:17], s[18:19]
	v_cmp_nlt_f64_e64 s[18:19], s[86:87], v[32:33]
	v_cndmask_b32_e64 v30, 0, v68, s[16:17]
	v_cmp_ngt_f64_e64 s[16:17], s[88:89], v[32:33]
	v_cndmask_b32_e64 v63, v45, v71, s[18:19]
	v_mov_b64_e32 v[66:67], v[36:37]
	v_cndmask_b32_e64 v33, 0, v63, s[16:17]
	s_and_b64 s[16:17], s[16:17], s[18:19]
	v_cndmask_b32_e64 v32, 0, v70, s[16:17]
	v_fmac_f64_e32 v[64:65], v[64:65], v[26:27]
	v_cmp_class_f64_e64 s[16:17], v[34:35], s33
	v_mov_b64_e32 v[68:69], v[30:31]
	v_fmac_f64_e32 v[66:67], v[66:67], v[28:29]
	v_cndmask_b32_e64 v26, v64, v34, s[16:17]
	v_cndmask_b32_e64 v27, v65, v35, s[16:17]
	v_cmp_class_f64_e64 s[16:17], v[36:37], s33
	v_mov_b64_e32 v[70:71], v[32:33]
	v_fmac_f64_e32 v[68:69], v[68:69], v[38:39]
	v_cndmask_b32_e64 v28, v66, v36, s[16:17]
	v_cndmask_b32_e64 v29, v67, v37, s[16:17]
	v_cmp_class_f64_e64 s[16:17], v[30:31], s33
	v_fmac_f64_e32 v[70:71], v[70:71], v[40:41]
	v_bfi_b32 v27, s92, v27, v56
	v_cndmask_b32_e64 v30, v68, v30, s[16:17]
	v_cndmask_b32_e64 v31, v69, v31, s[16:17]
	v_cmp_class_f64_e64 s[16:17], v[32:33], s33
	v_cndmask_b32_e64 v34, v46, v27, s[10:11]
	v_cndmask_b32_e64 v35, 0, v26, s[10:11]
	;; [unrolled: 1-line block ×4, first 2 shown]
	v_bfi_b32 v33, s92, v33, v61
	v_cmp_gt_f64_e64 s[10:11], 0, v[18:19]
	v_cmp_class_f64_e64 s[90:91], v[18:19], s33
	v_bfi_b32 v38, s92, v51, v60
	v_bfi_b32 v39, s92, v53, v62
	;; [unrolled: 1-line block ×4, first 2 shown]
	v_cndmask_b32_e64 v51, v46, v33, s[14:15]
	v_cndmask_b32_e64 v53, 0, v32, s[14:15]
	;; [unrolled: 1-line block ×3, first 2 shown]
	v_cmp_class_f64_e64 s[14:15], v[8:9], s33
	v_cmp_class_f64_e64 s[18:19], v[20:21], s33
	v_bfi_b32 v36, s92, v48, v55
	v_bfi_b32 v37, s92, v49, v58
	v_cndmask_b32_e64 v40, v46, v29, s[4:5]
	v_cndmask_b32_e64 v41, 0, v28, s[4:5]
	;; [unrolled: 1-line block ×4, first 2 shown]
	v_cmp_gt_f64_e64 s[4:5], 0, v[22:23]
	v_cndmask_b32_e64 v26, v26, v35, s[10:11]
	v_cmp_gt_f64_e64 s[10:11], 0, v[20:21]
	v_cndmask_b32_e64 v27, v27, v47, s[14:15]
	s_or_b64 s[0:1], s[0:1], s[90:91]
	v_cmp_class_f64_e64 s[16:17], v[22:23], s33
	v_cmp_class_f64_e64 s[94:95], v[24:25], s33
	v_cmp_gt_f64_e64 s[8:9], 0, v[24:25]
	v_cndmask_b32_e64 v28, v28, v41, s[10:11]
	v_cndmask_b32_e64 v29, v29, v40, s[10:11]
	;; [unrolled: 1-line block ×4, first 2 shown]
	v_cmp_class_f64_e64 s[4:5], v[14:15], s33
	v_cmp_class_f64_e64 s[10:11], v[16:17], s33
	s_or_b64 s[2:3], s[2:3], s[18:19]
	v_cndmask_b32_e64 v27, v27, v36, s[0:1]
	s_or_b64 s[0:1], s[0:1], s[14:15]
	v_cndmask_b32_e64 v32, v32, v53, s[8:9]
	v_cndmask_b32_e64 v33, v33, v51, s[8:9]
	v_cmp_class_f64_e64 s[8:9], v[12:13], s33
	v_cndmask_b32_e64 v29, v29, v50, s[10:11]
	v_cndmask_b32_e64 v31, v31, v52, s[4:5]
	s_or_b64 s[6:7], s[6:7], s[16:17]
	s_or_b64 s[12:13], s[12:13], s[94:95]
	v_cndmask_b32_e64 v26, v26, 0, s[0:1]
	s_or_b64 s[0:1], s[2:3], s[10:11]
	v_cndmask_b32_e64 v33, v33, v54, s[8:9]
	v_cndmask_b32_e64 v29, v29, v37, s[2:3]
	;; [unrolled: 1-line block ×3, first 2 shown]
	v_cmp_o_f64_e64 s[0:1], v[20:21], v[16:17]
	v_cndmask_b32_e64 v17, v31, v38, s[6:7]
	s_or_b64 s[2:3], s[6:7], s[4:5]
	s_or_b64 s[4:5], s[12:13], s[8:9]
	v_cmp_o_f64_e64 s[6:7], v[18:19], v[8:9]
	v_cndmask_b32_e64 v16, v30, 0, s[2:3]
	v_cmp_o_f64_e64 s[2:3], v[22:23], v[14:15]
	v_cndmask_b32_e64 v20, v33, v39, s[12:13]
	v_cndmask_b32_e64 v21, v32, 0, s[4:5]
	v_cmp_o_f64_e64 s[4:5], v[24:25], v[12:13]
	v_cndmask_b32_e64 v12, 0, v26, s[6:7]
	v_cndmask_b32_e64 v13, v46, v27, s[6:7]
	v_cndmask_b32_e64 v14, 0, v28, s[0:1]
	v_cndmask_b32_e64 v15, v46, v29, s[0:1]
	s_or_b64 s[30:31], vcc, s[30:31]
	v_cndmask_b32_e64 v16, 0, v16, s[2:3]
	v_cndmask_b32_e64 v17, v46, v17, s[2:3]
	;; [unrolled: 1-line block ×4, first 2 shown]
	global_store_dwordx4 v[10:11], v[12:15], off
	global_store_dwordx4 v[10:11], v[16:19], off offset:16
	s_andn2_b64 exec, exec, s[30:31]
	s_cbranch_execnz .LBB66_24
.LBB66_25:
	s_endpgm
	.section	.rodata,"a",@progbits
	.p2align	6, 0x0
	.amdhsa_kernel _ZN2at6native12_GLOBAL__N_125multi_tensor_apply_kernelINS1_18TensorListMetadataILi2EEENS1_21BinaryOpScalarFunctorIdLi2ELi1ELi1EEEJNS1_13power_functorIdEEdEEEvT_T0_DpT1_
		.amdhsa_group_segment_fixed_size 0
		.amdhsa_private_segment_fixed_size 0
		.amdhsa_kernarg_size 3416
		.amdhsa_user_sgpr_count 2
		.amdhsa_user_sgpr_dispatch_ptr 0
		.amdhsa_user_sgpr_queue_ptr 0
		.amdhsa_user_sgpr_kernarg_segment_ptr 1
		.amdhsa_user_sgpr_dispatch_id 0
		.amdhsa_user_sgpr_kernarg_preload_length 0
		.amdhsa_user_sgpr_kernarg_preload_offset 0
		.amdhsa_user_sgpr_private_segment_size 0
		.amdhsa_uses_dynamic_stack 0
		.amdhsa_enable_private_segment 0
		.amdhsa_system_sgpr_workgroup_id_x 1
		.amdhsa_system_sgpr_workgroup_id_y 0
		.amdhsa_system_sgpr_workgroup_id_z 0
		.amdhsa_system_sgpr_workgroup_info 0
		.amdhsa_system_vgpr_workitem_id 0
		.amdhsa_next_free_vgpr 124
		.amdhsa_next_free_sgpr 98
		.amdhsa_accum_offset 124
		.amdhsa_reserve_vcc 1
		.amdhsa_float_round_mode_32 0
		.amdhsa_float_round_mode_16_64 0
		.amdhsa_float_denorm_mode_32 3
		.amdhsa_float_denorm_mode_16_64 3
		.amdhsa_dx10_clamp 1
		.amdhsa_ieee_mode 1
		.amdhsa_fp16_overflow 0
		.amdhsa_tg_split 0
		.amdhsa_exception_fp_ieee_invalid_op 0
		.amdhsa_exception_fp_denorm_src 0
		.amdhsa_exception_fp_ieee_div_zero 0
		.amdhsa_exception_fp_ieee_overflow 0
		.amdhsa_exception_fp_ieee_underflow 0
		.amdhsa_exception_fp_ieee_inexact 0
		.amdhsa_exception_int_div_zero 0
	.end_amdhsa_kernel
	.section	.text._ZN2at6native12_GLOBAL__N_125multi_tensor_apply_kernelINS1_18TensorListMetadataILi2EEENS1_21BinaryOpScalarFunctorIdLi2ELi1ELi1EEEJNS1_13power_functorIdEEdEEEvT_T0_DpT1_,"axG",@progbits,_ZN2at6native12_GLOBAL__N_125multi_tensor_apply_kernelINS1_18TensorListMetadataILi2EEENS1_21BinaryOpScalarFunctorIdLi2ELi1ELi1EEEJNS1_13power_functorIdEEdEEEvT_T0_DpT1_,comdat
.Lfunc_end66:
	.size	_ZN2at6native12_GLOBAL__N_125multi_tensor_apply_kernelINS1_18TensorListMetadataILi2EEENS1_21BinaryOpScalarFunctorIdLi2ELi1ELi1EEEJNS1_13power_functorIdEEdEEEvT_T0_DpT1_, .Lfunc_end66-_ZN2at6native12_GLOBAL__N_125multi_tensor_apply_kernelINS1_18TensorListMetadataILi2EEENS1_21BinaryOpScalarFunctorIdLi2ELi1ELi1EEEJNS1_13power_functorIdEEdEEEvT_T0_DpT1_
                                        ; -- End function
	.set _ZN2at6native12_GLOBAL__N_125multi_tensor_apply_kernelINS1_18TensorListMetadataILi2EEENS1_21BinaryOpScalarFunctorIdLi2ELi1ELi1EEEJNS1_13power_functorIdEEdEEEvT_T0_DpT1_.num_vgpr, 124
	.set _ZN2at6native12_GLOBAL__N_125multi_tensor_apply_kernelINS1_18TensorListMetadataILi2EEENS1_21BinaryOpScalarFunctorIdLi2ELi1ELi1EEEJNS1_13power_functorIdEEdEEEvT_T0_DpT1_.num_agpr, 0
	.set _ZN2at6native12_GLOBAL__N_125multi_tensor_apply_kernelINS1_18TensorListMetadataILi2EEENS1_21BinaryOpScalarFunctorIdLi2ELi1ELi1EEEJNS1_13power_functorIdEEdEEEvT_T0_DpT1_.numbered_sgpr, 98
	.set _ZN2at6native12_GLOBAL__N_125multi_tensor_apply_kernelINS1_18TensorListMetadataILi2EEENS1_21BinaryOpScalarFunctorIdLi2ELi1ELi1EEEJNS1_13power_functorIdEEdEEEvT_T0_DpT1_.num_named_barrier, 0
	.set _ZN2at6native12_GLOBAL__N_125multi_tensor_apply_kernelINS1_18TensorListMetadataILi2EEENS1_21BinaryOpScalarFunctorIdLi2ELi1ELi1EEEJNS1_13power_functorIdEEdEEEvT_T0_DpT1_.private_seg_size, 0
	.set _ZN2at6native12_GLOBAL__N_125multi_tensor_apply_kernelINS1_18TensorListMetadataILi2EEENS1_21BinaryOpScalarFunctorIdLi2ELi1ELi1EEEJNS1_13power_functorIdEEdEEEvT_T0_DpT1_.uses_vcc, 1
	.set _ZN2at6native12_GLOBAL__N_125multi_tensor_apply_kernelINS1_18TensorListMetadataILi2EEENS1_21BinaryOpScalarFunctorIdLi2ELi1ELi1EEEJNS1_13power_functorIdEEdEEEvT_T0_DpT1_.uses_flat_scratch, 0
	.set _ZN2at6native12_GLOBAL__N_125multi_tensor_apply_kernelINS1_18TensorListMetadataILi2EEENS1_21BinaryOpScalarFunctorIdLi2ELi1ELi1EEEJNS1_13power_functorIdEEdEEEvT_T0_DpT1_.has_dyn_sized_stack, 0
	.set _ZN2at6native12_GLOBAL__N_125multi_tensor_apply_kernelINS1_18TensorListMetadataILi2EEENS1_21BinaryOpScalarFunctorIdLi2ELi1ELi1EEEJNS1_13power_functorIdEEdEEEvT_T0_DpT1_.has_recursion, 0
	.set _ZN2at6native12_GLOBAL__N_125multi_tensor_apply_kernelINS1_18TensorListMetadataILi2EEENS1_21BinaryOpScalarFunctorIdLi2ELi1ELi1EEEJNS1_13power_functorIdEEdEEEvT_T0_DpT1_.has_indirect_call, 0
	.section	.AMDGPU.csdata,"",@progbits
; Kernel info:
; codeLenInByte = 13524
; TotalNumSgprs: 104
; NumVgprs: 124
; NumAgprs: 0
; TotalNumVgprs: 124
; ScratchSize: 0
; MemoryBound: 0
; FloatMode: 240
; IeeeMode: 1
; LDSByteSize: 0 bytes/workgroup (compile time only)
; SGPRBlocks: 12
; VGPRBlocks: 15
; NumSGPRsForWavesPerEU: 104
; NumVGPRsForWavesPerEU: 124
; AccumOffset: 124
; Occupancy: 4
; WaveLimiterHint : 0
; COMPUTE_PGM_RSRC2:SCRATCH_EN: 0
; COMPUTE_PGM_RSRC2:USER_SGPR: 2
; COMPUTE_PGM_RSRC2:TRAP_HANDLER: 0
; COMPUTE_PGM_RSRC2:TGID_X_EN: 1
; COMPUTE_PGM_RSRC2:TGID_Y_EN: 0
; COMPUTE_PGM_RSRC2:TGID_Z_EN: 0
; COMPUTE_PGM_RSRC2:TIDIG_COMP_CNT: 0
; COMPUTE_PGM_RSRC3_GFX90A:ACCUM_OFFSET: 30
; COMPUTE_PGM_RSRC3_GFX90A:TG_SPLIT: 0
	.section	.text._ZN2at6native12_GLOBAL__N_125multi_tensor_apply_kernelINS1_18TensorListMetadataILi2EEENS1_21BinaryOpScalarFunctorIfLi2ELi1ELi1EEEJNS1_13power_functorIfEEfEEEvT_T0_DpT1_,"axG",@progbits,_ZN2at6native12_GLOBAL__N_125multi_tensor_apply_kernelINS1_18TensorListMetadataILi2EEENS1_21BinaryOpScalarFunctorIfLi2ELi1ELi1EEEJNS1_13power_functorIfEEfEEEvT_T0_DpT1_,comdat
	.globl	_ZN2at6native12_GLOBAL__N_125multi_tensor_apply_kernelINS1_18TensorListMetadataILi2EEENS1_21BinaryOpScalarFunctorIfLi2ELi1ELi1EEEJNS1_13power_functorIfEEfEEEvT_T0_DpT1_ ; -- Begin function _ZN2at6native12_GLOBAL__N_125multi_tensor_apply_kernelINS1_18TensorListMetadataILi2EEENS1_21BinaryOpScalarFunctorIfLi2ELi1ELi1EEEJNS1_13power_functorIfEEfEEEvT_T0_DpT1_
	.p2align	8
	.type	_ZN2at6native12_GLOBAL__N_125multi_tensor_apply_kernelINS1_18TensorListMetadataILi2EEENS1_21BinaryOpScalarFunctorIfLi2ELi1ELi1EEEJNS1_13power_functorIfEEfEEEvT_T0_DpT1_,@function
_ZN2at6native12_GLOBAL__N_125multi_tensor_apply_kernelINS1_18TensorListMetadataILi2EEENS1_21BinaryOpScalarFunctorIfLi2ELi1ELi1EEEJNS1_13power_functorIfEEfEEEvT_T0_DpT1_: ; @_ZN2at6native12_GLOBAL__N_125multi_tensor_apply_kernelINS1_18TensorListMetadataILi2EEENS1_21BinaryOpScalarFunctorIfLi2ELi1ELi1EEEJNS1_13power_functorIfEEfEEEvT_T0_DpT1_
; %bb.0:
	v_mov_b32_e32 v1, s2
	global_load_ubyte v1, v1, s[0:1] offset:1536
	s_add_u32 s4, s0, s2
	s_mul_hi_u32 s7, s2, 3
	s_mul_i32 s2, s2, 3
	s_addc_u32 s8, s1, 0
	s_add_u32 s6, s4, s2
	s_addc_u32 s7, s8, s7
	s_load_dword s6, s[6:7], 0x740
	s_mov_b32 s3, 0
	s_mov_b32 s5, s3
	s_waitcnt lgkmcnt(0)
	s_ashr_i32 s7, s6, 31
	s_lshl_b64 s[18:19], s[6:7], 18
	s_lshl_b64 s[6:7], s[6:7], 16
	s_waitcnt vmcnt(0)
	v_readfirstlane_b32 s2, v1
	s_lshl_b32 s2, s2, 3
	s_load_dword s33, s[0:1], 0xc4c
	s_load_dwordx2 s[8:9], s[0:1], s2 offset:0x400
	s_load_dwordx2 s[16:17], s[0:1], s2 offset:0x0
	s_load_dwordx2 s[46:47], s[0:1], s2 offset:0x200
	s_waitcnt lgkmcnt(0)
	s_add_u32 s2, s16, s18
	s_and_b32 s4, s46, 15
	s_and_b32 s2, s2, 15
	s_sub_u32 s20, s8, s6
	s_subb_u32 s21, s9, s7
	s_and_b32 s6, s8, 3
	s_mov_b32 s7, s3
	s_or_b64 s[4:5], s[4:5], s[6:7]
	s_or_b64 s[2:3], s[4:5], s[2:3]
	s_cmp_eq_u64 s[2:3], 0
	s_mov_b64 s[2:3], -1
	s_cbranch_scc1 .LBB67_21
; %bb.1:
	v_cmp_lt_i64_e64 s[2:3], s[20:21], 1
	s_and_b64 vcc, exec, s[2:3]
	s_cbranch_vccnz .LBB67_20
; %bb.2:
	s_load_dword s2, s[0:1], 0xc5c
	v_mov_b64_e32 v[2:3], 0x10000
	v_cmp_lt_i64_e32 vcc, s[20:21], v[2:3]
	s_and_b64 s[4:5], vcc, exec
	s_mov_b32 s3, 0
	s_cselect_b32 s23, s21, 0
	s_cselect_b32 s22, s20, 0x10000
	s_waitcnt lgkmcnt(0)
	s_and_b32 s2, s2, 0xffff
	v_cmp_lt_u64_e32 vcc, s[20:21], v[2:3]
	v_mov_b32_e32 v1, 0
	s_and_b64 s[4:5], vcc, exec
	s_mul_i32 s6, s2, 3
	s_mov_b32 s7, s3
	s_cselect_b32 s25, s21, 0
	s_cselect_b32 s24, s20, 0x10000
	v_lshlrev_b32_e32 v12, 2, v0
	v_mov_b32_e32 v13, v1
	v_lshl_add_u64 v[10:11], s[6:7], 0, v[0:1]
	s_lshl_b32 s6, s2, 3
	v_lshl_add_u64 v[18:19], v[0:1], 0, s[2:3]
	s_lshl_b32 s4, s2, 1
	s_mov_b32 s5, s3
	v_mad_u64_u32 v[8:9], s[8:9], s2, 12, v[12:13]
	v_lshl_add_u64 v[14:15], s[6:7], 0, v[12:13]
	v_lshlrev_b32_e32 v22, 2, v18
	v_mov_b32_e32 v23, v1
                                        ; implicit-def: $vgpr25
	s_lshl_b32 s38, s2, 2
	v_lshl_add_u64 v[2:3], s[16:17], 0, v[12:13]
	s_lshl_b32 s26, s2, 4
	s_mov_b32 s27, s3
	v_lshl_add_u64 v[4:5], s[46:47], 0, v[12:13]
	v_lshl_add_u64 v[6:7], s[16:17], 0, v[8:9]
	;; [unrolled: 1-line block ×8, first 2 shown]
	s_mov_b64 s[28:29], 0
	s_movk_i32 s39, 0x204
	s_mov_b32 s40, 0x7f800000
	s_brev_b32 s41, -2
	s_mov_b32 s42, 0x3f2aaaab
	s_mov_b32 s43, 0x3f317218
	v_mov_b32_e32 v24, 0x3e91f4c4
	s_mov_b32 s44, 0x42b17218
	s_mov_b32 s45, 0x3fb8aa3b
	;; [unrolled: 1-line block ×3, first 2 shown]
	v_mov_b32_e32 v25, 0x7f800000
	v_mov_b32_e32 v26, 0x37000000
	;; [unrolled: 1-line block ×3, first 2 shown]
	s_branch .LBB67_4
.LBB67_3:                               ;   in Loop: Header=BB67_4 Depth=1
	s_or_b64 exec, exec, s[6:7]
	s_add_u32 s28, s28, s38
	s_addc_u32 s29, s29, 0
	s_waitcnt vmcnt(0)
	v_mov_b64_e32 v[28:29], s[22:23]
	v_cmp_lt_i64_e32 vcc, s[28:29], v[28:29]
	v_lshl_add_u64 v[2:3], v[2:3], 0, s[26:27]
	v_lshl_add_u64 v[4:5], v[4:5], 0, s[26:27]
	;; [unrolled: 1-line block ×8, first 2 shown]
	s_cbranch_vccz .LBB67_20
.LBB67_4:                               ; =>This Inner Loop Header: Depth=1
	v_lshl_add_u64 v[28:29], v[0:1], 0, s[28:29]
	v_cmp_gt_u64_e64 s[6:7], s[24:25], v[28:29]
	v_mov_b32_e32 v31, 0
	s_and_saveexec_b64 s[2:3], s[6:7]
	s_cbranch_execz .LBB67_6
; %bb.5:                                ;   in Loop: Header=BB67_4 Depth=1
	v_lshl_add_u64 v[28:29], v[2:3], 0, s[18:19]
	global_load_dword v31, v[28:29], off
.LBB67_6:                               ;   in Loop: Header=BB67_4 Depth=1
	s_or_b64 exec, exec, s[2:3]
	v_lshl_add_u64 v[28:29], v[18:19], 0, s[28:29]
	v_cmp_gt_u64_e64 s[4:5], s[24:25], v[28:29]
	v_mov_b32_e32 v29, 0
	v_mov_b32_e32 v30, 0
	s_and_saveexec_b64 s[2:3], s[4:5]
	s_cbranch_execz .LBB67_8
; %bb.7:                                ;   in Loop: Header=BB67_4 Depth=1
	v_lshl_add_u64 v[32:33], v[20:21], 0, s[18:19]
	global_load_dword v30, v[32:33], off
.LBB67_8:                               ;   in Loop: Header=BB67_4 Depth=1
	s_or_b64 exec, exec, s[2:3]
	v_lshl_add_u64 v[32:33], v[16:17], 0, s[28:29]
	v_cmp_gt_u64_e64 s[2:3], s[24:25], v[32:33]
	s_and_saveexec_b64 s[8:9], s[2:3]
	s_cbranch_execz .LBB67_10
; %bb.9:                                ;   in Loop: Header=BB67_4 Depth=1
	v_lshl_add_u64 v[28:29], v[12:13], 0, s[18:19]
	global_load_dword v29, v[28:29], off
.LBB67_10:                              ;   in Loop: Header=BB67_4 Depth=1
	s_or_b64 exec, exec, s[8:9]
	v_lshl_add_u64 v[32:33], v[10:11], 0, s[28:29]
	v_cmp_gt_u64_e32 vcc, s[24:25], v[32:33]
	v_mov_b32_e32 v28, 0
	s_and_saveexec_b64 s[8:9], vcc
	s_cbranch_execnz .LBB67_15
; %bb.11:                               ;   in Loop: Header=BB67_4 Depth=1
	s_or_b64 exec, exec, s[8:9]
	s_and_saveexec_b64 s[30:31], s[6:7]
	s_cbranch_execnz .LBB67_16
.LBB67_12:                              ;   in Loop: Header=BB67_4 Depth=1
	s_or_b64 exec, exec, s[30:31]
	s_and_saveexec_b64 s[10:11], s[4:5]
	s_cbranch_execnz .LBB67_17
.LBB67_13:                              ;   in Loop: Header=BB67_4 Depth=1
	s_or_b64 exec, exec, s[10:11]
	s_and_saveexec_b64 s[8:9], s[2:3]
	s_cbranch_execnz .LBB67_18
.LBB67_14:                              ;   in Loop: Header=BB67_4 Depth=1
	s_or_b64 exec, exec, s[8:9]
	s_and_saveexec_b64 s[6:7], vcc
	s_cbranch_execz .LBB67_3
	s_branch .LBB67_19
.LBB67_15:                              ;   in Loop: Header=BB67_4 Depth=1
	v_lshl_add_u64 v[32:33], v[6:7], 0, s[18:19]
	global_load_dword v28, v[32:33], off
	s_or_b64 exec, exec, s[8:9]
	s_and_saveexec_b64 s[30:31], s[6:7]
	s_cbranch_execz .LBB67_12
.LBB67_16:                              ;   in Loop: Header=BB67_4 Depth=1
	v_mov_b32_e32 v34, s33
	s_waitcnt vmcnt(0)
	v_cmp_neq_f32_e64 s[6:7], 1.0, v31
	v_lshl_add_u64 v[32:33], v[4:5], 0, s[18:19]
	s_nop 0
	v_cndmask_b32_e64 v48, 1.0, v34, s[6:7]
	v_cmp_neq_f32_e64 s[6:7], 0, v48
	v_cmp_gt_f32_e64 s[8:9], 0, v48
	v_trunc_f32_e32 v34, v48
	v_cndmask_b32_e64 v31, 1.0, v31, s[6:7]
	v_cmp_eq_f32_e64 s[6:7], 0, v31
	s_xor_b64 s[8:9], s[8:9], s[6:7]
	v_cndmask_b32_e64 v36, v25, 0, s[8:9]
	v_cmp_eq_f32_e64 s[8:9], v34, v48
	v_mul_f32_e32 v34, 0.5, v48
	v_trunc_f32_e32 v35, v34
	v_cmp_neq_f32_e64 s[10:11], v35, v34
	v_cvt_f64_f32_e64 v[34:35], |v31|
	v_frexp_exp_i32_f64_e32 v34, v[34:35]
	v_frexp_mant_f32_e64 v35, |v31|
	s_and_b64 s[10:11], s[8:9], s[10:11]
	v_cmp_gt_f32_e64 s[12:13], s42, v35
	v_cndmask_b32_e64 v37, 0, v31, s[10:11]
	v_bfi_b32 v49, s41, v36, v37
	v_subbrev_co_u32_e64 v34, s[14:15], 0, v34, s[12:13]
	v_cvt_f32_i32_e32 v38, v34
	v_cndmask_b32_e64 v37, 1.0, 2.0, s[12:13]
	v_mul_f32_e32 v35, v35, v37
	v_add_f32_e32 v37, 1.0, v35
	v_rcp_f32_e32 v46, v37
	v_mul_f32_e32 v34, 0x3f317218, v38
	v_fma_f32 v36, v38, s43, -v34
	v_fmac_f32_e32 v36, 0xb102e308, v38
	v_add_f32_e32 v38, -1.0, v37
	v_add_f32_e32 v39, -1.0, v35
	v_sub_f32_e32 v38, v35, v38
	v_mul_f32_e32 v35, v39, v46
	v_mul_f32_e32 v40, v37, v35
	v_fma_f32 v42, v35, v37, -v40
	v_fmac_f32_e32 v42, v35, v38
	v_add_f32_e32 v38, v40, v42
	v_sub_f32_e32 v41, v39, v38
	v_pk_add_f32 v[44:45], v[38:39], v[40:41] neg_lo:[0,1] neg_hi:[0,1]
	v_mov_b32_e32 v43, v38
	v_pk_add_f32 v[38:39], v[44:45], v[42:43] neg_lo:[0,1] neg_hi:[0,1]
	v_cmp_neq_f32_e64 s[14:15], v48, |v48|
	v_add_f32_e32 v37, v38, v39
	v_add_f32_e32 v37, v41, v37
	v_mul_f32_e32 v39, v46, v37
	v_add_f32_e32 v38, v35, v39
	v_sub_f32_e32 v35, v38, v35
	v_mul_f32_e32 v41, v38, v38
	v_sub_f32_e32 v50, v39, v35
	v_add_f32_e32 v35, v50, v50
	v_fma_f32 v39, v38, v38, -v41
	v_fmac_f32_e32 v39, v38, v35
	v_add_f32_e32 v40, v41, v39
	v_sub_f32_e32 v35, v40, v41
	v_sub_f32_e32 v35, v39, v35
	v_fmamk_f32 v39, v40, 0x3e76c4e1, v24
	v_fmaak_f32 v39, v40, v39, 0x3ecccdef
	v_mul_f32_e32 v41, v40, v39
	v_fma_f32 v42, v40, v39, -v41
	v_fmac_f32_e32 v42, v35, v39
	v_add_f32_e32 v44, v41, v42
	v_add_f32_e32 v43, 0x3f2aaaaa, v44
	v_sub_f32_e32 v39, v44, v41
	v_sub_f32_e32 v39, v42, v39
	v_add_f32_e32 v41, 0xbf2aaaaa, v43
	v_add_f32_e32 v39, 0x31739010, v39
	v_sub_f32_e32 v41, v44, v41
	v_pk_mul_f32 v[44:45], v[38:39], v[40:41]
	v_pk_add_f32 v[46:47], v[38:39], v[40:41]
	v_fma_f32 v42, v40, v38, -v44
	v_fmac_f32_e32 v42, v40, v50
	v_mov_b32_e32 v45, v47
	v_fmac_f32_e32 v42, v35, v38
	v_ldexp_f32 v37, v38, 1
	v_pk_add_f32 v[38:39], v[44:45], v[42:43]
	v_ldexp_f32 v46, v50, 1
	v_pk_mul_f32 v[40:41], v[38:39], v[38:39] op_sel:[0,1] op_sel_hi:[1,0]
	v_sub_f32_e32 v35, v38, v44
	v_sub_f32_e32 v41, v43, v39
	;; [unrolled: 1-line block ×3, first 2 shown]
	v_add_f32_e32 v41, v47, v41
	v_fma_f32 v42, v38, v39, -v40
	v_fmac_f32_e32 v42, v38, v41
	v_fmac_f32_e32 v42, v35, v39
	v_add_f32_e32 v35, v40, v42
	v_pk_add_f32 v[38:39], v[34:35], v[36:37]
	v_mov_b32_e32 v44, v35
	v_mov_b32_e32 v45, v39
	v_mov_b32_e32 v41, v37
	v_pk_add_f32 v[40:41], v[44:45], v[40:41] neg_lo:[0,1] neg_hi:[0,1]
	v_mov_b32_e32 v43, v35
	v_pk_add_f32 v[40:41], v[42:43], v[40:41] neg_lo:[0,1] neg_hi:[0,1]
	v_mov_b32_e32 v37, v38
	v_add_f32_e32 v35, v46, v40
	v_add_f32_e32 v35, v35, v41
	v_pk_add_f32 v[40:41], v[38:39], v[34:35] neg_lo:[0,1] neg_hi:[0,1]
	v_pk_add_f32 v[42:43], v[38:39], v[34:35]
	v_mov_b32_e32 v34, v35
	v_mov_b32_e32 v41, v43
	v_pk_add_f32 v[44:45], v[36:37], v[40:41] neg_lo:[0,1] neg_hi:[0,1]
	v_pk_add_f32 v[36:37], v[36:37], v[40:41]
	v_mov_b32_e32 v35, v38
	v_pk_add_f32 v[40:41], v[36:37], v[38:39] op_sel:[1,0] op_sel_hi:[0,1] neg_lo:[0,1] neg_hi:[0,1]
	v_pk_add_f32 v[46:47], v[42:43], v[40:41] op_sel_hi:[1,0] neg_lo:[0,1] neg_hi:[0,1]
	v_mov_b32_e32 v42, v43
	v_mov_b32_e32 v43, v37
	v_pk_mov_b32 v[40:41], v[38:39], v[40:41] op_sel:[1,0]
	v_mov_b32_e32 v46, v44
	v_pk_add_f32 v[40:41], v[42:43], v[40:41] neg_lo:[0,1] neg_hi:[0,1]
	v_mov_b32_e32 v45, v37
	v_pk_add_f32 v[34:35], v[34:35], v[40:41] neg_lo:[0,1] neg_hi:[0,1]
	v_cmp_lt_f32_e64 s[36:37], |v31|, 1.0
	v_pk_add_f32 v[38:39], v[46:47], v[34:35]
	v_cmp_class_f32_e64 s[34:35], v31, s39
	v_pk_add_f32 v[40:41], v[38:39], v[38:39] op_sel:[0,1] op_sel_hi:[1,0]
	s_or_b64 s[6:7], s[6:7], s[34:35]
	v_pk_add_f32 v[36:37], v[36:37], v[40:41] op_sel:[1,0] op_sel_hi:[0,1]
	v_mov_b32_e32 v39, v36
	v_pk_add_f32 v[42:43], v[38:39], v[44:45] neg_lo:[0,1] neg_hi:[0,1]
	v_mov_b32_e32 v35, v40
	v_sub_f32_e32 v37, v38, v42
	v_pk_add_f32 v[34:35], v[34:35], v[42:43] neg_lo:[0,1] neg_hi:[0,1]
	v_sub_f32_e32 v37, v44, v37
	v_add_f32_e32 v34, v34, v37
	v_add_f32_e32 v34, v34, v35
	v_add_f32_e32 v35, v36, v34
	v_mul_f32_e32 v37, v48, v35
	v_sub_f32_e32 v36, v35, v36
	v_sub_f32_e32 v34, v34, v36
	v_fma_f32 v35, v48, v35, -v37
	v_fmac_f32_e32 v35, v48, v34
	v_add_f32_e32 v34, v37, v35
	v_cmp_class_f32_e64 s[12:13], v37, s39
	s_nop 1
	v_cndmask_b32_e64 v36, v34, v37, s[12:13]
	v_cmp_eq_f32_e64 s[12:13], s44, v36
	v_sub_f32_e32 v34, v34, v37
	v_sub_f32_e32 v34, v35, v34
	v_cndmask_b32_e64 v38, 0, v26, s[12:13]
	v_sub_f32_e32 v39, v36, v38
	v_mul_f32_e32 v40, 0x3fb8aa3b, v39
	v_fma_f32 v41, v39, s45, -v40
	v_rndne_f32_e32 v42, v40
	v_fmac_f32_e32 v41, 0x32a5705f, v39
	v_sub_f32_e32 v40, v40, v42
	v_add_f32_e32 v40, v40, v41
	v_exp_f32_e32 v40, v40
	v_cvt_i32_f32_e32 v41, v42
	s_xor_b64 s[12:13], s[14:15], s[36:37]
	v_cndmask_b32_e64 v42, v25, 0, s[12:13]
	v_cmp_neq_f32_e64 s[12:13], |v31|, 1.0
	v_ldexp_f32 v40, v40, v41
	v_cndmask_b32_e64 v35, 1.0, v31, s[10:11]
	v_cndmask_b32_e64 v42, 1.0, v42, s[12:13]
	v_cmp_ngt_f32_e64 s[12:13], s48, v39
	s_nop 1
	v_cndmask_b32_e64 v40, 0, v40, s[12:13]
	v_cmp_nlt_f32_e64 s[12:13], s44, v39
	s_nop 1
	v_cndmask_b32_e64 v39, v25, v40, s[12:13]
	v_cmp_neq_f32_e64 s[12:13], |v36|, s40
	s_nop 1
	v_cndmask_b32_e64 v34, 0, v34, s[12:13]
	v_add_f32_e32 v34, v38, v34
	v_fma_f32 v34, v39, v34, v39
	v_cmp_class_f32_e64 s[12:13], v39, s39
	s_nop 1
	v_cndmask_b32_e64 v34, v34, v39, s[12:13]
	v_bfi_b32 v34, s41, v34, v35
	v_cndmask_b32_e64 v35, v27, v34, s[8:9]
	v_cmp_gt_f32_e64 s[8:9], 0, v31
	s_nop 1
	v_cndmask_b32_e64 v34, v34, v35, s[8:9]
	v_cmp_class_f32_e64 s[8:9], v48, s39
	s_nop 1
	v_cndmask_b32_e64 v34, v34, v42, s[8:9]
	v_cndmask_b32_e64 v34, v34, v49, s[6:7]
	v_cmp_o_f32_e64 s[6:7], v31, v48
	s_nop 1
	v_cndmask_b32_e64 v31, v27, v34, s[6:7]
	global_store_dword v[32:33], v31, off
	s_or_b64 exec, exec, s[30:31]
	s_and_saveexec_b64 s[10:11], s[4:5]
	s_cbranch_execz .LBB67_13
.LBB67_17:                              ;   in Loop: Header=BB67_4 Depth=1
	s_waitcnt vmcnt(0)
	v_mov_b32_e32 v31, s33
	v_cmp_neq_f32_e64 s[4:5], 1.0, v30
	s_nop 1
	v_cndmask_b32_e64 v44, 1.0, v31, s[4:5]
	v_cmp_neq_f32_e64 s[4:5], 0, v44
	s_nop 1
	v_cndmask_b32_e64 v45, 1.0, v30, s[4:5]
	v_frexp_mant_f32_e64 v30, |v45|
	v_cmp_gt_f32_e64 s[4:5], s42, v30
	v_cmp_lt_f32_e64 s[8:9], |v45|, 1.0
	v_cmp_class_f32_e64 s[12:13], v45, s39
	v_cndmask_b32_e64 v31, 1.0, 2.0, s[4:5]
	v_mul_f32_e32 v30, v30, v31
	v_add_f32_e32 v33, 1.0, v30
	v_rcp_f32_e32 v38, v33
	v_add_f32_e32 v31, -1.0, v33
	v_sub_f32_e32 v35, v30, v31
	v_add_f32_e32 v31, -1.0, v30
	v_mul_f32_e32 v39, v31, v38
	v_mul_f32_e32 v32, v33, v39
	v_fma_f32 v34, v39, v33, -v32
	v_fmac_f32_e32 v34, v39, v35
	v_add_f32_e32 v30, v32, v34
	v_sub_f32_e32 v33, v31, v30
	v_pk_add_f32 v[36:37], v[30:31], v[32:33] neg_lo:[0,1] neg_hi:[0,1]
	v_mov_b32_e32 v35, v30
	v_pk_add_f32 v[30:31], v[36:37], v[34:35] neg_lo:[0,1] neg_hi:[0,1]
	s_nop 0
	v_add_f32_e32 v30, v30, v31
	v_add_f32_e32 v30, v33, v30
	v_mul_f32_e32 v31, v38, v30
	v_add_f32_e32 v30, v39, v31
	v_sub_f32_e32 v32, v30, v39
	v_sub_f32_e32 v40, v31, v32
	v_mul_f32_e32 v31, v30, v30
	v_fma_f32 v33, v30, v30, -v31
	v_add_f32_e32 v32, v40, v40
	v_fmac_f32_e32 v33, v30, v32
	v_add_f32_e32 v32, v31, v33
	v_fmamk_f32 v34, v32, 0x3e76c4e1, v24
	v_fmaak_f32 v34, v32, v34, 0x3ecccdef
	v_sub_f32_e32 v31, v32, v31
	v_sub_f32_e32 v41, v33, v31
	v_mul_f32_e32 v31, v32, v34
	v_fma_f32 v33, v32, v34, -v31
	v_fmac_f32_e32 v33, v41, v34
	v_add_f32_e32 v34, v31, v33
	v_add_f32_e32 v35, 0x3f2aaaaa, v34
	v_sub_f32_e32 v31, v34, v31
	v_sub_f32_e32 v31, v33, v31
	v_add_f32_e32 v33, 0xbf2aaaaa, v35
	v_add_f32_e32 v31, 0x31739010, v31
	v_sub_f32_e32 v33, v34, v33
	v_pk_mul_f32 v[36:37], v[30:31], v[32:33]
	v_pk_add_f32 v[38:39], v[30:31], v[32:33]
	v_fma_f32 v34, v32, v30, -v36
	v_fmac_f32_e32 v34, v32, v40
	v_mov_b32_e32 v37, v39
	v_fmac_f32_e32 v34, v41, v30
	v_pk_add_f32 v[32:33], v[36:37], v[34:35]
	v_ldexp_f32 v42, v40, 1
	v_sub_f32_e32 v31, v32, v36
	v_sub_f32_e32 v31, v34, v31
	;; [unrolled: 1-line block ×3, first 2 shown]
	v_add_f32_e32 v38, v39, v34
	v_pk_mul_f32 v[34:35], v[32:33], v[32:33] op_sel:[0,1] op_sel_hi:[1,0]
	v_cvt_f64_f32_e64 v[36:37], |v45|
	v_frexp_exp_i32_f64_e32 v35, v[36:37]
	v_subbrev_co_u32_e64 v35, s[4:5], 0, v35, s[4:5]
	v_cvt_f32_i32_e32 v35, v35
	v_fma_f32 v36, v32, v33, -v34
	v_fmac_f32_e32 v36, v32, v38
	v_fmac_f32_e32 v36, v31, v33
	v_mul_f32_e32 v32, 0x3f317218, v35
	v_fma_f32 v38, v35, s43, -v32
	v_fmac_f32_e32 v38, 0xb102e308, v35
	v_ldexp_f32 v39, v30, 1
	v_add_f32_e32 v33, v34, v36
	v_pk_add_f32 v[30:31], v[32:33], v[38:39]
	v_mov_b32_e32 v40, v33
	v_mov_b32_e32 v41, v31
	;; [unrolled: 1-line block ×3, first 2 shown]
	v_pk_add_f32 v[34:35], v[40:41], v[34:35] neg_lo:[0,1] neg_hi:[0,1]
	v_mov_b32_e32 v37, v33
	v_pk_add_f32 v[34:35], v[36:37], v[34:35] neg_lo:[0,1] neg_hi:[0,1]
	v_mov_b32_e32 v39, v30
	v_add_f32_e32 v33, v42, v34
	v_add_f32_e32 v33, v33, v35
	v_pk_add_f32 v[34:35], v[30:31], v[32:33] neg_lo:[0,1] neg_hi:[0,1]
	v_pk_add_f32 v[36:37], v[30:31], v[32:33]
	v_mov_b32_e32 v32, v33
	v_mov_b32_e32 v35, v37
	v_pk_add_f32 v[40:41], v[38:39], v[34:35] neg_lo:[0,1] neg_hi:[0,1]
	v_pk_add_f32 v[34:35], v[38:39], v[34:35]
	v_mov_b32_e32 v33, v30
	v_pk_add_f32 v[38:39], v[34:35], v[30:31] op_sel:[1,0] op_sel_hi:[0,1] neg_lo:[0,1] neg_hi:[0,1]
	v_pk_add_f32 v[42:43], v[36:37], v[38:39] op_sel_hi:[1,0] neg_lo:[0,1] neg_hi:[0,1]
	v_mov_b32_e32 v36, v37
	v_mov_b32_e32 v37, v35
	v_pk_mov_b32 v[38:39], v[30:31], v[38:39] op_sel:[1,0]
	v_mov_b32_e32 v42, v40
	v_pk_add_f32 v[36:37], v[36:37], v[38:39] neg_lo:[0,1] neg_hi:[0,1]
	v_mov_b32_e32 v41, v35
	v_pk_add_f32 v[30:31], v[32:33], v[36:37] neg_lo:[0,1] neg_hi:[0,1]
	s_nop 0
	v_pk_add_f32 v[32:33], v[42:43], v[30:31]
	s_nop 0
	v_pk_add_f32 v[36:37], v[32:33], v[32:33] op_sel:[0,1] op_sel_hi:[1,0]
	s_nop 0
	v_pk_add_f32 v[34:35], v[34:35], v[36:37] op_sel:[1,0] op_sel_hi:[0,1]
	v_mov_b32_e32 v33, v34
	v_pk_add_f32 v[38:39], v[32:33], v[40:41] neg_lo:[0,1] neg_hi:[0,1]
	v_mov_b32_e32 v31, v36
	v_sub_f32_e32 v32, v32, v38
	v_pk_add_f32 v[30:31], v[30:31], v[38:39] neg_lo:[0,1] neg_hi:[0,1]
	v_sub_f32_e32 v32, v40, v32
	v_add_f32_e32 v30, v30, v32
	v_add_f32_e32 v30, v30, v31
	;; [unrolled: 1-line block ×3, first 2 shown]
	v_sub_f32_e32 v32, v31, v34
	v_sub_f32_e32 v30, v30, v32
	v_mul_f32_e32 v32, v44, v31
	v_fma_f32 v31, v44, v31, -v32
	v_fmac_f32_e32 v31, v44, v30
	v_add_f32_e32 v30, v32, v31
	v_cmp_class_f32_e64 s[4:5], v32, s39
	v_sub_f32_e32 v33, v30, v32
	v_sub_f32_e32 v31, v31, v33
	v_cndmask_b32_e64 v30, v30, v32, s[4:5]
	v_cmp_eq_f32_e64 s[4:5], s44, v30
	s_nop 1
	v_cndmask_b32_e64 v32, 0, v26, s[4:5]
	v_sub_f32_e32 v33, v30, v32
	v_mul_f32_e32 v34, 0x3fb8aa3b, v33
	v_fma_f32 v35, v33, s45, -v34
	v_rndne_f32_e32 v36, v34
	v_fmac_f32_e32 v35, 0x32a5705f, v33
	v_sub_f32_e32 v34, v34, v36
	v_add_f32_e32 v34, v34, v35
	v_exp_f32_e32 v34, v34
	v_cvt_i32_f32_e32 v35, v36
	v_cmp_neq_f32_e64 s[4:5], |v30|, s40
	s_nop 1
	v_cndmask_b32_e64 v30, 0, v31, s[4:5]
	v_ldexp_f32 v31, v34, v35
	v_cmp_ngt_f32_e64 s[4:5], s48, v33
	v_add_f32_e32 v30, v32, v30
	s_nop 0
	v_cndmask_b32_e64 v31, 0, v31, s[4:5]
	v_cmp_nlt_f32_e64 s[4:5], s44, v33
	s_nop 1
	v_cndmask_b32_e64 v31, v25, v31, s[4:5]
	v_fma_f32 v30, v31, v30, v31
	v_cmp_class_f32_e64 s[4:5], v31, s39
	s_nop 1
	v_cndmask_b32_e64 v30, v30, v31, s[4:5]
	v_trunc_f32_e32 v31, v44
	v_cmp_eq_f32_e64 s[4:5], v31, v44
	v_mul_f32_e32 v31, 0.5, v44
	v_trunc_f32_e32 v32, v31
	v_cmp_neq_f32_e64 s[6:7], v32, v31
	s_and_b64 s[6:7], s[4:5], s[6:7]
	s_nop 0
	v_cndmask_b32_e64 v31, 1.0, v45, s[6:7]
	v_bfi_b32 v30, s41, v30, v31
	v_cndmask_b32_e64 v31, v27, v30, s[4:5]
	v_cmp_gt_f32_e64 s[4:5], 0, v45
	v_cndmask_b32_e64 v32, 0, v45, s[6:7]
	s_nop 0
	v_cndmask_b32_e64 v30, v30, v31, s[4:5]
	v_cmp_neq_f32_e64 s[4:5], v44, |v44|
	s_xor_b64 s[4:5], s[4:5], s[8:9]
	v_cmp_gt_f32_e64 s[8:9], 0, v44
	v_cndmask_b32_e64 v31, v25, 0, s[4:5]
	v_cmp_neq_f32_e64 s[4:5], |v45|, 1.0
	s_nop 1
	v_cndmask_b32_e64 v31, 1.0, v31, s[4:5]
	v_cmp_class_f32_e64 s[4:5], v44, s39
	s_nop 1
	v_cndmask_b32_e64 v30, v30, v31, s[4:5]
	v_cmp_eq_f32_e64 s[4:5], 0, v45
	s_xor_b64 s[8:9], s[8:9], s[4:5]
	v_cndmask_b32_e64 v31, v25, 0, s[8:9]
	v_bfi_b32 v31, s41, v31, v32
	s_or_b64 s[4:5], s[4:5], s[12:13]
	v_cndmask_b32_e64 v30, v30, v31, s[4:5]
	v_cmp_o_f32_e64 s[4:5], v45, v44
	s_nop 1
	v_cndmask_b32_e64 v32, v27, v30, s[4:5]
	v_lshl_add_u64 v[30:31], v[22:23], 0, s[18:19]
	global_store_dword v[30:31], v32, off
	s_or_b64 exec, exec, s[10:11]
	s_and_saveexec_b64 s[8:9], s[2:3]
	s_cbranch_execz .LBB67_14
.LBB67_18:                              ;   in Loop: Header=BB67_4 Depth=1
	s_waitcnt vmcnt(0)
	v_mov_b32_e32 v30, s33
	v_cmp_neq_f32_e64 s[2:3], 1.0, v29
	s_nop 1
	v_cndmask_b32_e64 v44, 1.0, v30, s[2:3]
	v_cmp_neq_f32_e64 s[2:3], 0, v44
	s_nop 1
	v_cndmask_b32_e64 v29, 1.0, v29, s[2:3]
	v_frexp_mant_f32_e64 v30, |v29|
	v_cmp_gt_f32_e64 s[2:3], s42, v30
	v_cmp_lt_f32_e64 s[6:7], |v29|, 1.0
	v_cmp_class_f32_e64 s[10:11], v29, s39
	v_cndmask_b32_e64 v31, 1.0, 2.0, s[2:3]
	v_mul_f32_e32 v30, v30, v31
	v_add_f32_e32 v33, 1.0, v30
	v_rcp_f32_e32 v38, v33
	v_add_f32_e32 v31, -1.0, v33
	v_sub_f32_e32 v35, v30, v31
	v_add_f32_e32 v31, -1.0, v30
	v_mul_f32_e32 v39, v31, v38
	v_mul_f32_e32 v32, v33, v39
	v_fma_f32 v34, v39, v33, -v32
	v_fmac_f32_e32 v34, v39, v35
	v_add_f32_e32 v30, v32, v34
	v_sub_f32_e32 v33, v31, v30
	v_pk_add_f32 v[36:37], v[30:31], v[32:33] neg_lo:[0,1] neg_hi:[0,1]
	v_mov_b32_e32 v35, v30
	v_pk_add_f32 v[30:31], v[36:37], v[34:35] neg_lo:[0,1] neg_hi:[0,1]
	s_nop 0
	v_add_f32_e32 v30, v30, v31
	v_add_f32_e32 v30, v33, v30
	v_mul_f32_e32 v31, v38, v30
	v_add_f32_e32 v30, v39, v31
	v_sub_f32_e32 v32, v30, v39
	v_sub_f32_e32 v40, v31, v32
	v_mul_f32_e32 v31, v30, v30
	v_fma_f32 v33, v30, v30, -v31
	v_add_f32_e32 v32, v40, v40
	v_fmac_f32_e32 v33, v30, v32
	v_add_f32_e32 v32, v31, v33
	v_fmamk_f32 v34, v32, 0x3e76c4e1, v24
	v_fmaak_f32 v34, v32, v34, 0x3ecccdef
	v_sub_f32_e32 v31, v32, v31
	v_sub_f32_e32 v41, v33, v31
	v_mul_f32_e32 v31, v32, v34
	v_fma_f32 v33, v32, v34, -v31
	v_fmac_f32_e32 v33, v41, v34
	v_add_f32_e32 v34, v31, v33
	v_add_f32_e32 v35, 0x3f2aaaaa, v34
	v_sub_f32_e32 v31, v34, v31
	v_sub_f32_e32 v31, v33, v31
	v_add_f32_e32 v33, 0xbf2aaaaa, v35
	v_add_f32_e32 v31, 0x31739010, v31
	v_sub_f32_e32 v33, v34, v33
	v_pk_mul_f32 v[36:37], v[30:31], v[32:33]
	v_pk_add_f32 v[38:39], v[30:31], v[32:33]
	v_fma_f32 v34, v32, v30, -v36
	v_fmac_f32_e32 v34, v32, v40
	v_mov_b32_e32 v37, v39
	v_fmac_f32_e32 v34, v41, v30
	v_pk_add_f32 v[32:33], v[36:37], v[34:35]
	v_ldexp_f32 v42, v40, 1
	v_sub_f32_e32 v31, v32, v36
	v_sub_f32_e32 v31, v34, v31
	;; [unrolled: 1-line block ×3, first 2 shown]
	v_add_f32_e32 v38, v39, v34
	v_pk_mul_f32 v[34:35], v[32:33], v[32:33] op_sel:[0,1] op_sel_hi:[1,0]
	v_cvt_f64_f32_e64 v[36:37], |v29|
	v_frexp_exp_i32_f64_e32 v35, v[36:37]
	v_subbrev_co_u32_e64 v35, s[2:3], 0, v35, s[2:3]
	v_cvt_f32_i32_e32 v35, v35
	v_fma_f32 v36, v32, v33, -v34
	v_fmac_f32_e32 v36, v32, v38
	v_fmac_f32_e32 v36, v31, v33
	v_mul_f32_e32 v32, 0x3f317218, v35
	v_fma_f32 v38, v35, s43, -v32
	v_fmac_f32_e32 v38, 0xb102e308, v35
	v_ldexp_f32 v39, v30, 1
	v_add_f32_e32 v33, v34, v36
	v_pk_add_f32 v[30:31], v[32:33], v[38:39]
	v_mov_b32_e32 v40, v33
	v_mov_b32_e32 v41, v31
	;; [unrolled: 1-line block ×3, first 2 shown]
	v_pk_add_f32 v[34:35], v[40:41], v[34:35] neg_lo:[0,1] neg_hi:[0,1]
	v_mov_b32_e32 v37, v33
	v_pk_add_f32 v[34:35], v[36:37], v[34:35] neg_lo:[0,1] neg_hi:[0,1]
	v_mov_b32_e32 v39, v30
	v_add_f32_e32 v33, v42, v34
	v_add_f32_e32 v33, v33, v35
	v_pk_add_f32 v[34:35], v[30:31], v[32:33] neg_lo:[0,1] neg_hi:[0,1]
	v_pk_add_f32 v[36:37], v[30:31], v[32:33]
	v_mov_b32_e32 v32, v33
	v_mov_b32_e32 v35, v37
	v_pk_add_f32 v[40:41], v[38:39], v[34:35] neg_lo:[0,1] neg_hi:[0,1]
	v_pk_add_f32 v[34:35], v[38:39], v[34:35]
	v_mov_b32_e32 v33, v30
	v_pk_add_f32 v[38:39], v[34:35], v[30:31] op_sel:[1,0] op_sel_hi:[0,1] neg_lo:[0,1] neg_hi:[0,1]
	v_pk_add_f32 v[42:43], v[36:37], v[38:39] op_sel_hi:[1,0] neg_lo:[0,1] neg_hi:[0,1]
	v_mov_b32_e32 v36, v37
	v_mov_b32_e32 v37, v35
	v_pk_mov_b32 v[38:39], v[30:31], v[38:39] op_sel:[1,0]
	v_mov_b32_e32 v42, v40
	v_pk_add_f32 v[36:37], v[36:37], v[38:39] neg_lo:[0,1] neg_hi:[0,1]
	v_mov_b32_e32 v41, v35
	v_pk_add_f32 v[30:31], v[32:33], v[36:37] neg_lo:[0,1] neg_hi:[0,1]
	s_nop 0
	v_pk_add_f32 v[32:33], v[42:43], v[30:31]
	s_nop 0
	v_pk_add_f32 v[36:37], v[32:33], v[32:33] op_sel:[0,1] op_sel_hi:[1,0]
	s_nop 0
	v_pk_add_f32 v[34:35], v[34:35], v[36:37] op_sel:[1,0] op_sel_hi:[0,1]
	v_mov_b32_e32 v33, v34
	v_pk_add_f32 v[38:39], v[32:33], v[40:41] neg_lo:[0,1] neg_hi:[0,1]
	v_mov_b32_e32 v31, v36
	v_sub_f32_e32 v32, v32, v38
	v_pk_add_f32 v[30:31], v[30:31], v[38:39] neg_lo:[0,1] neg_hi:[0,1]
	v_sub_f32_e32 v32, v40, v32
	v_add_f32_e32 v30, v30, v32
	v_add_f32_e32 v30, v30, v31
	;; [unrolled: 1-line block ×3, first 2 shown]
	v_sub_f32_e32 v32, v31, v34
	v_sub_f32_e32 v30, v30, v32
	v_mul_f32_e32 v32, v44, v31
	v_fma_f32 v31, v44, v31, -v32
	v_fmac_f32_e32 v31, v44, v30
	v_add_f32_e32 v30, v32, v31
	v_cmp_class_f32_e64 s[2:3], v32, s39
	v_sub_f32_e32 v33, v30, v32
	v_sub_f32_e32 v31, v31, v33
	v_cndmask_b32_e64 v30, v30, v32, s[2:3]
	v_cmp_eq_f32_e64 s[2:3], s44, v30
	s_nop 1
	v_cndmask_b32_e64 v32, 0, v26, s[2:3]
	v_sub_f32_e32 v33, v30, v32
	v_mul_f32_e32 v34, 0x3fb8aa3b, v33
	v_fma_f32 v35, v33, s45, -v34
	v_rndne_f32_e32 v36, v34
	v_fmac_f32_e32 v35, 0x32a5705f, v33
	v_sub_f32_e32 v34, v34, v36
	v_add_f32_e32 v34, v34, v35
	v_exp_f32_e32 v34, v34
	v_cvt_i32_f32_e32 v35, v36
	v_cmp_neq_f32_e64 s[2:3], |v30|, s40
	s_nop 1
	v_cndmask_b32_e64 v30, 0, v31, s[2:3]
	v_ldexp_f32 v31, v34, v35
	v_cmp_ngt_f32_e64 s[2:3], s48, v33
	v_add_f32_e32 v30, v32, v30
	s_nop 0
	v_cndmask_b32_e64 v31, 0, v31, s[2:3]
	v_cmp_nlt_f32_e64 s[2:3], s44, v33
	s_nop 1
	v_cndmask_b32_e64 v31, v25, v31, s[2:3]
	v_fma_f32 v30, v31, v30, v31
	v_cmp_class_f32_e64 s[2:3], v31, s39
	s_nop 1
	v_cndmask_b32_e64 v30, v30, v31, s[2:3]
	v_trunc_f32_e32 v31, v44
	v_cmp_eq_f32_e64 s[2:3], v31, v44
	v_mul_f32_e32 v31, 0.5, v44
	v_trunc_f32_e32 v32, v31
	v_cmp_neq_f32_e64 s[4:5], v32, v31
	s_and_b64 s[4:5], s[2:3], s[4:5]
	s_nop 0
	v_cndmask_b32_e64 v31, 1.0, v29, s[4:5]
	v_bfi_b32 v30, s41, v30, v31
	v_cndmask_b32_e64 v31, v27, v30, s[2:3]
	v_cmp_gt_f32_e64 s[2:3], 0, v29
	v_cndmask_b32_e64 v32, 0, v29, s[4:5]
	s_nop 0
	v_cndmask_b32_e64 v30, v30, v31, s[2:3]
	v_cmp_neq_f32_e64 s[2:3], v44, |v44|
	s_xor_b64 s[2:3], s[2:3], s[6:7]
	v_cmp_gt_f32_e64 s[6:7], 0, v44
	v_cndmask_b32_e64 v31, v25, 0, s[2:3]
	v_cmp_neq_f32_e64 s[2:3], |v29|, 1.0
	s_nop 1
	v_cndmask_b32_e64 v31, 1.0, v31, s[2:3]
	v_cmp_class_f32_e64 s[2:3], v44, s39
	s_nop 1
	v_cndmask_b32_e64 v30, v30, v31, s[2:3]
	v_cmp_eq_f32_e64 s[2:3], 0, v29
	s_xor_b64 s[6:7], s[6:7], s[2:3]
	v_cndmask_b32_e64 v31, v25, 0, s[6:7]
	v_bfi_b32 v31, s41, v31, v32
	s_or_b64 s[2:3], s[2:3], s[10:11]
	v_cndmask_b32_e64 v30, v30, v31, s[2:3]
	v_cmp_o_f32_e64 s[2:3], v29, v44
	s_nop 1
	v_cndmask_b32_e64 v29, v27, v30, s[2:3]
	v_lshl_add_u64 v[30:31], v[14:15], 0, s[18:19]
	global_store_dword v[30:31], v29, off
	s_or_b64 exec, exec, s[8:9]
	s_and_saveexec_b64 s[6:7], vcc
	s_cbranch_execz .LBB67_3
.LBB67_19:                              ;   in Loop: Header=BB67_4 Depth=1
	s_waitcnt vmcnt(0)
	v_mov_b32_e32 v29, s33
	v_cmp_neq_f32_e32 vcc, 1.0, v28
	s_nop 1
	v_cndmask_b32_e32 v42, 1.0, v29, vcc
	v_cmp_neq_f32_e32 vcc, 0, v42
	v_cmp_neq_f32_e64 s[4:5], v42, |v42|
	s_nop 0
	v_cndmask_b32_e32 v43, 1.0, v28, vcc
	v_frexp_mant_f32_e64 v28, |v43|
	v_cmp_gt_f32_e32 vcc, s42, v28
	v_cmp_lt_f32_e64 s[8:9], |v43|, 1.0
	s_xor_b64 s[4:5], s[4:5], s[8:9]
	v_cndmask_b32_e64 v29, 1.0, 2.0, vcc
	v_mul_f32_e32 v28, v28, v29
	v_add_f32_e32 v31, 1.0, v28
	v_rcp_f32_e32 v36, v31
	v_add_f32_e32 v29, -1.0, v31
	v_sub_f32_e32 v33, v28, v29
	v_add_f32_e32 v29, -1.0, v28
	v_mul_f32_e32 v37, v29, v36
	v_mul_f32_e32 v30, v31, v37
	v_fma_f32 v32, v37, v31, -v30
	v_fmac_f32_e32 v32, v37, v33
	v_add_f32_e32 v28, v30, v32
	v_sub_f32_e32 v31, v29, v28
	v_pk_add_f32 v[34:35], v[28:29], v[30:31] neg_lo:[0,1] neg_hi:[0,1]
	v_mov_b32_e32 v33, v28
	v_pk_add_f32 v[28:29], v[34:35], v[32:33] neg_lo:[0,1] neg_hi:[0,1]
	v_cmp_class_f32_e64 s[8:9], v43, s39
	v_add_f32_e32 v28, v28, v29
	v_add_f32_e32 v28, v31, v28
	v_mul_f32_e32 v29, v36, v28
	v_add_f32_e32 v28, v37, v29
	v_sub_f32_e32 v30, v28, v37
	v_sub_f32_e32 v38, v29, v30
	v_mul_f32_e32 v29, v28, v28
	v_fma_f32 v31, v28, v28, -v29
	v_add_f32_e32 v30, v38, v38
	v_fmac_f32_e32 v31, v28, v30
	v_add_f32_e32 v30, v29, v31
	v_fmamk_f32 v32, v30, 0x3e76c4e1, v24
	v_fmaak_f32 v32, v30, v32, 0x3ecccdef
	v_sub_f32_e32 v29, v30, v29
	v_sub_f32_e32 v39, v31, v29
	v_mul_f32_e32 v29, v30, v32
	v_fma_f32 v31, v30, v32, -v29
	v_fmac_f32_e32 v31, v39, v32
	v_add_f32_e32 v32, v29, v31
	v_add_f32_e32 v33, 0x3f2aaaaa, v32
	v_sub_f32_e32 v29, v32, v29
	v_sub_f32_e32 v29, v31, v29
	v_add_f32_e32 v31, 0xbf2aaaaa, v33
	v_add_f32_e32 v29, 0x31739010, v29
	v_sub_f32_e32 v31, v32, v31
	v_pk_mul_f32 v[34:35], v[28:29], v[30:31]
	v_pk_add_f32 v[36:37], v[28:29], v[30:31]
	v_fma_f32 v32, v30, v28, -v34
	v_fmac_f32_e32 v32, v30, v38
	v_mov_b32_e32 v35, v37
	v_fmac_f32_e32 v32, v39, v28
	v_pk_add_f32 v[30:31], v[34:35], v[32:33]
	v_ldexp_f32 v40, v38, 1
	v_sub_f32_e32 v29, v30, v34
	v_sub_f32_e32 v29, v32, v29
	;; [unrolled: 1-line block ×3, first 2 shown]
	v_add_f32_e32 v36, v37, v32
	v_pk_mul_f32 v[32:33], v[30:31], v[30:31] op_sel:[0,1] op_sel_hi:[1,0]
	v_cvt_f64_f32_e64 v[34:35], |v43|
	v_frexp_exp_i32_f64_e32 v33, v[34:35]
	v_subbrev_co_u32_e32 v33, vcc, 0, v33, vcc
	v_cvt_f32_i32_e32 v33, v33
	v_fma_f32 v34, v30, v31, -v32
	v_fmac_f32_e32 v34, v30, v36
	v_fmac_f32_e32 v34, v29, v31
	v_mul_f32_e32 v30, 0x3f317218, v33
	v_fma_f32 v36, v33, s43, -v30
	v_fmac_f32_e32 v36, 0xb102e308, v33
	v_ldexp_f32 v37, v28, 1
	v_add_f32_e32 v31, v32, v34
	v_pk_add_f32 v[28:29], v[30:31], v[36:37]
	v_mov_b32_e32 v38, v31
	v_mov_b32_e32 v39, v29
	;; [unrolled: 1-line block ×3, first 2 shown]
	v_pk_add_f32 v[32:33], v[38:39], v[32:33] neg_lo:[0,1] neg_hi:[0,1]
	v_mov_b32_e32 v35, v31
	v_pk_add_f32 v[32:33], v[34:35], v[32:33] neg_lo:[0,1] neg_hi:[0,1]
	v_mov_b32_e32 v37, v28
	v_add_f32_e32 v31, v40, v32
	v_add_f32_e32 v31, v31, v33
	v_pk_add_f32 v[32:33], v[28:29], v[30:31] neg_lo:[0,1] neg_hi:[0,1]
	v_pk_add_f32 v[34:35], v[28:29], v[30:31]
	v_mov_b32_e32 v30, v31
	v_mov_b32_e32 v33, v35
	v_pk_add_f32 v[38:39], v[36:37], v[32:33] neg_lo:[0,1] neg_hi:[0,1]
	v_pk_add_f32 v[32:33], v[36:37], v[32:33]
	v_mov_b32_e32 v31, v28
	v_pk_add_f32 v[36:37], v[32:33], v[28:29] op_sel:[1,0] op_sel_hi:[0,1] neg_lo:[0,1] neg_hi:[0,1]
	v_pk_add_f32 v[40:41], v[34:35], v[36:37] op_sel_hi:[1,0] neg_lo:[0,1] neg_hi:[0,1]
	v_mov_b32_e32 v34, v35
	v_mov_b32_e32 v35, v33
	v_pk_mov_b32 v[36:37], v[28:29], v[36:37] op_sel:[1,0]
	v_mov_b32_e32 v40, v38
	v_pk_add_f32 v[34:35], v[34:35], v[36:37] neg_lo:[0,1] neg_hi:[0,1]
	v_mov_b32_e32 v39, v33
	v_pk_add_f32 v[28:29], v[30:31], v[34:35] neg_lo:[0,1] neg_hi:[0,1]
	s_nop 0
	v_pk_add_f32 v[30:31], v[40:41], v[28:29]
	s_nop 0
	v_pk_add_f32 v[34:35], v[30:31], v[30:31] op_sel:[0,1] op_sel_hi:[1,0]
	s_nop 0
	v_pk_add_f32 v[32:33], v[32:33], v[34:35] op_sel:[1,0] op_sel_hi:[0,1]
	v_mov_b32_e32 v31, v32
	v_pk_add_f32 v[36:37], v[30:31], v[38:39] neg_lo:[0,1] neg_hi:[0,1]
	v_mov_b32_e32 v29, v34
	v_sub_f32_e32 v30, v30, v36
	v_pk_add_f32 v[28:29], v[28:29], v[36:37] neg_lo:[0,1] neg_hi:[0,1]
	v_sub_f32_e32 v30, v38, v30
	v_add_f32_e32 v28, v28, v30
	v_add_f32_e32 v28, v28, v29
	;; [unrolled: 1-line block ×3, first 2 shown]
	v_sub_f32_e32 v30, v29, v32
	v_sub_f32_e32 v28, v28, v30
	v_mul_f32_e32 v30, v42, v29
	v_fma_f32 v29, v42, v29, -v30
	v_fmac_f32_e32 v29, v42, v28
	v_add_f32_e32 v28, v30, v29
	v_cmp_class_f32_e64 vcc, v30, s39
	v_sub_f32_e32 v31, v28, v30
	v_sub_f32_e32 v29, v29, v31
	v_cndmask_b32_e32 v28, v28, v30, vcc
	v_cmp_eq_f32_e32 vcc, s44, v28
	s_nop 1
	v_cndmask_b32_e32 v30, 0, v26, vcc
	v_sub_f32_e32 v31, v28, v30
	v_mul_f32_e32 v32, 0x3fb8aa3b, v31
	v_fma_f32 v33, v31, s45, -v32
	v_rndne_f32_e32 v34, v32
	v_fmac_f32_e32 v33, 0x32a5705f, v31
	v_sub_f32_e32 v32, v32, v34
	v_add_f32_e32 v32, v32, v33
	v_exp_f32_e32 v32, v32
	v_cvt_i32_f32_e32 v33, v34
	v_cmp_neq_f32_e64 vcc, |v28|, s40
	s_nop 1
	v_cndmask_b32_e32 v28, 0, v29, vcc
	v_ldexp_f32 v29, v32, v33
	v_cmp_ngt_f32_e32 vcc, s48, v31
	v_add_f32_e32 v28, v30, v28
	s_nop 0
	v_cndmask_b32_e32 v29, 0, v29, vcc
	v_cmp_nlt_f32_e32 vcc, s44, v31
	s_nop 1
	v_cndmask_b32_e32 v29, v25, v29, vcc
	v_fma_f32 v28, v29, v28, v29
	v_cmp_class_f32_e64 vcc, v29, s39
	s_nop 1
	v_cndmask_b32_e32 v28, v28, v29, vcc
	v_trunc_f32_e32 v29, v42
	v_cmp_eq_f32_e32 vcc, v29, v42
	v_mul_f32_e32 v29, 0.5, v42
	v_trunc_f32_e32 v30, v29
	v_cmp_neq_f32_e64 s[2:3], v30, v29
	s_and_b64 s[2:3], vcc, s[2:3]
	s_nop 0
	v_cndmask_b32_e64 v29, 1.0, v43, s[2:3]
	v_bfi_b32 v28, s41, v28, v29
	v_cndmask_b32_e32 v29, v27, v28, vcc
	v_cmp_gt_f32_e32 vcc, 0, v43
	v_cndmask_b32_e64 v30, 0, v43, s[2:3]
	s_nop 0
	v_cndmask_b32_e32 v28, v28, v29, vcc
	v_cndmask_b32_e64 v29, v25, 0, s[4:5]
	v_cmp_neq_f32_e64 vcc, |v43|, 1.0
	v_cmp_gt_f32_e64 s[4:5], 0, v42
	s_nop 0
	v_cndmask_b32_e32 v29, 1.0, v29, vcc
	v_cmp_class_f32_e64 vcc, v42, s39
	s_nop 1
	v_cndmask_b32_e32 v28, v28, v29, vcc
	v_cmp_eq_f32_e32 vcc, 0, v43
	s_xor_b64 s[4:5], s[4:5], vcc
	v_cndmask_b32_e64 v29, v25, 0, s[4:5]
	v_bfi_b32 v29, s41, v29, v30
	s_or_b64 vcc, vcc, s[8:9]
	v_cndmask_b32_e32 v28, v28, v29, vcc
	v_cmp_o_f32_e32 vcc, v43, v42
	s_nop 1
	v_cndmask_b32_e32 v30, v27, v28, vcc
	v_lshl_add_u64 v[28:29], v[8:9], 0, s[18:19]
	global_store_dword v[28:29], v30, off
	s_branch .LBB67_3
.LBB67_20:
	s_mov_b64 s[2:3], 0
.LBB67_21:
	s_andn2_b64 vcc, exec, s[2:3]
	s_cbranch_vccnz .LBB67_25
; %bb.22:
	v_mov_b64_e32 v[4:5], 0x10000
	v_cmp_lt_i64_e32 vcc, s[20:21], v[4:5]
	s_and_b64 s[2:3], vcc, exec
	v_mov_b32_e32 v3, 0
	s_cselect_b32 s51, s21, 0
	s_cselect_b32 s50, s20, 0x10000
	v_lshlrev_b32_e32 v2, 2, v0
	s_mov_b32 s49, 0
	v_cmp_gt_i64_e32 vcc, s[50:51], v[2:3]
	s_and_saveexec_b64 s[2:3], vcc
	s_cbranch_execz .LBB67_25
; %bb.23:
	s_load_dword s0, s[0:1], 0xc5c
	v_lshlrev_b32_e32 v2, 4, v0
	v_mov_b32_e32 v1, v3
	v_lshl_add_u64 v[2:3], s[18:19], 0, v[2:3]
	s_mov_b32 s53, s49
	s_waitcnt lgkmcnt(0)
	s_and_b32 s48, s0, 0xffff
	s_lshl_b32 s52, s48, 4
	s_add_u32 s54, s16, 8
	s_addc_u32 s55, s17, 0
	s_mov_b64 s[56:57], 0
	v_mov_b32_e32 v20, s33
	v_mov_b32_e32 v21, s33
	s_mov_b32 s33, 0x3f2aaaab
	v_mov_b32_e32 v22, 0x3e91f4c4
	s_mov_b32 s58, 0x3f317218
	;; [unrolled: 2-line block ×3, first 2 shown]
	s_movk_i32 s60, 0x204
	v_mov_b32_e32 v24, 0x37000000
	s_mov_b32 s61, 0x3fb8aa3b
	s_mov_b32 s62, 0xc2ce8ed0
	v_mov_b32_e32 v25, 0x7f800000
	s_brev_b32 s63, -2
	v_mov_b32_e32 v26, 0x7fc00000
                                        ; implicit-def: $vgpr4
.LBB67_24:                              ; =>This Inner Loop Header: Depth=1
	v_lshl_add_u64 v[4:5], s[54:55], 0, v[2:3]
	global_load_dwordx4 v[8:11], v[4:5], off offset:-8
	v_lshl_add_u64 v[0:1], v[0:1], 0, s[48:49]
	v_lshlrev_b64 v[4:5], 2, v[0:1]
	v_cmp_le_i64_e32 vcc, s[50:51], v[4:5]
	s_waitcnt vmcnt(0)
	v_cmp_neq_f32_e64 s[0:1], 1.0, v9
	s_nop 1
	v_cndmask_b32_e64 v5, 1.0, v20, s[0:1]
	v_cmp_neq_f32_e64 s[0:1], 1.0, v8
	v_cmp_gt_f32_e64 s[36:37], 0, v5
	v_cmp_neq_f32_e64 s[42:43], v5, |v5|
	v_cndmask_b32_e64 v4, 1.0, v21, s[0:1]
	v_cmp_neq_f32_e64 s[0:1], 1.0, v11
	v_cmp_neq_f32_e64 s[28:29], v4, |v4|
	v_cmp_gt_f32_e64 s[34:35], 0, v4
	v_cndmask_b32_e64 v7, 1.0, v20, s[0:1]
	v_cmp_neq_f32_e64 s[0:1], 1.0, v10
	v_cmp_gt_f32_e64 s[40:41], 0, v7
	v_cmp_neq_f32_e64 s[64:65], v7, |v7|
	v_cndmask_b32_e64 v6, 1.0, v21, s[0:1]
	v_cmp_neq_f32_e64 s[0:1], 0, v5
	v_cmp_gt_f32_e64 s[38:39], 0, v6
	v_cmp_neq_f32_e64 s[66:67], v6, |v6|
	v_cndmask_b32_e64 v27, 1.0, v9, s[0:1]
	v_cmp_neq_f32_e64 s[0:1], 0, v4
	v_frexp_mant_f32_e64 v19, |v27|
	v_cmp_gt_f32_e64 s[12:13], s33, v19
	v_cndmask_b32_e64 v28, 1.0, v8, s[0:1]
	v_cmp_neq_f32_e64 s[0:1], 0, v7
	v_frexp_mant_f32_e64 v18, |v28|
	v_cvt_f64_f32_e64 v[12:13], |v28|
	v_cndmask_b32_e64 v29, 1.0, v11, s[0:1]
	v_cmp_neq_f32_e64 s[0:1], 0, v6
	v_pk_mul_f32 v[8:9], v[4:5], 0.5 op_sel_hi:[1,0]
	v_frexp_mant_f32_e64 v34, |v29|
	v_cndmask_b32_e64 v30, 1.0, v10, s[0:1]
	v_pk_mul_f32 v[10:11], v[6:7], 0.5 op_sel_hi:[1,0]
	v_cmp_gt_f32_e64 s[10:11], s33, v18
	v_trunc_f32_e32 v36, v11
	v_frexp_exp_i32_f64_e32 v12, v[12:13]
	v_cndmask_b32_e64 v13, 1.0, 2.0, s[12:13]
	v_cvt_f64_f32_e64 v[14:15], |v27|
	v_trunc_f32_e32 v32, v9
	v_cvt_f64_f32_e64 v[16:17], |v30|
	v_trunc_f32_e32 v35, v10
	v_cndmask_b32_e64 v37, 1.0, 2.0, s[10:11]
	v_cmp_gt_f32_e64 s[8:9], s33, v34
	v_cmp_neq_f32_e64 s[0:1], v36, v11
	v_subbrev_co_u32_e64 v11, s[10:11], 0, v12, s[10:11]
	v_mul_f32_e32 v12, v19, v13
	v_frexp_exp_i32_f64_e32 v14, v[14:15]
	v_cmp_neq_f32_e64 s[4:5], v32, v9
	v_frexp_exp_i32_f64_e32 v9, v[16:17]
	v_cndmask_b32_e64 v15, 1.0, 2.0, s[8:9]
	v_cmp_neq_f32_e64 s[2:3], v35, v10
	v_mul_f32_e32 v10, v18, v37
	v_add_f32_e32 v17, 1.0, v12
	v_subbrev_co_u32_e64 v13, s[10:11], 0, v14, s[12:13]
	v_mul_f32_e32 v14, v34, v15
	v_add_f32_e32 v15, 1.0, v10
	v_rcp_f32_e32 v53, v17
	v_frexp_mant_f32_e64 v33, |v30|
	v_rcp_f32_e32 v52, v15
	v_trunc_f32_e32 v31, v8
	v_cmp_gt_f32_e64 s[14:15], s33, v33
	v_cmp_neq_f32_e64 s[6:7], v31, v8
	v_add_f32_e32 v35, -1.0, v12
	v_cndmask_b32_e64 v8, 1.0, 2.0, s[14:15]
	v_mul_f32_e32 v8, v33, v8
	v_add_f32_e32 v33, -1.0, v10
	v_mul_f32_e32 v57, v35, v53
	v_add_f32_e32 v31, 1.0, v14
	v_add_f32_e32 v18, -1.0, v17
	v_mul_f32_e32 v56, v33, v52
	v_mul_f32_e32 v44, v17, v57
	v_add_f32_e32 v19, 1.0, v8
	v_add_f32_e32 v16, -1.0, v15
	v_rcp_f32_e32 v55, v31
	v_sub_f32_e32 v38, v12, v18
	v_mul_f32_e32 v40, v15, v56
	v_fma_f32 v46, v57, v17, -v44
	v_rcp_f32_e32 v54, v19
	v_add_f32_e32 v34, -1.0, v31
	v_sub_f32_e32 v36, v10, v16
	v_fma_f32 v42, v56, v15, -v40
	v_fmac_f32_e32 v46, v57, v38
	v_add_f32_e32 v32, -1.0, v19
	v_sub_f32_e32 v51, v14, v34
	v_fmac_f32_e32 v42, v56, v36
	v_add_f32_e32 v34, v44, v46
	v_add_f32_e32 v39, -1.0, v14
	v_sub_f32_e32 v49, v8, v32
	v_add_f32_e32 v32, v40, v42
	v_sub_f32_e32 v45, v35, v34
	v_subbrev_co_u32_e64 v9, s[10:11], 0, v9, s[14:15]
	v_add_f32_e32 v37, -1.0, v8
	v_mul_f32_e32 v59, v39, v55
	v_sub_f32_e32 v41, v33, v32
	v_mov_b32_e32 v47, v34
	v_pk_add_f32 v[34:35], v[34:35], v[44:45] neg_lo:[0,1] neg_hi:[0,1]
	v_cvt_f32_i32_e32 v9, v9
	v_mul_f32_e32 v58, v37, v54
	v_mov_b32_e32 v43, v32
	v_pk_add_f32 v[32:33], v[32:33], v[40:41] neg_lo:[0,1] neg_hi:[0,1]
	v_pk_add_f32 v[34:35], v[34:35], v[46:47] neg_lo:[0,1] neg_hi:[0,1]
	v_mul_f32_e32 v46, v31, v59
	v_cvt_f32_i32_e32 v11, v11
	v_pk_add_f32 v[32:33], v[32:33], v[42:43] neg_lo:[0,1] neg_hi:[0,1]
	v_mul_f32_e32 v42, v19, v58
	v_fma_f32 v50, v59, v31, -v46
	v_cvt_f32_i32_e32 v13, v13
	v_fma_f32 v48, v58, v19, -v42
	v_fmac_f32_e32 v50, v59, v51
	v_fmac_f32_e32 v48, v58, v49
	v_add_f32_e32 v38, v46, v50
	v_mul_f32_e32 v8, 0x3f317218, v9
	v_add_f32_e32 v36, v42, v48
	v_sub_f32_e32 v47, v39, v38
	v_mul_f32_e32 v12, 0x3f317218, v11
	v_fma_f32 v14, v9, s58, -v8
	v_sub_f32_e32 v43, v37, v36
	v_mov_b32_e32 v51, v38
	v_pk_add_f32 v[38:39], v[38:39], v[46:47] neg_lo:[0,1] neg_hi:[0,1]
	v_mul_f32_e32 v10, 0x3f317218, v13
	v_fma_f32 v18, v11, s58, -v12
	v_fmac_f32_e32 v14, 0xb102e308, v9
	v_mov_b32_e32 v49, v36
	v_pk_add_f32 v[36:37], v[36:37], v[42:43] neg_lo:[0,1] neg_hi:[0,1]
	v_pk_add_f32 v[38:39], v[38:39], v[50:51] neg_lo:[0,1] neg_hi:[0,1]
	v_add_f32_e32 v9, v32, v33
	v_fma_f32 v16, v13, s58, -v10
	v_fmac_f32_e32 v18, 0xb102e308, v11
	v_pk_add_f32 v[36:37], v[36:37], v[48:49] neg_lo:[0,1] neg_hi:[0,1]
	v_add_f32_e32 v11, v34, v35
	v_add_f32_e32 v15, v38, v39
	;; [unrolled: 1-line block ×3, first 2 shown]
	v_fmac_f32_e32 v16, 0xb102e308, v13
	v_add_f32_e32 v13, v36, v37
	v_add_f32_e32 v11, v45, v11
	v_add_f32_e32 v15, v47, v15
	v_mul_f32_e32 v9, v52, v9
	v_add_f32_e32 v13, v43, v13
	v_mul_f32_e32 v11, v53, v11
	v_mul_f32_e32 v15, v55, v15
	v_add_f32_e32 v32, v56, v9
	v_mul_f32_e32 v13, v54, v13
	v_add_f32_e32 v34, v57, v11
	v_add_f32_e32 v38, v59, v15
	v_sub_f32_e32 v17, v32, v56
	v_add_f32_e32 v36, v58, v13
	v_mul_f32_e32 v31, v32, v32
	v_sub_f32_e32 v33, v34, v57
	v_sub_f32_e32 v40, v38, v59
	;; [unrolled: 1-line block ×3, first 2 shown]
	v_mul_f32_e32 v35, v34, v34
	v_sub_f32_e32 v37, v36, v58
	v_fma_f32 v9, v32, v32, -v31
	v_sub_f32_e32 v63, v11, v33
	v_sub_f32_e32 v65, v15, v40
	v_add_f32_e32 v15, v62, v62
	v_mul_f32_e32 v39, v36, v36
	v_fma_f32 v11, v34, v34, -v35
	v_sub_f32_e32 v64, v13, v37
	v_add_f32_e32 v17, v63, v63
	v_fmac_f32_e32 v9, v32, v15
	v_fma_f32 v13, v36, v36, -v39
	v_add_f32_e32 v33, v64, v64
	v_fmac_f32_e32 v11, v34, v17
	v_add_f32_e32 v40, v31, v9
	v_fmac_f32_e32 v13, v36, v33
	v_add_f32_e32 v42, v35, v11
	v_fmamk_f32 v15, v40, 0x3e76c4e1, v22
	v_add_f32_e32 v44, v39, v13
	v_sub_f32_e32 v33, v42, v35
	v_fmaak_f32 v15, v40, v15, 0x3ecccdef
	v_sub_f32_e32 v17, v40, v31
	v_fmamk_f32 v31, v42, 0x3e76c4e1, v22
	v_fmamk_f32 v35, v44, 0x3e76c4e1, v22
	v_sub_f32_e32 v11, v11, v33
	v_mul_f32_e32 v33, v40, v15
	v_sub_f32_e32 v9, v9, v17
	v_fmaak_f32 v17, v42, v31, 0x3ecccdef
	v_fmaak_f32 v31, v44, v35, 0x3ecccdef
	v_fma_f32 v35, v40, v15, -v33
	v_fmac_f32_e32 v35, v9, v15
	v_add_f32_e32 v15, v33, v35
	v_sub_f32_e32 v33, v15, v33
	v_add_f32_e32 v47, 0x3f2aaaaa, v15
	v_sub_f32_e32 v33, v35, v33
	v_add_f32_e32 v35, 0xbf2aaaaa, v47
	v_add_f32_e32 v33, 0x31739010, v33
	v_sub_f32_e32 v41, v15, v35
	v_pk_mul_f32 v[48:49], v[32:33], v[40:41]
	v_mul_f32_e32 v54, v38, v38
	v_fma_f32 v46, v40, v32, -v48
	v_fmac_f32_e32 v46, v40, v62
	v_ldexp_f32 v19, v32, 1
	v_fma_f32 v55, v38, v38, -v54
	v_add_f32_e32 v37, v65, v65
	v_fmac_f32_e32 v46, v9, v32
	v_mul_f32_e32 v9, v42, v17
	v_pk_add_f32 v[32:33], v[32:33], v[40:41]
	v_fmac_f32_e32 v55, v38, v37
	v_sub_f32_e32 v37, v44, v39
	v_mul_f32_e32 v15, v44, v31
	v_fma_f32 v32, v42, v17, -v9
	v_sub_f32_e32 v13, v13, v37
	v_fmac_f32_e32 v32, v11, v17
	v_fma_f32 v17, v44, v31, -v15
	v_fmac_f32_e32 v17, v13, v31
	v_add_f32_e32 v31, v9, v32
	v_add_f32_e32 v41, 0x3f2aaaaa, v31
	;; [unrolled: 1-line block ×3, first 2 shown]
	v_sub_f32_e32 v43, v31, v35
	v_sub_f32_e32 v9, v31, v9
	v_add_f32_e32 v31, v15, v17
	v_add_f32_e32 v51, 0x3f2aaaaa, v31
	;; [unrolled: 1-line block ×3, first 2 shown]
	v_sub_f32_e32 v9, v32, v9
	v_sub_f32_e32 v45, v31, v35
	v_add_f32_e32 v35, 0x31739010, v9
	v_sub_f32_e32 v15, v31, v15
	v_pk_mul_f32 v[52:53], v[34:35], v[42:43]
	v_sub_f32_e32 v15, v17, v15
	v_fma_f32 v40, v42, v34, -v52
	v_add_f32_e32 v37, 0x31739010, v15
	v_fmac_f32_e32 v40, v42, v63
	v_fmac_f32_e32 v40, v11, v34
	v_ldexp_f32 v17, v34, 1
	v_pk_add_f32 v[34:35], v[34:35], v[42:43]
	v_pk_mul_f32 v[42:43], v[36:37], v[44:45]
	v_ldexp_f32 v15, v36, 1
	v_fma_f32 v50, v44, v36, -v42
	v_fmac_f32_e32 v50, v44, v64
	v_pk_add_f32 v[44:45], v[36:37], v[44:45]
	v_fmac_f32_e32 v50, v13, v36
	v_add_f32_e32 v36, v54, v55
	v_fmamk_f32 v9, v36, 0x3e76c4e1, v22
	v_fmaak_f32 v9, v36, v9, 0x3ecccdef
	v_sub_f32_e32 v11, v36, v54
	v_mul_f32_e32 v13, v36, v9
	v_sub_f32_e32 v11, v55, v11
	v_fma_f32 v31, v36, v9, -v13
	v_fmac_f32_e32 v31, v11, v9
	v_add_f32_e32 v9, v13, v31
	v_add_f32_e32 v55, 0x3f2aaaaa, v9
	;; [unrolled: 1-line block ×3, first 2 shown]
	v_sub_f32_e32 v37, v9, v32
	v_sub_f32_e32 v9, v9, v13
	v_mov_b32_e32 v49, v33
	v_sub_f32_e32 v9, v31, v9
	v_pk_add_f32 v[56:57], v[48:49], v[46:47]
	v_add_f32_e32 v39, 0x31739010, v9
	v_sub_f32_e32 v13, v47, v57
	v_add_f32_e32 v13, v33, v13
	v_pk_mul_f32 v[32:33], v[38:39], v[36:37]
	v_sub_f32_e32 v9, v56, v48
	v_mov_b32_e32 v53, v35
	v_fma_f32 v54, v36, v38, -v32
	v_sub_f32_e32 v9, v46, v9
	v_fmac_f32_e32 v54, v36, v65
	v_pk_add_f32 v[46:47], v[52:53], v[40:41]
	v_fmac_f32_e32 v54, v11, v38
	v_sub_f32_e32 v11, v46, v52
	v_mov_b32_e32 v43, v45
	v_pk_add_f32 v[36:37], v[38:39], v[36:37]
	v_sub_f32_e32 v11, v40, v11
	v_sub_f32_e32 v31, v41, v47
	v_pk_add_f32 v[40:41], v[42:43], v[50:51]
	v_mov_b32_e32 v33, v37
	v_sub_f32_e32 v42, v40, v42
	v_add_f32_e32 v31, v35, v31
	v_pk_add_f32 v[34:35], v[32:33], v[54:55]
	v_sub_f32_e32 v39, v51, v41
	v_sub_f32_e32 v36, v34, v32
	;; [unrolled: 1-line block ×3, first 2 shown]
	v_pk_mul_f32 v[32:33], v[56:57], v[56:57] op_sel:[0,1] op_sel_hi:[1,0]
	v_pk_mul_f32 v[42:43], v[46:47], v[46:47] op_sel:[0,1] op_sel_hi:[1,0]
	v_add_f32_e32 v39, v45, v39
	v_sub_f32_e32 v52, v54, v36
	v_fma_f32 v36, v56, v57, -v32
	v_pk_mul_f32 v[44:45], v[40:41], v[40:41] op_sel:[0,1] op_sel_hi:[1,0]
	v_fma_f32 v48, v46, v47, -v42
	v_sub_f32_e32 v33, v55, v35
	v_fmac_f32_e32 v36, v56, v13
	v_fmac_f32_e32 v48, v46, v31
	v_pk_mul_f32 v[50:51], v[34:35], v[34:35] op_sel:[0,1] op_sel_hi:[1,0]
	v_fma_f32 v46, v40, v41, -v44
	v_add_f32_e32 v37, v37, v33
	v_fmac_f32_e32 v36, v9, v57
	v_fmac_f32_e32 v46, v40, v39
	v_fma_f32 v40, v34, v35, -v50
	v_fmac_f32_e32 v48, v11, v47
	v_fmac_f32_e32 v40, v34, v37
	v_add_f32_e32 v13, v32, v36
	v_fmac_f32_e32 v40, v52, v35
	v_add_f32_e32 v11, v42, v48
	v_pk_add_f32 v[34:35], v[12:13], v[18:19]
	v_mov_b32_e32 v33, v19
	v_fmac_f32_e32 v46, v49, v41
	v_mov_b32_e32 v52, v13
	v_pk_add_f32 v[54:55], v[10:11], v[16:17]
	v_mov_b32_e32 v53, v35
	v_mov_b32_e32 v43, v17
	v_add_f32_e32 v9, v44, v46
	v_pk_add_f32 v[32:33], v[52:53], v[32:33] neg_lo:[0,1] neg_hi:[0,1]
	v_mov_b32_e32 v52, v11
	v_mov_b32_e32 v53, v55
	v_pk_add_f32 v[42:43], v[52:53], v[42:43] neg_lo:[0,1] neg_hi:[0,1]
	v_pk_add_f32 v[52:53], v[8:9], v[14:15]
	v_mov_b32_e32 v45, v15
	v_mov_b32_e32 v56, v9
	;; [unrolled: 1-line block ×3, first 2 shown]
	v_pk_add_f32 v[44:45], v[56:57], v[44:45] neg_lo:[0,1] neg_hi:[0,1]
	v_cvt_f64_f32_e64 v[56:57], |v29|
	v_frexp_exp_i32_f64_e32 v15, v[56:57]
	v_subbrev_co_u32_e64 v15, s[8:9], 0, v15, s[8:9]
	v_cvt_f32_i32_e32 v15, v15
	v_ldexp_f32 v39, v38, 1
	v_add_f32_e32 v57, v50, v40
	v_mov_b32_e32 v51, v39
	v_mul_f32_e32 v56, 0x3f317218, v15
	v_fma_f32 v38, v15, s58, -v56
	v_fmac_f32_e32 v38, 0xb102e308, v15
	v_pk_add_f32 v[58:59], v[56:57], v[38:39]
	v_mov_b32_e32 v60, v57
	v_mov_b32_e32 v61, v59
	;; [unrolled: 1-line block ×5, first 2 shown]
	v_pk_add_f32 v[50:51], v[60:61], v[50:51] neg_lo:[0,1] neg_hi:[0,1]
	v_pk_add_f32 v[32:33], v[36:37], v[32:33] neg_lo:[0,1] neg_hi:[0,1]
	;; [unrolled: 1-line block ×3, first 2 shown]
	v_ldexp_f32 v11, v62, 1
	v_ldexp_f32 v13, v63, 1
	;; [unrolled: 1-line block ×3, first 2 shown]
	v_mov_b32_e32 v41, v57
	v_pk_add_f32 v[42:43], v[46:47], v[44:45] neg_lo:[0,1] neg_hi:[0,1]
	v_ldexp_f32 v48, v65, 1
	v_pk_add_f32 v[40:41], v[40:41], v[50:51] neg_lo:[0,1] neg_hi:[0,1]
	v_add_f32_e32 v9, v11, v32
	v_add_f32_e32 v11, v13, v36
	;; [unrolled: 1-line block ×8, first 2 shown]
	v_pk_add_f32 v[32:33], v[34:35], v[12:13] neg_lo:[0,1] neg_hi:[0,1]
	v_pk_add_f32 v[36:37], v[34:35], v[12:13]
	v_pk_add_f32 v[40:41], v[54:55], v[10:11] neg_lo:[0,1] neg_hi:[0,1]
	v_pk_add_f32 v[42:43], v[54:55], v[10:11]
	;; [unrolled: 2-line block ×3, first 2 shown]
	v_mov_b32_e32 v19, v34
	v_mov_b32_e32 v17, v54
	;; [unrolled: 1-line block ×6, first 2 shown]
	v_pk_add_f32 v[48:49], v[58:59], v[56:57] neg_lo:[0,1] neg_hi:[0,1]
	v_pk_add_f32 v[50:51], v[18:19], v[32:33] neg_lo:[0,1] neg_hi:[0,1]
	v_pk_add_f32 v[18:19], v[18:19], v[32:33]
	v_pk_add_f32 v[32:33], v[16:17], v[40:41] neg_lo:[0,1] neg_hi:[0,1]
	v_pk_add_f32 v[16:17], v[16:17], v[40:41]
	;; [unrolled: 2-line block ×3, first 2 shown]
	v_pk_add_f32 v[44:45], v[58:59], v[56:57]
	v_mov_b32_e32 v39, v58
	v_mov_b32_e32 v49, v45
	v_pk_add_f32 v[60:61], v[38:39], v[48:49] neg_lo:[0,1] neg_hi:[0,1]
	v_pk_add_f32 v[38:39], v[38:39], v[48:49]
	v_pk_add_f32 v[48:49], v[18:19], v[34:35] op_sel:[1,0] op_sel_hi:[0,1] neg_lo:[0,1] neg_hi:[0,1]
	v_mov_b32_e32 v12, v13
	v_mov_b32_e32 v13, v34
	;; [unrolled: 1-line block ×3, first 2 shown]
	v_pk_mov_b32 v[34:35], v[34:35], v[48:49] op_sel:[1,0]
	v_pk_add_f32 v[36:37], v[36:37], v[48:49] op_sel_hi:[1,0] neg_lo:[0,1] neg_hi:[0,1]
	v_pk_add_f32 v[34:35], v[18:19], v[34:35] neg_lo:[0,1] neg_hi:[0,1]
	v_trunc_f32_e32 v18, v5
	v_pk_add_f32 v[48:49], v[16:17], v[54:55] op_sel:[1,0] op_sel_hi:[0,1] neg_lo:[0,1] neg_hi:[0,1]
	v_cmp_eq_f32_e64 s[14:15], v18, v5
	v_trunc_f32_e32 v18, v4
	v_mov_b32_e32 v10, v11
	v_mov_b32_e32 v11, v54
	;; [unrolled: 1-line block ×3, first 2 shown]
	v_pk_add_f32 v[42:43], v[42:43], v[48:49] op_sel_hi:[1,0] neg_lo:[0,1] neg_hi:[0,1]
	v_pk_mov_b32 v[48:49], v[54:55], v[48:49] op_sel:[1,0]
	v_mov_b32_e32 v54, v9
	v_pk_add_f32 v[8:9], v[14:15], v[52:53] op_sel:[1,0] op_sel_hi:[0,1] neg_lo:[0,1] neg_hi:[0,1]
	v_cmp_eq_f32_e64 s[24:25], v18, v4
	v_trunc_f32_e32 v18, v7
	v_mov_b32_e32 v55, v52
	v_mov_b32_e32 v14, v47
	v_pk_add_f32 v[46:47], v[46:47], v[8:9] op_sel_hi:[1,0] neg_lo:[0,1] neg_hi:[0,1]
	v_pk_mov_b32 v[52:53], v[52:53], v[8:9] op_sel:[1,0]
	v_pk_add_f32 v[8:9], v[38:39], v[58:59] op_sel:[1,0] op_sel_hi:[0,1] neg_lo:[0,1] neg_hi:[0,1]
	v_pk_add_f32 v[48:49], v[16:17], v[48:49] neg_lo:[0,1] neg_hi:[0,1]
	v_cmp_eq_f32_e64 s[26:27], v18, v7
	v_trunc_f32_e32 v18, v6
	v_mov_b32_e32 v56, v57
	v_mov_b32_e32 v57, v58
	;; [unrolled: 1-line block ×3, first 2 shown]
	v_pk_mov_b32 v[58:59], v[58:59], v[8:9] op_sel:[1,0]
	v_mov_b32_e32 v51, v19
	v_mov_b32_e32 v16, v19
	v_cmp_eq_f32_e64 s[30:31], v18, v6
	v_pk_add_f32 v[18:19], v[14:15], v[52:53] neg_lo:[0,1] neg_hi:[0,1]
	v_pk_add_f32 v[12:13], v[12:13], v[34:35] neg_lo:[0,1] neg_hi:[0,1]
	v_mov_b32_e32 v36, v50
	v_mov_b32_e32 v42, v32
	v_pk_add_f32 v[10:11], v[10:11], v[48:49] neg_lo:[0,1] neg_hi:[0,1]
	v_pk_add_f32 v[44:45], v[44:45], v[8:9] op_sel_hi:[1,0] neg_lo:[0,1] neg_hi:[0,1]
	v_mov_b32_e32 v41, v15
	v_pk_add_f32 v[52:53], v[38:39], v[58:59] neg_lo:[0,1] neg_hi:[0,1]
	v_mov_b32_e32 v38, v15
	v_mov_b32_e32 v46, v40
	v_pk_add_f32 v[14:15], v[54:55], v[18:19] neg_lo:[0,1] neg_hi:[0,1]
	v_pk_add_f32 v[34:35], v[36:37], v[12:13]
	v_pk_add_f32 v[36:37], v[42:43], v[10:11]
	v_mov_b32_e32 v44, v60
	v_pk_add_f32 v[18:19], v[56:57], v[52:53] neg_lo:[0,1] neg_hi:[0,1]
	v_pk_add_f32 v[42:43], v[46:47], v[14:15]
	v_mov_b32_e32 v46, v34
	v_mov_b32_e32 v47, v36
	;; [unrolled: 1-line block ×4, first 2 shown]
	v_pk_add_f32 v[44:45], v[44:45], v[18:19]
	v_pk_add_f32 v[48:49], v[46:47], v[48:49]
	v_mov_b32_e32 v33, v17
	v_mov_b32_e32 v52, v42
	v_mov_b32_e32 v53, v44
	v_pk_add_f32 v[16:17], v[16:17], v[48:49]
	v_mov_b32_e32 v13, v48
	v_mov_b32_e32 v11, v49
	;; [unrolled: 1-line block ×4, first 2 shown]
	v_cmp_eq_f32_e64 s[16:17], 0, v27
	v_pk_add_f32 v[48:49], v[52:53], v[48:49]
	v_mov_b32_e32 v35, v16
	v_mov_b32_e32 v37, v17
	v_cmp_lt_f32_e64 s[68:69], |v28|, 1.0
	v_cmp_eq_f32_e64 s[10:11], 0, v28
	s_xor_b64 s[36:37], s[36:37], s[16:17]
	v_mov_b32_e32 v61, v39
	v_pk_add_f32 v[38:39], v[38:39], v[48:49]
	v_pk_add_f32 v[34:35], v[34:35], v[50:51] neg_lo:[0,1] neg_hi:[0,1]
	v_pk_add_f32 v[36:37], v[36:37], v[32:33] neg_lo:[0,1] neg_hi:[0,1]
	s_and_b64 s[4:5], s[14:15], s[4:5]
	s_xor_b64 s[68:69], s[28:29], s[68:69]
	v_cmp_eq_f32_e64 s[28:29], 0, v29
	s_xor_b64 s[34:35], s[34:35], s[10:11]
	v_cndmask_b32_e64 v62, v25, 0, s[36:37]
	s_and_b64 s[6:7], s[24:25], s[6:7]
	v_mov_b32_e32 v43, v38
	v_mov_b32_e32 v45, v39
	v_pk_add_f32 v[12:13], v[12:13], v[34:35] neg_lo:[0,1] neg_hi:[0,1]
	v_mov_b32_e32 v35, v36
	v_pk_add_f32 v[10:11], v[10:11], v[36:37] neg_lo:[0,1] neg_hi:[0,1]
	v_cndmask_b32_e64 v36, 0, v27, s[4:5]
	v_cmp_eq_f32_e64 s[22:23], 0, v30
	v_cndmask_b32_e64 v59, v25, 0, s[34:35]
	s_xor_b64 s[40:41], s[40:41], s[28:29]
	v_mov_b32_e32 v51, v32
	v_pk_add_f32 v[32:33], v[42:43], v[40:41] neg_lo:[0,1] neg_hi:[0,1]
	v_pk_add_f32 v[42:43], v[44:45], v[60:61] neg_lo:[0,1] neg_hi:[0,1]
	v_mov_b32_e32 v41, v60
	s_and_b64 s[0:1], s[26:27], s[0:1]
	v_bfi_b32 v60, s63, v62, v36
	v_cndmask_b32_e64 v36, 0, v28, s[6:7]
	v_mov_b32_e32 v15, v48
	v_mov_b32_e32 v19, v49
	s_xor_b64 s[38:39], s[38:39], s[22:23]
	v_cndmask_b32_e64 v54, v25, 0, s[40:41]
	s_and_b64 s[2:3], s[30:31], s[2:3]
	v_bfi_b32 v59, s63, v59, v36
	v_cndmask_b32_e64 v36, 0, v29, s[0:1]
	v_cndmask_b32_e64 v49, v25, 0, s[38:39]
	v_bfi_b32 v54, s63, v54, v36
	v_cndmask_b32_e64 v36, 0, v30, s[2:3]
	v_pk_add_f32 v[14:15], v[14:15], v[32:33] neg_lo:[0,1] neg_hi:[0,1]
	v_mov_b32_e32 v33, v42
	v_pk_add_f32 v[18:19], v[18:19], v[42:43] neg_lo:[0,1] neg_hi:[0,1]
	v_pk_add_f32 v[34:35], v[46:47], v[34:35] neg_lo:[0,1] neg_hi:[0,1]
	v_bfi_b32 v49, s63, v49, v36
	v_mov_b32_e32 v36, v12
	v_mov_b32_e32 v37, v10
	;; [unrolled: 1-line block ×3, first 2 shown]
	v_pk_add_f32 v[12:13], v[52:53], v[32:33] neg_lo:[0,1] neg_hi:[0,1]
	v_mov_b32_e32 v32, v14
	v_mov_b32_e32 v33, v18
	;; [unrolled: 1-line block ×3, first 2 shown]
	v_pk_add_f32 v[14:15], v[50:51], v[34:35] neg_lo:[0,1] neg_hi:[0,1]
	v_pk_add_f32 v[12:13], v[40:41], v[12:13] neg_lo:[0,1] neg_hi:[0,1]
	v_pk_add_f32 v[14:15], v[36:37], v[14:15]
	v_pk_add_f32 v[12:13], v[32:33], v[12:13]
	;; [unrolled: 1-line block ×6, first 2 shown]
	v_pk_add_f32 v[16:17], v[14:15], v[16:17] neg_lo:[0,1] neg_hi:[0,1]
	v_pk_mul_f32 v[32:33], v[4:5], v[14:15]
	v_pk_add_f32 v[10:11], v[10:11], v[16:17] neg_lo:[0,1] neg_hi:[0,1]
	v_fma_f32 v14, v4, v14, -v32
	v_pk_add_f32 v[34:35], v[18:19], v[38:39] neg_lo:[0,1] neg_hi:[0,1]
	v_pk_mul_f32 v[36:37], v[6:7], v[18:19]
	v_fma_f32 v15, v5, v15, -v33
	v_fmac_f32_e32 v14, v4, v10
	v_cndmask_b32_e64 v57, 1.0, v30, s[2:3]
	v_pk_add_f32 v[12:13], v[12:13], v[34:35] neg_lo:[0,1] neg_hi:[0,1]
	v_fma_f32 v16, v6, v18, -v36
	v_fmac_f32_e32 v15, v5, v11
	v_add_f32_e32 v10, v32, v14
	v_cmp_class_f32_e64 s[2:3], v32, v23
	v_cndmask_b32_e64 v56, 1.0, v29, s[0:1]
	v_fma_f32 v17, v7, v19, -v37
	v_fmac_f32_e32 v16, v6, v12
	v_add_f32_e32 v11, v33, v15
	v_cmp_class_f32_e64 s[0:1], v33, v23
	v_cndmask_b32_e64 v19, v10, v32, s[2:3]
	v_cndmask_b32_e64 v44, 1.0, v28, s[6:7]
	v_fmac_f32_e32 v17, v7, v13
	v_add_f32_e32 v12, v36, v16
	v_cmp_class_f32_e64 s[6:7], v36, v23
	v_sub_f32_e32 v18, v10, v32
	v_sub_f32_e32 v10, v11, v33
	v_cndmask_b32_e64 v32, v11, v33, s[0:1]
	v_cmp_eq_f32_e64 s[0:1], s59, v19
	v_cndmask_b32_e64 v55, 1.0, v27, s[4:5]
	v_add_f32_e32 v13, v37, v17
	v_cmp_class_f32_e64 s[4:5], v37, v23
	v_cndmask_b32_e64 v33, v12, v36, s[6:7]
	v_sub_f32_e32 v15, v15, v10
	v_cndmask_b32_e64 v10, 0, v24, s[0:1]
	v_cmp_eq_f32_e64 s[0:1], s59, v32
	v_sub_f32_e32 v11, v12, v36
	v_sub_f32_e32 v12, v13, v37
	v_cndmask_b32_e64 v34, v13, v37, s[4:5]
	v_cndmask_b32_e64 v13, 0, v24, s[0:1]
	v_cmp_eq_f32_e64 s[0:1], s59, v33
	v_sub_f32_e32 v18, v14, v18
	v_cmp_class_f32_e64 s[2:3], v19, s60
	v_cndmask_b32_e64 v14, 0, v24, s[0:1]
	v_cmp_eq_f32_e64 s[0:1], s59, v34
	v_sub_f32_e32 v16, v16, v11
	v_sub_f32_e32 v35, v17, v12
	v_cmp_class_f32_e64 s[4:5], v34, s60
	v_cmp_class_f32_e64 s[6:7], v33, s60
	v_cndmask_b32_e64 v17, 0, v24, s[0:1]
	v_cmp_class_f32_e64 s[0:1], v32, s60
	v_sub_f32_e32 v19, v19, v10
	v_cndmask_b32_e64 v12, v18, 0, s[2:3]
	v_cndmask_b32_e64 v11, v15, 0, s[0:1]
	v_sub_f32_e32 v18, v32, v13
	v_cndmask_b32_e64 v15, v35, 0, s[4:5]
	v_sub_f32_e32 v32, v33, v14
	;; [unrolled: 2-line block ×3, first 2 shown]
	v_mul_f32_e32 v34, 0x3fb8aa3b, v19
	v_pk_add_f32 v[10:11], v[12:13], v[10:11]
	v_mul_f32_e32 v35, 0x3fb8aa3b, v18
	v_mul_f32_e32 v36, 0x3fb8aa3b, v32
	v_pk_add_f32 v[12:13], v[16:17], v[14:15]
	v_mul_f32_e32 v14, 0x3fb8aa3b, v33
	v_fma_f32 v15, v19, s61, -v34
	v_rndne_f32_e32 v16, v34
	v_fma_f32 v17, v18, s61, -v35
	v_rndne_f32_e32 v37, v35
	;; [unrolled: 2-line block ×4, first 2 shown]
	v_fmac_f32_e32 v15, 0x32a5705f, v19
	v_sub_f32_e32 v34, v34, v16
	v_fmac_f32_e32 v17, 0x32a5705f, v18
	v_sub_f32_e32 v35, v35, v37
	;; [unrolled: 2-line block ×4, first 2 shown]
	v_add_f32_e32 v15, v34, v15
	v_add_f32_e32 v17, v35, v17
	;; [unrolled: 1-line block ×4, first 2 shown]
	v_cvt_i32_f32_e32 v16, v16
	v_cvt_i32_f32_e32 v37, v37
	;; [unrolled: 1-line block ×4, first 2 shown]
	v_exp_f32_e32 v15, v15
	v_exp_f32_e32 v17, v17
	;; [unrolled: 1-line block ×4, first 2 shown]
	v_ldexp_f32 v15, v15, v16
	v_ldexp_f32 v16, v17, v37
	v_cmp_ngt_f32_e64 s[0:1], s62, v18
	v_ldexp_f32 v17, v34, v39
	v_cmp_ngt_f32_e64 s[2:3], s62, v32
	v_ldexp_f32 v14, v14, v41
	v_cmp_ngt_f32_e64 s[4:5], s62, v33
	v_cmp_ngt_f32_e64 s[6:7], s62, v19
	v_cndmask_b32_e64 v16, 0, v16, s[0:1]
	v_cmp_nlt_f32_e64 s[0:1], s59, v18
	v_cndmask_b32_e64 v15, 0, v15, s[6:7]
	v_cndmask_b32_e64 v17, 0, v17, s[2:3]
	v_cmp_nlt_f32_e64 s[2:3], s59, v32
	v_cndmask_b32_e64 v18, 0, v14, s[4:5]
	v_cmp_nlt_f32_e64 s[4:5], s59, v33
	v_cmp_nlt_f32_e64 s[6:7], s59, v19
	v_cmp_lt_f32_e64 s[44:45], |v27|, 1.0
	v_cmp_lt_f32_e64 s[70:71], |v29|, 1.0
	v_cndmask_b32_e64 v14, v25, v15, s[6:7]
	v_cndmask_b32_e64 v15, v25, v16, s[0:1]
	;; [unrolled: 1-line block ×4, first 2 shown]
	v_pk_fma_f32 v[10:11], v[14:15], v[10:11], v[14:15]
	v_cmp_class_f32_e64 s[0:1], v14, v23
	v_pk_fma_f32 v[12:13], v[16:17], v[12:13], v[16:17]
	v_cmp_class_f32_e64 s[2:3], v16, v23
	v_cmp_class_f32_e64 s[4:5], v17, v23
	;; [unrolled: 1-line block ×3, first 2 shown]
	v_cmp_lt_f32_e64 s[72:73], |v30|, 1.0
	v_cndmask_b32_e64 v10, v10, v14, s[0:1]
	v_cndmask_b32_e64 v11, v11, v15, s[6:7]
	;; [unrolled: 1-line block ×4, first 2 shown]
	s_xor_b64 s[42:43], s[42:43], s[44:45]
	s_xor_b64 s[34:35], s[66:67], s[72:73]
	;; [unrolled: 1-line block ×3, first 2 shown]
	v_bfi_b32 v10, s63, v10, v44
	v_bfi_b32 v11, s63, v11, v55
	;; [unrolled: 1-line block ×4, first 2 shown]
	v_cndmask_b32_e64 v31, v25, 0, s[42:43]
	v_cndmask_b32_e64 v58, v25, 0, s[68:69]
	v_cmp_neq_f32_e64 s[42:43], |v28|, 1.0
	v_cmp_neq_f32_e64 s[44:45], |v27|, 1.0
	v_cndmask_b32_e64 v63, v25, 0, s[36:37]
	v_cndmask_b32_e64 v48, v25, 0, s[34:35]
	v_cmp_neq_f32_e64 s[34:35], |v30|, 1.0
	v_cmp_neq_f32_e64 s[36:37], |v29|, 1.0
	v_cndmask_b32_e64 v14, v26, v11, s[14:15]
	v_cmp_gt_f32_e64 s[0:1], 0, v27
	v_cndmask_b32_e64 v15, v26, v10, s[24:25]
	v_cndmask_b32_e64 v16, v26, v13, s[26:27]
	v_cmp_gt_f32_e64 s[2:3], 0, v29
	v_cndmask_b32_e64 v17, v26, v12, s[30:31]
	v_cmp_gt_f32_e64 s[4:5], 0, v30
	v_cmp_gt_f32_e64 s[6:7], 0, v28
	v_cmp_class_f32_e64 s[8:9], v28, v23
	v_cmp_class_f32_e64 s[12:13], v27, v23
	;; [unrolled: 1-line block ×4, first 2 shown]
	v_cndmask_b32_e64 v45, 1.0, v58, s[42:43]
	v_cndmask_b32_e64 v31, 1.0, v31, s[44:45]
	;; [unrolled: 1-line block ×4, first 2 shown]
	v_cndmask_b32_e64 v10, v10, v15, s[6:7]
	v_cndmask_b32_e64 v11, v11, v14, s[0:1]
	v_cmp_class_f32_e64 s[0:1], v4, v23
	v_cndmask_b32_e64 v12, v12, v17, s[4:5]
	v_cndmask_b32_e64 v13, v13, v16, s[2:3]
	v_cmp_class_f32_e64 s[2:3], v6, v23
	v_cmp_class_f32_e64 s[4:5], v7, v23
	;; [unrolled: 1-line block ×3, first 2 shown]
	v_cndmask_b32_e64 v10, v10, v45, s[0:1]
	s_or_b64 s[0:1], s[16:17], s[12:13]
	v_cndmask_b32_e64 v11, v11, v31, s[6:7]
	v_cndmask_b32_e64 v13, v13, v58, s[4:5]
	;; [unrolled: 1-line block ×3, first 2 shown]
	s_or_b64 s[2:3], s[28:29], s[20:21]
	s_or_b64 s[4:5], s[22:23], s[18:19]
	;; [unrolled: 1-line block ×3, first 2 shown]
	v_cndmask_b32_e64 v10, v10, v59, s[6:7]
	v_cndmask_b32_e64 v11, v11, v60, s[0:1]
	v_cmp_o_f32_e64 s[0:1], v28, v4
	v_cndmask_b32_e64 v12, v12, v49, s[4:5]
	v_cndmask_b32_e64 v13, v13, v54, s[2:3]
	v_cmp_o_f32_e64 s[2:3], v29, v7
	v_cmp_o_f32_e64 s[4:5], v30, v6
	s_or_b64 s[56:57], vcc, s[56:57]
	v_cmp_o_f32_e32 vcc, v27, v5
	v_lshl_add_u64 v[8:9], s[46:47], 0, v[2:3]
	v_lshl_add_u64 v[2:3], v[2:3], 0, s[52:53]
	v_cndmask_b32_e32 v5, v26, v11, vcc
	v_cndmask_b32_e64 v4, v26, v10, s[0:1]
	v_cndmask_b32_e64 v7, v26, v13, s[2:3]
	;; [unrolled: 1-line block ×3, first 2 shown]
	global_store_dwordx4 v[8:9], v[4:7], off
	s_andn2_b64 exec, exec, s[56:57]
	s_cbranch_execnz .LBB67_24
.LBB67_25:
	s_endpgm
	.section	.rodata,"a",@progbits
	.p2align	6, 0x0
	.amdhsa_kernel _ZN2at6native12_GLOBAL__N_125multi_tensor_apply_kernelINS1_18TensorListMetadataILi2EEENS1_21BinaryOpScalarFunctorIfLi2ELi1ELi1EEEJNS1_13power_functorIfEEfEEEvT_T0_DpT1_
		.amdhsa_group_segment_fixed_size 0
		.amdhsa_private_segment_fixed_size 0
		.amdhsa_kernarg_size 3408
		.amdhsa_user_sgpr_count 2
		.amdhsa_user_sgpr_dispatch_ptr 0
		.amdhsa_user_sgpr_queue_ptr 0
		.amdhsa_user_sgpr_kernarg_segment_ptr 1
		.amdhsa_user_sgpr_dispatch_id 0
		.amdhsa_user_sgpr_kernarg_preload_length 0
		.amdhsa_user_sgpr_kernarg_preload_offset 0
		.amdhsa_user_sgpr_private_segment_size 0
		.amdhsa_uses_dynamic_stack 0
		.amdhsa_enable_private_segment 0
		.amdhsa_system_sgpr_workgroup_id_x 1
		.amdhsa_system_sgpr_workgroup_id_y 0
		.amdhsa_system_sgpr_workgroup_id_z 0
		.amdhsa_system_sgpr_workgroup_info 0
		.amdhsa_system_vgpr_workitem_id 0
		.amdhsa_next_free_vgpr 66
		.amdhsa_next_free_sgpr 74
		.amdhsa_accum_offset 68
		.amdhsa_reserve_vcc 1
		.amdhsa_float_round_mode_32 0
		.amdhsa_float_round_mode_16_64 0
		.amdhsa_float_denorm_mode_32 3
		.amdhsa_float_denorm_mode_16_64 3
		.amdhsa_dx10_clamp 1
		.amdhsa_ieee_mode 1
		.amdhsa_fp16_overflow 0
		.amdhsa_tg_split 0
		.amdhsa_exception_fp_ieee_invalid_op 0
		.amdhsa_exception_fp_denorm_src 0
		.amdhsa_exception_fp_ieee_div_zero 0
		.amdhsa_exception_fp_ieee_overflow 0
		.amdhsa_exception_fp_ieee_underflow 0
		.amdhsa_exception_fp_ieee_inexact 0
		.amdhsa_exception_int_div_zero 0
	.end_amdhsa_kernel
	.section	.text._ZN2at6native12_GLOBAL__N_125multi_tensor_apply_kernelINS1_18TensorListMetadataILi2EEENS1_21BinaryOpScalarFunctorIfLi2ELi1ELi1EEEJNS1_13power_functorIfEEfEEEvT_T0_DpT1_,"axG",@progbits,_ZN2at6native12_GLOBAL__N_125multi_tensor_apply_kernelINS1_18TensorListMetadataILi2EEENS1_21BinaryOpScalarFunctorIfLi2ELi1ELi1EEEJNS1_13power_functorIfEEfEEEvT_T0_DpT1_,comdat
.Lfunc_end67:
	.size	_ZN2at6native12_GLOBAL__N_125multi_tensor_apply_kernelINS1_18TensorListMetadataILi2EEENS1_21BinaryOpScalarFunctorIfLi2ELi1ELi1EEEJNS1_13power_functorIfEEfEEEvT_T0_DpT1_, .Lfunc_end67-_ZN2at6native12_GLOBAL__N_125multi_tensor_apply_kernelINS1_18TensorListMetadataILi2EEENS1_21BinaryOpScalarFunctorIfLi2ELi1ELi1EEEJNS1_13power_functorIfEEfEEEvT_T0_DpT1_
                                        ; -- End function
	.set _ZN2at6native12_GLOBAL__N_125multi_tensor_apply_kernelINS1_18TensorListMetadataILi2EEENS1_21BinaryOpScalarFunctorIfLi2ELi1ELi1EEEJNS1_13power_functorIfEEfEEEvT_T0_DpT1_.num_vgpr, 66
	.set _ZN2at6native12_GLOBAL__N_125multi_tensor_apply_kernelINS1_18TensorListMetadataILi2EEENS1_21BinaryOpScalarFunctorIfLi2ELi1ELi1EEEJNS1_13power_functorIfEEfEEEvT_T0_DpT1_.num_agpr, 0
	.set _ZN2at6native12_GLOBAL__N_125multi_tensor_apply_kernelINS1_18TensorListMetadataILi2EEENS1_21BinaryOpScalarFunctorIfLi2ELi1ELi1EEEJNS1_13power_functorIfEEfEEEvT_T0_DpT1_.numbered_sgpr, 74
	.set _ZN2at6native12_GLOBAL__N_125multi_tensor_apply_kernelINS1_18TensorListMetadataILi2EEENS1_21BinaryOpScalarFunctorIfLi2ELi1ELi1EEEJNS1_13power_functorIfEEfEEEvT_T0_DpT1_.num_named_barrier, 0
	.set _ZN2at6native12_GLOBAL__N_125multi_tensor_apply_kernelINS1_18TensorListMetadataILi2EEENS1_21BinaryOpScalarFunctorIfLi2ELi1ELi1EEEJNS1_13power_functorIfEEfEEEvT_T0_DpT1_.private_seg_size, 0
	.set _ZN2at6native12_GLOBAL__N_125multi_tensor_apply_kernelINS1_18TensorListMetadataILi2EEENS1_21BinaryOpScalarFunctorIfLi2ELi1ELi1EEEJNS1_13power_functorIfEEfEEEvT_T0_DpT1_.uses_vcc, 1
	.set _ZN2at6native12_GLOBAL__N_125multi_tensor_apply_kernelINS1_18TensorListMetadataILi2EEENS1_21BinaryOpScalarFunctorIfLi2ELi1ELi1EEEJNS1_13power_functorIfEEfEEEvT_T0_DpT1_.uses_flat_scratch, 0
	.set _ZN2at6native12_GLOBAL__N_125multi_tensor_apply_kernelINS1_18TensorListMetadataILi2EEENS1_21BinaryOpScalarFunctorIfLi2ELi1ELi1EEEJNS1_13power_functorIfEEfEEEvT_T0_DpT1_.has_dyn_sized_stack, 0
	.set _ZN2at6native12_GLOBAL__N_125multi_tensor_apply_kernelINS1_18TensorListMetadataILi2EEENS1_21BinaryOpScalarFunctorIfLi2ELi1ELi1EEEJNS1_13power_functorIfEEfEEEvT_T0_DpT1_.has_recursion, 0
	.set _ZN2at6native12_GLOBAL__N_125multi_tensor_apply_kernelINS1_18TensorListMetadataILi2EEENS1_21BinaryOpScalarFunctorIfLi2ELi1ELi1EEEJNS1_13power_functorIfEEfEEEvT_T0_DpT1_.has_indirect_call, 0
	.section	.AMDGPU.csdata,"",@progbits
; Kernel info:
; codeLenInByte = 9732
; TotalNumSgprs: 80
; NumVgprs: 66
; NumAgprs: 0
; TotalNumVgprs: 66
; ScratchSize: 0
; MemoryBound: 0
; FloatMode: 240
; IeeeMode: 1
; LDSByteSize: 0 bytes/workgroup (compile time only)
; SGPRBlocks: 9
; VGPRBlocks: 8
; NumSGPRsForWavesPerEU: 80
; NumVGPRsForWavesPerEU: 66
; AccumOffset: 68
; Occupancy: 7
; WaveLimiterHint : 0
; COMPUTE_PGM_RSRC2:SCRATCH_EN: 0
; COMPUTE_PGM_RSRC2:USER_SGPR: 2
; COMPUTE_PGM_RSRC2:TRAP_HANDLER: 0
; COMPUTE_PGM_RSRC2:TGID_X_EN: 1
; COMPUTE_PGM_RSRC2:TGID_Y_EN: 0
; COMPUTE_PGM_RSRC2:TGID_Z_EN: 0
; COMPUTE_PGM_RSRC2:TIDIG_COMP_CNT: 0
; COMPUTE_PGM_RSRC3_GFX90A:ACCUM_OFFSET: 16
; COMPUTE_PGM_RSRC3_GFX90A:TG_SPLIT: 0
	.section	.text._ZN2at6native12_GLOBAL__N_125multi_tensor_apply_kernelINS1_18TensorListMetadataILi2EEENS1_21BinaryOpScalarFunctorIN3c107complexIdEELi2ELi1ELi1EEEJNS1_13power_functorIS8_EES8_EEEvT_T0_DpT1_,"axG",@progbits,_ZN2at6native12_GLOBAL__N_125multi_tensor_apply_kernelINS1_18TensorListMetadataILi2EEENS1_21BinaryOpScalarFunctorIN3c107complexIdEELi2ELi1ELi1EEEJNS1_13power_functorIS8_EES8_EEEvT_T0_DpT1_,comdat
	.globl	_ZN2at6native12_GLOBAL__N_125multi_tensor_apply_kernelINS1_18TensorListMetadataILi2EEENS1_21BinaryOpScalarFunctorIN3c107complexIdEELi2ELi1ELi1EEEJNS1_13power_functorIS8_EES8_EEEvT_T0_DpT1_ ; -- Begin function _ZN2at6native12_GLOBAL__N_125multi_tensor_apply_kernelINS1_18TensorListMetadataILi2EEENS1_21BinaryOpScalarFunctorIN3c107complexIdEELi2ELi1ELi1EEEJNS1_13power_functorIS8_EES8_EEEvT_T0_DpT1_
	.p2align	8
	.type	_ZN2at6native12_GLOBAL__N_125multi_tensor_apply_kernelINS1_18TensorListMetadataILi2EEENS1_21BinaryOpScalarFunctorIN3c107complexIdEELi2ELi1ELi1EEEJNS1_13power_functorIS8_EES8_EEEvT_T0_DpT1_,@function
_ZN2at6native12_GLOBAL__N_125multi_tensor_apply_kernelINS1_18TensorListMetadataILi2EEENS1_21BinaryOpScalarFunctorIN3c107complexIdEELi2ELi1ELi1EEEJNS1_13power_functorIS8_EES8_EEEvT_T0_DpT1_: ; @_ZN2at6native12_GLOBAL__N_125multi_tensor_apply_kernelINS1_18TensorListMetadataILi2EEENS1_21BinaryOpScalarFunctorIN3c107complexIdEELi2ELi1ELi1EEEJNS1_13power_functorIS8_EES8_EEEvT_T0_DpT1_
; %bb.0:
	v_mov_b32_e32 v48, v0
	v_mov_b32_e32 v0, s2
	global_load_ubyte v0, v0, s[0:1] offset:1536
	s_mov_b64 s[34:35], s[0:1]
	s_add_u32 s0, s34, s2
	s_mul_hi_u32 s3, s2, 3
	s_mul_i32 s2, s2, 3
	s_addc_u32 s4, s35, 0
	s_add_u32 s2, s0, s2
	s_addc_u32 s3, s4, s3
	s_load_dwordx4 s[48:51], s[34:35], 0xc50
	s_load_dword s4, s[2:3], 0x740
	s_mov_b32 s1, 0
	s_mov_b32 s3, s1
	;; [unrolled: 1-line block ×3, first 2 shown]
	s_waitcnt lgkmcnt(0)
	s_ashr_i32 s5, s4, 31
	s_lshl_b64 s[12:13], s[4:5], 20
	s_waitcnt vmcnt(0)
	v_readfirstlane_b32 s0, v0
	s_lshl_b32 s0, s0, 3
	s_load_dwordx2 s[6:7], s[34:35], s0 offset:0x0
	s_load_dwordx2 s[8:9], s[34:35], s0 offset:0x400
	;; [unrolled: 1-line block ×3, first 2 shown]
	s_waitcnt lgkmcnt(0)
	s_add_u32 s46, s6, s12
	s_addc_u32 s47, s7, s13
	s_and_b32 s0, s46, 63
	s_add_u32 s52, s10, s12
	s_addc_u32 s53, s11, s13
	s_and_b32 s2, s52, 63
	s_lshl_b64 s[4:5], s[4:5], 16
	s_sub_u32 s54, s8, s4
	s_subb_u32 s55, s9, s5
	s_and_b32 s4, s8, 3
	s_mov_b32 s5, s1
	s_or_b64 s[2:3], s[2:3], s[4:5]
	s_or_b64 s[0:1], s[2:3], s[0:1]
	s_cmp_eq_u64 s[0:1], 0
	s_mov_b64 s[0:1], -1
	s_cbranch_scc1 .LBB68_21
; %bb.1:
	v_cmp_lt_i64_e64 s[0:1], s[54:55], 1
	s_and_b64 vcc, exec, s[0:1]
	s_cbranch_vccnz .LBB68_20
; %bb.2:
	s_load_dword s2, s[34:35], 0xc6c
	v_mov_b64_e32 v[0:1], 0x10000
	v_cmp_lt_i64_e32 vcc, s[54:55], v[0:1]
	s_and_b64 s[0:1], vcc, exec
	s_cselect_b32 s59, s55, 0
	s_cselect_b32 s58, s54, 0x10000
	s_waitcnt lgkmcnt(0)
	s_and_b32 s56, s2, 0xffff
	v_cmp_lt_u64_e32 vcc, s[54:55], v[0:1]
	s_mov_b32 s57, 0
	s_and_b64 s[0:1], vcc, exec
	v_mov_b32_e32 v49, 0
	s_cselect_b32 s61, s55, 0
	s_cselect_b32 s60, s54, 0x10000
	s_lshl_b32 s62, s56, 1
	s_mov_b32 s63, s57
	s_mul_i32 s64, s56, 3
	s_mov_b32 s65, s57
	s_lshl_b32 s33, s56, 2
	s_mov_b64 s[66:67], 0
	s_branch .LBB68_4
.LBB68_3:                               ;   in Loop: Header=BB68_4 Depth=1
	s_or_b64 exec, exec, s[38:39]
	s_add_u32 s66, s66, s33
	s_addc_u32 s67, s67, 0
	s_waitcnt vmcnt(0)
	v_mov_b64_e32 v[0:1], s[58:59]
	v_cmp_lt_i64_e32 vcc, s[66:67], v[0:1]
	s_cbranch_vccz .LBB68_20
.LBB68_4:                               ; =>This Inner Loop Header: Depth=1
	v_lshl_add_u64 v[56:57], s[66:67], 0, v[48:49]
	v_cmp_gt_u64_e32 vcc, s[60:61], v[56:57]
	v_mov_b64_e32 v[42:43], 0
	v_mov_b64_e32 v[2:3], 0
	v_mov_b64_e32 v[0:1], 0
	s_and_saveexec_b64 s[0:1], vcc
	s_cbranch_execz .LBB68_6
; %bb.5:                                ;   in Loop: Header=BB68_4 Depth=1
	v_lshl_add_u64 v[0:1], v[56:57], 4, s[46:47]
	global_load_dwordx4 v[0:3], v[0:1], off
.LBB68_6:                               ;   in Loop: Header=BB68_4 Depth=1
	s_or_b64 exec, exec, s[0:1]
	v_lshl_add_u64 v[54:55], v[56:57], 0, s[56:57]
	v_cmp_gt_u64_e64 s[44:45], s[60:61], v[54:55]
	v_mov_b64_e32 v[40:41], 0
	s_and_saveexec_b64 s[0:1], s[44:45]
	s_cbranch_execz .LBB68_8
; %bb.7:                                ;   in Loop: Header=BB68_4 Depth=1
	v_lshl_add_u64 v[4:5], v[54:55], 4, s[46:47]
	global_load_dwordx4 v[40:43], v[4:5], off
.LBB68_8:                               ;   in Loop: Header=BB68_4 Depth=1
	s_or_b64 exec, exec, s[0:1]
	v_lshl_add_u64 v[52:53], v[56:57], 0, s[62:63]
	v_cmp_gt_u64_e64 s[38:39], s[60:61], v[52:53]
	v_mov_b64_e32 v[38:39], 0
	v_mov_b64_e32 v[46:47], 0
	;; [unrolled: 1-line block ×3, first 2 shown]
	s_and_saveexec_b64 s[0:1], s[38:39]
	s_cbranch_execz .LBB68_10
; %bb.9:                                ;   in Loop: Header=BB68_4 Depth=1
	v_lshl_add_u64 v[4:5], v[52:53], 4, s[46:47]
	global_load_dwordx4 v[44:47], v[4:5], off
.LBB68_10:                              ;   in Loop: Header=BB68_4 Depth=1
	s_or_b64 exec, exec, s[0:1]
	v_lshl_add_u64 v[50:51], v[56:57], 0, s[64:65]
	v_cmp_gt_u64_e64 s[36:37], s[60:61], v[50:51]
	v_mov_b64_e32 v[36:37], 0
	s_and_saveexec_b64 s[0:1], s[36:37]
	s_cbranch_execnz .LBB68_15
; %bb.11:                               ;   in Loop: Header=BB68_4 Depth=1
	s_or_b64 exec, exec, s[0:1]
	s_and_saveexec_b64 s[68:69], vcc
	s_cbranch_execnz .LBB68_16
.LBB68_12:                              ;   in Loop: Header=BB68_4 Depth=1
	s_or_b64 exec, exec, s[68:69]
	s_and_saveexec_b64 s[68:69], s[44:45]
	s_cbranch_execnz .LBB68_17
.LBB68_13:                              ;   in Loop: Header=BB68_4 Depth=1
	s_or_b64 exec, exec, s[68:69]
	s_and_saveexec_b64 s[44:45], s[38:39]
	s_cbranch_execnz .LBB68_18
.LBB68_14:                              ;   in Loop: Header=BB68_4 Depth=1
	s_or_b64 exec, exec, s[44:45]
	s_and_saveexec_b64 s[38:39], s[36:37]
	s_cbranch_execz .LBB68_3
	s_branch .LBB68_19
.LBB68_15:                              ;   in Loop: Header=BB68_4 Depth=1
	v_lshl_add_u64 v[4:5], v[50:51], 4, s[46:47]
	global_load_dwordx4 v[36:39], v[4:5], off
	s_or_b64 exec, exec, s[0:1]
	s_and_saveexec_b64 s[68:69], vcc
	s_cbranch_execz .LBB68_12
.LBB68_16:                              ;   in Loop: Header=BB68_4 Depth=1
	s_getpc_b64 s[0:1]
	s_add_u32 s0, s0, _ZN2at6native12_GLOBAL__N_14pow_IdEEN3c107complexIT_EES6_S6_@rel32@lo+4
	s_addc_u32 s1, s1, _ZN2at6native12_GLOBAL__N_14pow_IdEEN3c107complexIT_EES6_S6_@rel32@hi+12
	v_mov_b32_e32 v4, s48
	v_mov_b32_e32 v5, s49
	;; [unrolled: 1-line block ×4, first 2 shown]
	s_swappc_b64 s[30:31], s[0:1]
	v_lshl_add_u64 v[4:5], v[56:57], 4, s[52:53]
	global_store_dwordx4 v[4:5], v[0:3], off
	s_or_b64 exec, exec, s[68:69]
	s_and_saveexec_b64 s[68:69], s[44:45]
	s_cbranch_execz .LBB68_13
.LBB68_17:                              ;   in Loop: Header=BB68_4 Depth=1
	s_getpc_b64 s[0:1]
	s_add_u32 s0, s0, _ZN2at6native12_GLOBAL__N_14pow_IdEEN3c107complexIT_EES6_S6_@rel32@lo+4
	s_addc_u32 s1, s1, _ZN2at6native12_GLOBAL__N_14pow_IdEEN3c107complexIT_EES6_S6_@rel32@hi+12
	s_waitcnt vmcnt(0)
	v_mov_b32_e32 v0, v40
	v_mov_b32_e32 v1, v41
	;; [unrolled: 1-line block ×8, first 2 shown]
	s_swappc_b64 s[30:31], s[0:1]
	v_lshl_add_u64 v[4:5], v[54:55], 4, s[52:53]
	global_store_dwordx4 v[4:5], v[0:3], off
	s_or_b64 exec, exec, s[68:69]
	s_and_saveexec_b64 s[44:45], s[38:39]
	s_cbranch_execz .LBB68_14
.LBB68_18:                              ;   in Loop: Header=BB68_4 Depth=1
	s_getpc_b64 s[0:1]
	s_add_u32 s0, s0, _ZN2at6native12_GLOBAL__N_14pow_IdEEN3c107complexIT_EES6_S6_@rel32@lo+4
	s_addc_u32 s1, s1, _ZN2at6native12_GLOBAL__N_14pow_IdEEN3c107complexIT_EES6_S6_@rel32@hi+12
	s_waitcnt vmcnt(0)
	v_mov_b32_e32 v0, v44
	v_mov_b32_e32 v1, v45
	;; [unrolled: 1-line block ×8, first 2 shown]
	s_swappc_b64 s[30:31], s[0:1]
	v_lshl_add_u64 v[4:5], v[52:53], 4, s[52:53]
	global_store_dwordx4 v[4:5], v[0:3], off
	s_or_b64 exec, exec, s[44:45]
	s_and_saveexec_b64 s[38:39], s[36:37]
	s_cbranch_execz .LBB68_3
.LBB68_19:                              ;   in Loop: Header=BB68_4 Depth=1
	s_getpc_b64 s[0:1]
	s_add_u32 s0, s0, _ZN2at6native12_GLOBAL__N_14pow_IdEEN3c107complexIT_EES6_S6_@rel32@lo+4
	s_addc_u32 s1, s1, _ZN2at6native12_GLOBAL__N_14pow_IdEEN3c107complexIT_EES6_S6_@rel32@hi+12
	s_waitcnt vmcnt(0)
	v_mov_b32_e32 v0, v36
	v_mov_b32_e32 v1, v37
	;; [unrolled: 1-line block ×8, first 2 shown]
	s_swappc_b64 s[30:31], s[0:1]
	v_lshl_add_u64 v[4:5], v[50:51], 4, s[52:53]
	global_store_dwordx4 v[4:5], v[0:3], off
	s_branch .LBB68_3
.LBB68_20:
	s_mov_b64 s[0:1], 0
.LBB68_21:
	s_andn2_b64 vcc, exec, s[0:1]
	s_cbranch_vccnz .LBB68_25
; %bb.22:
	v_mov_b64_e32 v[0:1], 0x10000
	v_cmp_lt_i64_e32 vcc, s[54:55], v[0:1]
	s_and_b64 s[0:1], vcc, exec
	v_mov_b32_e32 v55, 0
	s_cselect_b32 s39, s55, 0
	s_cselect_b32 s38, s54, 0x10000
	v_lshlrev_b32_e32 v54, 2, v48
	s_mov_b32 s37, 0
	v_cmp_gt_i64_e32 vcc, s[38:39], v[54:55]
	s_and_saveexec_b64 s[0:1], vcc
	s_cbranch_execz .LBB68_25
; %bb.23:
	s_load_dword s0, s[34:35], 0xc6c
	v_mov_b32_e32 v49, v55
	v_lshlrev_b32_e32 v54, 6, v48
	s_mov_b64 s[34:35], 0
	s_waitcnt lgkmcnt(0)
	s_and_b32 s36, s0, 0xffff
	s_lshl_b32 s33, s36, 6
.LBB68_24:                              ; =>This Inner Loop Header: Depth=1
	v_lshl_add_u64 v[4:5], s[46:47], 0, v[54:55]
	global_load_dwordx4 v[0:3], v[4:5], off
	global_load_dwordx4 v[36:39], v[4:5], off offset:16
	global_load_dwordx4 v[40:43], v[4:5], off offset:48
	;; [unrolled: 1-line block ×3, first 2 shown]
	s_getpc_b64 s[44:45]
	s_add_u32 s44, s44, _ZN2at6native12_GLOBAL__N_14pow_IdEEN3c107complexIT_EES6_S6_@rel32@lo+4
	s_addc_u32 s45, s45, _ZN2at6native12_GLOBAL__N_14pow_IdEEN3c107complexIT_EES6_S6_@rel32@hi+12
	v_mov_b32_e32 v4, s48
	v_mov_b32_e32 v5, s49
	v_mov_b32_e32 v6, s50
	v_mov_b32_e32 v7, s51
	s_swappc_b64 s[30:31], s[44:45]
	v_mov_b32_e32 v50, v0
	v_mov_b32_e32 v51, v1
	v_mov_b32_e32 v52, v2
	v_mov_b32_e32 v53, v3
	v_mov_b32_e32 v0, v36
	v_mov_b32_e32 v1, v37
	v_mov_b32_e32 v2, v38
	v_mov_b32_e32 v3, v39
	v_mov_b32_e32 v4, s48
	v_mov_b32_e32 v5, s49
	v_mov_b32_e32 v6, s50
	v_mov_b32_e32 v7, s51
	s_swappc_b64 s[30:31], s[44:45]
	v_mov_b32_e32 v36, v0
	v_mov_b32_e32 v37, v1
	v_mov_b32_e32 v38, v2
	v_mov_b32_e32 v39, v3
	v_mov_b32_e32 v0, v44
	v_mov_b32_e32 v1, v45
	v_mov_b32_e32 v2, v46
	v_mov_b32_e32 v3, v47
	v_mov_b32_e32 v4, s48
	v_mov_b32_e32 v5, s49
	v_mov_b32_e32 v6, s50
	v_mov_b32_e32 v7, s51
	s_swappc_b64 s[30:31], s[44:45]
	v_mov_b32_e32 v44, v0
	v_mov_b32_e32 v45, v1
	v_mov_b32_e32 v46, v2
	v_mov_b32_e32 v47, v3
	v_mov_b32_e32 v0, v40
	v_mov_b32_e32 v1, v41
	v_mov_b32_e32 v2, v42
	v_mov_b32_e32 v3, v43
	v_mov_b32_e32 v4, s48
	v_mov_b32_e32 v5, s49
	;; [unrolled: 1-line block ×4, first 2 shown]
	s_swappc_b64 s[30:31], s[44:45]
	v_lshl_add_u64 v[4:5], s[52:53], 0, v[54:55]
	s_add_u32 s52, s52, s33
	v_lshl_add_u64 v[48:49], v[48:49], 0, s[36:37]
	s_addc_u32 s53, s53, 0
	v_lshlrev_b64 v[6:7], 2, v[48:49]
	s_add_u32 s46, s46, s33
	v_cmp_le_i64_e32 vcc, s[38:39], v[6:7]
	s_addc_u32 s47, s47, 0
	s_or_b64 s[34:35], vcc, s[34:35]
	global_store_dwordx4 v[4:5], v[50:53], off
	global_store_dwordx4 v[4:5], v[36:39], off offset:16
	global_store_dwordx4 v[4:5], v[44:47], off offset:32
	;; [unrolled: 1-line block ×3, first 2 shown]
	s_andn2_b64 exec, exec, s[34:35]
	s_cbranch_execnz .LBB68_24
.LBB68_25:
	s_endpgm
	.section	.rodata,"a",@progbits
	.p2align	6, 0x0
	.amdhsa_kernel _ZN2at6native12_GLOBAL__N_125multi_tensor_apply_kernelINS1_18TensorListMetadataILi2EEENS1_21BinaryOpScalarFunctorIN3c107complexIdEELi2ELi1ELi1EEEJNS1_13power_functorIS8_EES8_EEEvT_T0_DpT1_
		.amdhsa_group_segment_fixed_size 0
		.amdhsa_private_segment_fixed_size 0
		.amdhsa_kernarg_size 3424
		.amdhsa_user_sgpr_count 2
		.amdhsa_user_sgpr_dispatch_ptr 0
		.amdhsa_user_sgpr_queue_ptr 0
		.amdhsa_user_sgpr_kernarg_segment_ptr 1
		.amdhsa_user_sgpr_dispatch_id 0
		.amdhsa_user_sgpr_kernarg_preload_length 0
		.amdhsa_user_sgpr_kernarg_preload_offset 0
		.amdhsa_user_sgpr_private_segment_size 0
		.amdhsa_uses_dynamic_stack 0
		.amdhsa_enable_private_segment 0
		.amdhsa_system_sgpr_workgroup_id_x 1
		.amdhsa_system_sgpr_workgroup_id_y 0
		.amdhsa_system_sgpr_workgroup_id_z 0
		.amdhsa_system_sgpr_workgroup_info 0
		.amdhsa_system_vgpr_workitem_id 0
		.amdhsa_next_free_vgpr 58
		.amdhsa_next_free_sgpr 70
		.amdhsa_accum_offset 60
		.amdhsa_reserve_vcc 1
		.amdhsa_float_round_mode_32 0
		.amdhsa_float_round_mode_16_64 0
		.amdhsa_float_denorm_mode_32 3
		.amdhsa_float_denorm_mode_16_64 3
		.amdhsa_dx10_clamp 1
		.amdhsa_ieee_mode 1
		.amdhsa_fp16_overflow 0
		.amdhsa_tg_split 0
		.amdhsa_exception_fp_ieee_invalid_op 0
		.amdhsa_exception_fp_denorm_src 0
		.amdhsa_exception_fp_ieee_div_zero 0
		.amdhsa_exception_fp_ieee_overflow 0
		.amdhsa_exception_fp_ieee_underflow 0
		.amdhsa_exception_fp_ieee_inexact 0
		.amdhsa_exception_int_div_zero 0
	.end_amdhsa_kernel
	.section	.text._ZN2at6native12_GLOBAL__N_125multi_tensor_apply_kernelINS1_18TensorListMetadataILi2EEENS1_21BinaryOpScalarFunctorIN3c107complexIdEELi2ELi1ELi1EEEJNS1_13power_functorIS8_EES8_EEEvT_T0_DpT1_,"axG",@progbits,_ZN2at6native12_GLOBAL__N_125multi_tensor_apply_kernelINS1_18TensorListMetadataILi2EEENS1_21BinaryOpScalarFunctorIN3c107complexIdEELi2ELi1ELi1EEEJNS1_13power_functorIS8_EES8_EEEvT_T0_DpT1_,comdat
.Lfunc_end68:
	.size	_ZN2at6native12_GLOBAL__N_125multi_tensor_apply_kernelINS1_18TensorListMetadataILi2EEENS1_21BinaryOpScalarFunctorIN3c107complexIdEELi2ELi1ELi1EEEJNS1_13power_functorIS8_EES8_EEEvT_T0_DpT1_, .Lfunc_end68-_ZN2at6native12_GLOBAL__N_125multi_tensor_apply_kernelINS1_18TensorListMetadataILi2EEENS1_21BinaryOpScalarFunctorIN3c107complexIdEELi2ELi1ELi1EEEJNS1_13power_functorIS8_EES8_EEEvT_T0_DpT1_
                                        ; -- End function
	.set _ZN2at6native12_GLOBAL__N_125multi_tensor_apply_kernelINS1_18TensorListMetadataILi2EEENS1_21BinaryOpScalarFunctorIN3c107complexIdEELi2ELi1ELi1EEEJNS1_13power_functorIS8_EES8_EEEvT_T0_DpT1_.num_vgpr, max(58, .L_ZN2at6native12_GLOBAL__N_14pow_IdEEN3c107complexIT_EES6_S6_.num_vgpr)
	.set _ZN2at6native12_GLOBAL__N_125multi_tensor_apply_kernelINS1_18TensorListMetadataILi2EEENS1_21BinaryOpScalarFunctorIN3c107complexIdEELi2ELi1ELi1EEEJNS1_13power_functorIS8_EES8_EEEvT_T0_DpT1_.num_agpr, max(0, .L_ZN2at6native12_GLOBAL__N_14pow_IdEEN3c107complexIT_EES6_S6_.num_agpr)
	.set _ZN2at6native12_GLOBAL__N_125multi_tensor_apply_kernelINS1_18TensorListMetadataILi2EEENS1_21BinaryOpScalarFunctorIN3c107complexIdEELi2ELi1ELi1EEEJNS1_13power_functorIS8_EES8_EEEvT_T0_DpT1_.numbered_sgpr, max(70, .L_ZN2at6native12_GLOBAL__N_14pow_IdEEN3c107complexIT_EES6_S6_.numbered_sgpr)
	.set _ZN2at6native12_GLOBAL__N_125multi_tensor_apply_kernelINS1_18TensorListMetadataILi2EEENS1_21BinaryOpScalarFunctorIN3c107complexIdEELi2ELi1ELi1EEEJNS1_13power_functorIS8_EES8_EEEvT_T0_DpT1_.num_named_barrier, max(0, .L_ZN2at6native12_GLOBAL__N_14pow_IdEEN3c107complexIT_EES6_S6_.num_named_barrier)
	.set _ZN2at6native12_GLOBAL__N_125multi_tensor_apply_kernelINS1_18TensorListMetadataILi2EEENS1_21BinaryOpScalarFunctorIN3c107complexIdEELi2ELi1ELi1EEEJNS1_13power_functorIS8_EES8_EEEvT_T0_DpT1_.private_seg_size, 0+max(.L_ZN2at6native12_GLOBAL__N_14pow_IdEEN3c107complexIT_EES6_S6_.private_seg_size)
	.set _ZN2at6native12_GLOBAL__N_125multi_tensor_apply_kernelINS1_18TensorListMetadataILi2EEENS1_21BinaryOpScalarFunctorIN3c107complexIdEELi2ELi1ELi1EEEJNS1_13power_functorIS8_EES8_EEEvT_T0_DpT1_.uses_vcc, or(1, .L_ZN2at6native12_GLOBAL__N_14pow_IdEEN3c107complexIT_EES6_S6_.uses_vcc)
	.set _ZN2at6native12_GLOBAL__N_125multi_tensor_apply_kernelINS1_18TensorListMetadataILi2EEENS1_21BinaryOpScalarFunctorIN3c107complexIdEELi2ELi1ELi1EEEJNS1_13power_functorIS8_EES8_EEEvT_T0_DpT1_.uses_flat_scratch, or(0, .L_ZN2at6native12_GLOBAL__N_14pow_IdEEN3c107complexIT_EES6_S6_.uses_flat_scratch)
	.set _ZN2at6native12_GLOBAL__N_125multi_tensor_apply_kernelINS1_18TensorListMetadataILi2EEENS1_21BinaryOpScalarFunctorIN3c107complexIdEELi2ELi1ELi1EEEJNS1_13power_functorIS8_EES8_EEEvT_T0_DpT1_.has_dyn_sized_stack, or(0, .L_ZN2at6native12_GLOBAL__N_14pow_IdEEN3c107complexIT_EES6_S6_.has_dyn_sized_stack)
	.set _ZN2at6native12_GLOBAL__N_125multi_tensor_apply_kernelINS1_18TensorListMetadataILi2EEENS1_21BinaryOpScalarFunctorIN3c107complexIdEELi2ELi1ELi1EEEJNS1_13power_functorIS8_EES8_EEEvT_T0_DpT1_.has_recursion, or(0, .L_ZN2at6native12_GLOBAL__N_14pow_IdEEN3c107complexIT_EES6_S6_.has_recursion)
	.set _ZN2at6native12_GLOBAL__N_125multi_tensor_apply_kernelINS1_18TensorListMetadataILi2EEENS1_21BinaryOpScalarFunctorIN3c107complexIdEELi2ELi1ELi1EEEJNS1_13power_functorIS8_EES8_EEEvT_T0_DpT1_.has_indirect_call, or(0, .L_ZN2at6native12_GLOBAL__N_14pow_IdEEN3c107complexIT_EES6_S6_.has_indirect_call)
	.section	.AMDGPU.csdata,"",@progbits
; Kernel info:
; codeLenInByte = 1352
; TotalNumSgprs: 76
; NumVgprs: 58
; NumAgprs: 0
; TotalNumVgprs: 58
; ScratchSize: 0
; MemoryBound: 1
; FloatMode: 240
; IeeeMode: 1
; LDSByteSize: 0 bytes/workgroup (compile time only)
; SGPRBlocks: 9
; VGPRBlocks: 7
; NumSGPRsForWavesPerEU: 76
; NumVGPRsForWavesPerEU: 58
; AccumOffset: 60
; Occupancy: 8
; WaveLimiterHint : 0
; COMPUTE_PGM_RSRC2:SCRATCH_EN: 0
; COMPUTE_PGM_RSRC2:USER_SGPR: 2
; COMPUTE_PGM_RSRC2:TRAP_HANDLER: 0
; COMPUTE_PGM_RSRC2:TGID_X_EN: 1
; COMPUTE_PGM_RSRC2:TGID_Y_EN: 0
; COMPUTE_PGM_RSRC2:TGID_Z_EN: 0
; COMPUTE_PGM_RSRC2:TIDIG_COMP_CNT: 0
; COMPUTE_PGM_RSRC3_GFX90A:ACCUM_OFFSET: 14
; COMPUTE_PGM_RSRC3_GFX90A:TG_SPLIT: 0
	.section	.text._ZN2at6native12_GLOBAL__N_125multi_tensor_apply_kernelINS1_18TensorListMetadataILi2EEENS1_21BinaryOpScalarFunctorIN3c107complexIfEELi2ELi1ELi1EEEJNS1_13power_functorIS8_EES8_EEEvT_T0_DpT1_,"axG",@progbits,_ZN2at6native12_GLOBAL__N_125multi_tensor_apply_kernelINS1_18TensorListMetadataILi2EEENS1_21BinaryOpScalarFunctorIN3c107complexIfEELi2ELi1ELi1EEEJNS1_13power_functorIS8_EES8_EEEvT_T0_DpT1_,comdat
	.globl	_ZN2at6native12_GLOBAL__N_125multi_tensor_apply_kernelINS1_18TensorListMetadataILi2EEENS1_21BinaryOpScalarFunctorIN3c107complexIfEELi2ELi1ELi1EEEJNS1_13power_functorIS8_EES8_EEEvT_T0_DpT1_ ; -- Begin function _ZN2at6native12_GLOBAL__N_125multi_tensor_apply_kernelINS1_18TensorListMetadataILi2EEENS1_21BinaryOpScalarFunctorIN3c107complexIfEELi2ELi1ELi1EEEJNS1_13power_functorIS8_EES8_EEEvT_T0_DpT1_
	.p2align	8
	.type	_ZN2at6native12_GLOBAL__N_125multi_tensor_apply_kernelINS1_18TensorListMetadataILi2EEENS1_21BinaryOpScalarFunctorIN3c107complexIfEELi2ELi1ELi1EEEJNS1_13power_functorIS8_EES8_EEEvT_T0_DpT1_,@function
_ZN2at6native12_GLOBAL__N_125multi_tensor_apply_kernelINS1_18TensorListMetadataILi2EEENS1_21BinaryOpScalarFunctorIN3c107complexIfEELi2ELi1ELi1EEEJNS1_13power_functorIS8_EES8_EEEvT_T0_DpT1_: ; @_ZN2at6native12_GLOBAL__N_125multi_tensor_apply_kernelINS1_18TensorListMetadataILi2EEENS1_21BinaryOpScalarFunctorIN3c107complexIfEELi2ELi1ELi1EEEJNS1_13power_functorIS8_EES8_EEEvT_T0_DpT1_
; %bb.0:
	v_mov_b32_e32 v22, v0
	v_mov_b32_e32 v0, s2
	global_load_ubyte v0, v0, s[0:1] offset:1536
	s_mov_b64 s[22:23], s[0:1]
	s_add_u32 s0, s22, s2
	s_mul_hi_u32 s1, s2, 3
	s_mul_i32 s2, s2, 3
	s_addc_u32 s3, s23, 0
	s_add_u32 s0, s0, s2
	s_addc_u32 s1, s3, s1
	s_load_dword s0, s[0:1], 0x740
	s_mov_b32 s3, 0
	s_mov_b32 s5, s3
	;; [unrolled: 1-line block ×3, first 2 shown]
	s_waitcnt lgkmcnt(0)
	s_ashr_i32 s1, s0, 31
	s_lshl_b64 s[12:13], s[0:1], 19
	s_waitcnt vmcnt(0)
	v_readfirstlane_b32 s2, v0
	s_lshl_b32 s2, s2, 3
	s_load_dwordx2 s[6:7], s[22:23], s2 offset:0x0
	s_load_dwordx2 s[36:37], s[22:23], 0xc50
	s_load_dwordx2 s[8:9], s[22:23], s2 offset:0x400
	s_load_dwordx2 s[10:11], s[22:23], s2 offset:0x200
	s_waitcnt lgkmcnt(0)
	s_add_u32 s38, s6, s12
	s_addc_u32 s39, s7, s13
	s_and_b32 s2, s38, 31
	s_add_u32 s40, s10, s12
	s_addc_u32 s41, s11, s13
	s_and_b32 s4, s40, 31
	s_lshl_b64 s[0:1], s[0:1], 16
	s_sub_u32 s42, s8, s0
	s_subb_u32 s43, s9, s1
	s_and_b32 s0, s8, 3
	s_mov_b32 s1, s3
	s_or_b64 s[0:1], s[4:5], s[0:1]
	s_or_b64 s[0:1], s[0:1], s[2:3]
	s_cmp_eq_u64 s[0:1], 0
	s_mov_b64 s[0:1], -1
	s_cbranch_scc1 .LBB69_19
; %bb.1:
	v_cmp_lt_i64_e64 s[0:1], s[42:43], 1
	s_and_b64 vcc, exec, s[0:1]
	s_cbranch_vccnz .LBB69_18
; %bb.2:
	s_mov_b64 s[0:1], src_private_base
	s_load_dword s0, s[22:23], 0xc64
	v_mov_b64_e32 v[0:1], 0x10000
	v_cmp_lt_i64_e32 vcc, s[42:43], v[0:1]
	s_and_b64 s[2:3], vcc, exec
	s_cselect_b32 s3, s43, 0
	s_cselect_b32 s2, s42, 0x10000
	s_waitcnt lgkmcnt(0)
	s_and_b32 s44, s0, 0xffff
	v_cmp_lt_u64_e32 vcc, s[42:43], v[0:1]
	s_mov_b32 s45, 0
	v_mov_b32_e32 v23, 0
	s_and_b64 s[4:5], vcc, exec
	s_cselect_b32 s47, s43, 0
	s_cselect_b32 s46, s42, 0x10000
	s_lshl_b32 s48, s44, 1
	s_mov_b32 s49, s45
	s_mul_i32 s50, s44, 3
	s_mov_b32 s51, s45
	s_lshl_b32 s33, s44, 2
	s_mov_b64 s[52:53], 0
	v_mov_b32_e32 v42, v23
	v_mov_b32_e32 v43, v23
	;; [unrolled: 1-line block ×4, first 2 shown]
	v_mov_b64_e32 v[30:31], s[2:3]
	s_branch .LBB69_4
.LBB69_3:                               ;   in Loop: Header=BB69_4 Depth=1
	s_or_b64 exec, exec, s[0:1]
	s_add_u32 s52, s52, s33
	s_addc_u32 s53, s53, 0
	v_cmp_lt_i64_e32 vcc, s[52:53], v[30:31]
	s_cbranch_vccz .LBB69_18
.LBB69_4:                               ; =>This Inner Loop Header: Depth=1
	v_lshl_add_u64 v[38:39], s[52:53], 0, v[22:23]
	v_cmp_gt_u64_e64 s[34:35], s[46:47], v[38:39]
	v_mov_b32_e32 v28, 0
	v_mov_b32_e32 v29, 0
	s_and_saveexec_b64 s[0:1], s[34:35]
	s_cbranch_execz .LBB69_6
; %bb.5:                                ;   in Loop: Header=BB69_4 Depth=1
	v_lshl_add_u64 v[0:1], v[38:39], 3, s[38:39]
	global_load_dwordx2 v[28:29], v[0:1], off
.LBB69_6:                               ;   in Loop: Header=BB69_4 Depth=1
	s_or_b64 exec, exec, s[0:1]
	v_lshl_add_u64 v[36:37], v[38:39], 0, s[44:45]
	v_cmp_gt_u64_e64 s[28:29], s[46:47], v[36:37]
	v_mov_b32_e32 v26, 0
	v_mov_b32_e32 v27, 0
	s_and_saveexec_b64 s[0:1], s[28:29]
	s_cbranch_execz .LBB69_8
; %bb.7:                                ;   in Loop: Header=BB69_4 Depth=1
	v_lshl_add_u64 v[0:1], v[36:37], 3, s[38:39]
	global_load_dwordx2 v[26:27], v[0:1], off
.LBB69_8:                               ;   in Loop: Header=BB69_4 Depth=1
	s_or_b64 exec, exec, s[0:1]
	v_lshl_add_u64 v[32:33], v[38:39], 0, s[48:49]
	v_cmp_gt_u64_e64 s[26:27], s[46:47], v[32:33]
	v_mov_b64_e32 v[24:25], 0
	s_and_saveexec_b64 s[0:1], s[26:27]
	s_cbranch_execz .LBB69_10
; %bb.9:                                ;   in Loop: Header=BB69_4 Depth=1
	v_lshl_add_u64 v[0:1], v[32:33], 3, s[38:39]
	global_load_dwordx2 v[24:25], v[0:1], off
.LBB69_10:                              ;   in Loop: Header=BB69_4 Depth=1
	s_or_b64 exec, exec, s[0:1]
	v_lshl_add_u64 v[34:35], v[38:39], 0, s[50:51]
	v_lshl_add_u64 v[0:1], v[34:35], 3, s[38:39]
	v_cmp_gt_u64_e64 s[24:25], s[46:47], v[34:35]
	scratch_store_dwordx2 off, v[42:43], off
	s_getpc_b64 s[54:55]
	s_add_u32 s54, s54, _ZN2at6native12_GLOBAL__N_14pow_IfEEN3c107complexIT_EES6_S6_@rel32@lo+4
	s_addc_u32 s55, s55, _ZN2at6native12_GLOBAL__N_14pow_IfEEN3c107complexIT_EES6_S6_@rel32@hi+12
	v_cndmask_b32_e64 v1, v21, v1, s[24:25]
	v_cndmask_b32_e64 v0, v40, v0, s[24:25]
	flat_load_dwordx2 v[0:1], v[0:1]
	v_mov_b32_e32 v2, s36
	v_mov_b32_e32 v3, s37
	s_swappc_b64 s[30:31], s[54:55]
	scratch_store_dwordx2 off, v[0:1], off
	s_and_saveexec_b64 s[56:57], s[34:35]
	s_cbranch_execnz .LBB69_14
; %bb.11:                               ;   in Loop: Header=BB69_4 Depth=1
	s_or_b64 exec, exec, s[56:57]
	s_and_saveexec_b64 s[34:35], s[28:29]
	s_cbranch_execnz .LBB69_15
.LBB69_12:                              ;   in Loop: Header=BB69_4 Depth=1
	s_or_b64 exec, exec, s[34:35]
	s_and_saveexec_b64 s[28:29], s[26:27]
	s_cbranch_execnz .LBB69_16
.LBB69_13:                              ;   in Loop: Header=BB69_4 Depth=1
	s_or_b64 exec, exec, s[28:29]
	s_and_saveexec_b64 s[0:1], s[24:25]
	s_cbranch_execz .LBB69_3
	s_branch .LBB69_17
.LBB69_14:                              ;   in Loop: Header=BB69_4 Depth=1
	v_mov_b32_e32 v0, v28
	v_mov_b32_e32 v1, v29
	;; [unrolled: 1-line block ×4, first 2 shown]
	s_swappc_b64 s[30:31], s[54:55]
	v_lshl_add_u64 v[2:3], v[38:39], 3, s[40:41]
	global_store_dwordx2 v[2:3], v[0:1], off
	s_or_b64 exec, exec, s[56:57]
	s_and_saveexec_b64 s[34:35], s[28:29]
	s_cbranch_execz .LBB69_12
.LBB69_15:                              ;   in Loop: Header=BB69_4 Depth=1
	s_getpc_b64 s[0:1]
	s_add_u32 s0, s0, _ZN2at6native12_GLOBAL__N_14pow_IfEEN3c107complexIT_EES6_S6_@rel32@lo+4
	s_addc_u32 s1, s1, _ZN2at6native12_GLOBAL__N_14pow_IfEEN3c107complexIT_EES6_S6_@rel32@hi+12
	v_mov_b32_e32 v0, v26
	v_mov_b32_e32 v1, v27
	;; [unrolled: 1-line block ×4, first 2 shown]
	s_swappc_b64 s[30:31], s[0:1]
	v_lshl_add_u64 v[2:3], v[36:37], 3, s[40:41]
	global_store_dwordx2 v[2:3], v[0:1], off
	s_or_b64 exec, exec, s[34:35]
	s_and_saveexec_b64 s[28:29], s[26:27]
	s_cbranch_execz .LBB69_13
.LBB69_16:                              ;   in Loop: Header=BB69_4 Depth=1
	s_getpc_b64 s[0:1]
	s_add_u32 s0, s0, _ZN2at6native12_GLOBAL__N_14pow_IfEEN3c107complexIT_EES6_S6_@rel32@lo+4
	s_addc_u32 s1, s1, _ZN2at6native12_GLOBAL__N_14pow_IfEEN3c107complexIT_EES6_S6_@rel32@hi+12
	v_mov_b32_e32 v0, v24
	v_mov_b32_e32 v1, v25
	;; [unrolled: 1-line block ×4, first 2 shown]
	s_swappc_b64 s[30:31], s[0:1]
	v_lshl_add_u64 v[2:3], v[32:33], 3, s[40:41]
	global_store_dwordx2 v[2:3], v[0:1], off
	s_or_b64 exec, exec, s[28:29]
	s_and_saveexec_b64 s[0:1], s[24:25]
	s_cbranch_execz .LBB69_3
.LBB69_17:                              ;   in Loop: Header=BB69_4 Depth=1
	scratch_load_dwordx2 v[0:1], off, off
	v_lshl_add_u64 v[2:3], v[34:35], 3, s[40:41]
	s_waitcnt vmcnt(0)
	global_store_dwordx2 v[2:3], v[0:1], off
	s_branch .LBB69_3
.LBB69_18:
	s_mov_b64 s[0:1], 0
.LBB69_19:
	s_andn2_b64 vcc, exec, s[0:1]
	s_cbranch_vccnz .LBB69_23
; %bb.20:
	v_mov_b64_e32 v[0:1], 0x10000
	v_cmp_lt_i64_e32 vcc, s[42:43], v[0:1]
	s_and_b64 s[0:1], vcc, exec
	v_mov_b32_e32 v33, 0
	s_cselect_b32 s27, s43, 0
	s_cselect_b32 s26, s42, 0x10000
	v_lshlrev_b32_e32 v32, 2, v22
	s_mov_b32 s25, 0
	v_cmp_gt_i64_e32 vcc, s[26:27], v[32:33]
	s_and_saveexec_b64 s[0:1], vcc
	s_cbranch_execz .LBB69_23
; %bb.21:
	s_load_dword s0, s[22:23], 0xc64
	v_mov_b32_e32 v23, v33
	v_lshlrev_b32_e32 v32, 5, v22
	s_mov_b64 s[22:23], 0
	s_waitcnt lgkmcnt(0)
	s_and_b32 s24, s0, 0xffff
	s_lshl_b32 s28, s24, 5
.LBB69_22:                              ; =>This Inner Loop Header: Depth=1
	v_lshl_add_u64 v[0:1], s[38:39], 0, v[32:33]
	global_load_dwordx4 v[24:27], v[0:1], off
	global_load_dwordx4 v[28:31], v[0:1], off offset:16
	s_getpc_b64 s[34:35]
	s_add_u32 s34, s34, _ZN2at6native12_GLOBAL__N_14pow_IfEEN3c107complexIT_EES6_S6_@rel32@lo+4
	s_addc_u32 s35, s35, _ZN2at6native12_GLOBAL__N_14pow_IfEEN3c107complexIT_EES6_S6_@rel32@hi+12
	v_mov_b32_e32 v2, s36
	v_mov_b32_e32 v3, s37
	s_waitcnt vmcnt(1)
	v_mov_b32_e32 v0, v24
	v_mov_b32_e32 v1, v25
	s_swappc_b64 s[30:31], s[34:35]
	v_mov_b32_e32 v24, v0
	v_mov_b32_e32 v25, v1
	v_mov_b32_e32 v0, v26
	v_mov_b32_e32 v1, v27
	v_mov_b32_e32 v2, s36
	v_mov_b32_e32 v3, s37
	s_swappc_b64 s[30:31], s[34:35]
	v_mov_b32_e32 v26, v0
	v_mov_b32_e32 v27, v1
	v_mov_b32_e32 v0, v28
	v_mov_b32_e32 v1, v29
	;; [unrolled: 7-line block ×3, first 2 shown]
	v_mov_b32_e32 v2, s36
	v_mov_b32_e32 v3, s37
	s_swappc_b64 s[30:31], s[34:35]
	v_mov_b32_e32 v30, v0
	v_mov_b32_e32 v31, v1
	v_lshl_add_u64 v[0:1], s[40:41], 0, v[32:33]
	s_add_u32 s40, s40, s28
	v_lshl_add_u64 v[22:23], v[22:23], 0, s[24:25]
	s_addc_u32 s41, s41, 0
	v_lshlrev_b64 v[2:3], 2, v[22:23]
	s_add_u32 s38, s38, s28
	v_cmp_le_i64_e32 vcc, s[26:27], v[2:3]
	s_addc_u32 s39, s39, 0
	s_or_b64 s[22:23], vcc, s[22:23]
	scratch_store_dwordx2 off, v[30:31], off
	global_store_dwordx4 v[0:1], v[24:27], off
	global_store_dwordx4 v[0:1], v[28:31], off offset:16
	s_andn2_b64 exec, exec, s[22:23]
	s_cbranch_execnz .LBB69_22
.LBB69_23:
	s_endpgm
	.section	.rodata,"a",@progbits
	.p2align	6, 0x0
	.amdhsa_kernel _ZN2at6native12_GLOBAL__N_125multi_tensor_apply_kernelINS1_18TensorListMetadataILi2EEENS1_21BinaryOpScalarFunctorIN3c107complexIfEELi2ELi1ELi1EEEJNS1_13power_functorIS8_EES8_EEEvT_T0_DpT1_
		.amdhsa_group_segment_fixed_size 0
		.amdhsa_private_segment_fixed_size 16
		.amdhsa_kernarg_size 3416
		.amdhsa_user_sgpr_count 2
		.amdhsa_user_sgpr_dispatch_ptr 0
		.amdhsa_user_sgpr_queue_ptr 0
		.amdhsa_user_sgpr_kernarg_segment_ptr 1
		.amdhsa_user_sgpr_dispatch_id 0
		.amdhsa_user_sgpr_kernarg_preload_length 0
		.amdhsa_user_sgpr_kernarg_preload_offset 0
		.amdhsa_user_sgpr_private_segment_size 0
		.amdhsa_uses_dynamic_stack 0
		.amdhsa_enable_private_segment 1
		.amdhsa_system_sgpr_workgroup_id_x 1
		.amdhsa_system_sgpr_workgroup_id_y 0
		.amdhsa_system_sgpr_workgroup_id_z 0
		.amdhsa_system_sgpr_workgroup_info 0
		.amdhsa_system_vgpr_workitem_id 0
		.amdhsa_next_free_vgpr 44
		.amdhsa_next_free_sgpr 58
		.amdhsa_accum_offset 44
		.amdhsa_reserve_vcc 1
		.amdhsa_float_round_mode_32 0
		.amdhsa_float_round_mode_16_64 0
		.amdhsa_float_denorm_mode_32 3
		.amdhsa_float_denorm_mode_16_64 3
		.amdhsa_dx10_clamp 1
		.amdhsa_ieee_mode 1
		.amdhsa_fp16_overflow 0
		.amdhsa_tg_split 0
		.amdhsa_exception_fp_ieee_invalid_op 0
		.amdhsa_exception_fp_denorm_src 0
		.amdhsa_exception_fp_ieee_div_zero 0
		.amdhsa_exception_fp_ieee_overflow 0
		.amdhsa_exception_fp_ieee_underflow 0
		.amdhsa_exception_fp_ieee_inexact 0
		.amdhsa_exception_int_div_zero 0
	.end_amdhsa_kernel
	.section	.text._ZN2at6native12_GLOBAL__N_125multi_tensor_apply_kernelINS1_18TensorListMetadataILi2EEENS1_21BinaryOpScalarFunctorIN3c107complexIfEELi2ELi1ELi1EEEJNS1_13power_functorIS8_EES8_EEEvT_T0_DpT1_,"axG",@progbits,_ZN2at6native12_GLOBAL__N_125multi_tensor_apply_kernelINS1_18TensorListMetadataILi2EEENS1_21BinaryOpScalarFunctorIN3c107complexIfEELi2ELi1ELi1EEEJNS1_13power_functorIS8_EES8_EEEvT_T0_DpT1_,comdat
.Lfunc_end69:
	.size	_ZN2at6native12_GLOBAL__N_125multi_tensor_apply_kernelINS1_18TensorListMetadataILi2EEENS1_21BinaryOpScalarFunctorIN3c107complexIfEELi2ELi1ELi1EEEJNS1_13power_functorIS8_EES8_EEEvT_T0_DpT1_, .Lfunc_end69-_ZN2at6native12_GLOBAL__N_125multi_tensor_apply_kernelINS1_18TensorListMetadataILi2EEENS1_21BinaryOpScalarFunctorIN3c107complexIfEELi2ELi1ELi1EEEJNS1_13power_functorIS8_EES8_EEEvT_T0_DpT1_
                                        ; -- End function
	.set _ZN2at6native12_GLOBAL__N_125multi_tensor_apply_kernelINS1_18TensorListMetadataILi2EEENS1_21BinaryOpScalarFunctorIN3c107complexIfEELi2ELi1ELi1EEEJNS1_13power_functorIS8_EES8_EEEvT_T0_DpT1_.num_vgpr, max(44, .L_ZN2at6native12_GLOBAL__N_14pow_IfEEN3c107complexIT_EES6_S6_.num_vgpr)
	.set _ZN2at6native12_GLOBAL__N_125multi_tensor_apply_kernelINS1_18TensorListMetadataILi2EEENS1_21BinaryOpScalarFunctorIN3c107complexIfEELi2ELi1ELi1EEEJNS1_13power_functorIS8_EES8_EEEvT_T0_DpT1_.num_agpr, max(0, .L_ZN2at6native12_GLOBAL__N_14pow_IfEEN3c107complexIT_EES6_S6_.num_agpr)
	.set _ZN2at6native12_GLOBAL__N_125multi_tensor_apply_kernelINS1_18TensorListMetadataILi2EEENS1_21BinaryOpScalarFunctorIN3c107complexIfEELi2ELi1ELi1EEEJNS1_13power_functorIS8_EES8_EEEvT_T0_DpT1_.numbered_sgpr, max(58, .L_ZN2at6native12_GLOBAL__N_14pow_IfEEN3c107complexIT_EES6_S6_.numbered_sgpr)
	.set _ZN2at6native12_GLOBAL__N_125multi_tensor_apply_kernelINS1_18TensorListMetadataILi2EEENS1_21BinaryOpScalarFunctorIN3c107complexIfEELi2ELi1ELi1EEEJNS1_13power_functorIS8_EES8_EEEvT_T0_DpT1_.num_named_barrier, max(0, .L_ZN2at6native12_GLOBAL__N_14pow_IfEEN3c107complexIT_EES6_S6_.num_named_barrier)
	.set _ZN2at6native12_GLOBAL__N_125multi_tensor_apply_kernelINS1_18TensorListMetadataILi2EEENS1_21BinaryOpScalarFunctorIN3c107complexIfEELi2ELi1ELi1EEEJNS1_13power_functorIS8_EES8_EEEvT_T0_DpT1_.private_seg_size, 16+max(.L_ZN2at6native12_GLOBAL__N_14pow_IfEEN3c107complexIT_EES6_S6_.private_seg_size)
	.set _ZN2at6native12_GLOBAL__N_125multi_tensor_apply_kernelINS1_18TensorListMetadataILi2EEENS1_21BinaryOpScalarFunctorIN3c107complexIfEELi2ELi1ELi1EEEJNS1_13power_functorIS8_EES8_EEEvT_T0_DpT1_.uses_vcc, or(1, .L_ZN2at6native12_GLOBAL__N_14pow_IfEEN3c107complexIT_EES6_S6_.uses_vcc)
	.set _ZN2at6native12_GLOBAL__N_125multi_tensor_apply_kernelINS1_18TensorListMetadataILi2EEENS1_21BinaryOpScalarFunctorIN3c107complexIfEELi2ELi1ELi1EEEJNS1_13power_functorIS8_EES8_EEEvT_T0_DpT1_.uses_flat_scratch, or(0, .L_ZN2at6native12_GLOBAL__N_14pow_IfEEN3c107complexIT_EES6_S6_.uses_flat_scratch)
	.set _ZN2at6native12_GLOBAL__N_125multi_tensor_apply_kernelINS1_18TensorListMetadataILi2EEENS1_21BinaryOpScalarFunctorIN3c107complexIfEELi2ELi1ELi1EEEJNS1_13power_functorIS8_EES8_EEEvT_T0_DpT1_.has_dyn_sized_stack, or(0, .L_ZN2at6native12_GLOBAL__N_14pow_IfEEN3c107complexIT_EES6_S6_.has_dyn_sized_stack)
	.set _ZN2at6native12_GLOBAL__N_125multi_tensor_apply_kernelINS1_18TensorListMetadataILi2EEENS1_21BinaryOpScalarFunctorIN3c107complexIfEELi2ELi1ELi1EEEJNS1_13power_functorIS8_EES8_EEEvT_T0_DpT1_.has_recursion, or(0, .L_ZN2at6native12_GLOBAL__N_14pow_IfEEN3c107complexIT_EES6_S6_.has_recursion)
	.set _ZN2at6native12_GLOBAL__N_125multi_tensor_apply_kernelINS1_18TensorListMetadataILi2EEENS1_21BinaryOpScalarFunctorIN3c107complexIfEELi2ELi1ELi1EEEJNS1_13power_functorIS8_EES8_EEEvT_T0_DpT1_.has_indirect_call, or(0, .L_ZN2at6native12_GLOBAL__N_14pow_IfEEN3c107complexIT_EES6_S6_.has_indirect_call)
	.section	.AMDGPU.csdata,"",@progbits
; Kernel info:
; codeLenInByte = 1208
; TotalNumSgprs: 64
; NumVgprs: 44
; NumAgprs: 0
; TotalNumVgprs: 44
; ScratchSize: 16
; MemoryBound: 0
; FloatMode: 240
; IeeeMode: 1
; LDSByteSize: 0 bytes/workgroup (compile time only)
; SGPRBlocks: 7
; VGPRBlocks: 5
; NumSGPRsForWavesPerEU: 64
; NumVGPRsForWavesPerEU: 44
; AccumOffset: 44
; Occupancy: 8
; WaveLimiterHint : 0
; COMPUTE_PGM_RSRC2:SCRATCH_EN: 1
; COMPUTE_PGM_RSRC2:USER_SGPR: 2
; COMPUTE_PGM_RSRC2:TRAP_HANDLER: 0
; COMPUTE_PGM_RSRC2:TGID_X_EN: 1
; COMPUTE_PGM_RSRC2:TGID_Y_EN: 0
; COMPUTE_PGM_RSRC2:TGID_Z_EN: 0
; COMPUTE_PGM_RSRC2:TIDIG_COMP_CNT: 0
; COMPUTE_PGM_RSRC3_GFX90A:ACCUM_OFFSET: 10
; COMPUTE_PGM_RSRC3_GFX90A:TG_SPLIT: 0
	.section	.text._ZN2at6native12_GLOBAL__N_125multi_tensor_apply_kernelINS1_18TensorListMetadataILi2EEENS1_21BinaryOpScalarFunctorIN3c104HalfELi2ELi1ELi1EEEJNS1_13power_functorIfEEfEEEvT_T0_DpT1_,"axG",@progbits,_ZN2at6native12_GLOBAL__N_125multi_tensor_apply_kernelINS1_18TensorListMetadataILi2EEENS1_21BinaryOpScalarFunctorIN3c104HalfELi2ELi1ELi1EEEJNS1_13power_functorIfEEfEEEvT_T0_DpT1_,comdat
	.globl	_ZN2at6native12_GLOBAL__N_125multi_tensor_apply_kernelINS1_18TensorListMetadataILi2EEENS1_21BinaryOpScalarFunctorIN3c104HalfELi2ELi1ELi1EEEJNS1_13power_functorIfEEfEEEvT_T0_DpT1_ ; -- Begin function _ZN2at6native12_GLOBAL__N_125multi_tensor_apply_kernelINS1_18TensorListMetadataILi2EEENS1_21BinaryOpScalarFunctorIN3c104HalfELi2ELi1ELi1EEEJNS1_13power_functorIfEEfEEEvT_T0_DpT1_
	.p2align	8
	.type	_ZN2at6native12_GLOBAL__N_125multi_tensor_apply_kernelINS1_18TensorListMetadataILi2EEENS1_21BinaryOpScalarFunctorIN3c104HalfELi2ELi1ELi1EEEJNS1_13power_functorIfEEfEEEvT_T0_DpT1_,@function
_ZN2at6native12_GLOBAL__N_125multi_tensor_apply_kernelINS1_18TensorListMetadataILi2EEENS1_21BinaryOpScalarFunctorIN3c104HalfELi2ELi1ELi1EEEJNS1_13power_functorIfEEfEEEvT_T0_DpT1_: ; @_ZN2at6native12_GLOBAL__N_125multi_tensor_apply_kernelINS1_18TensorListMetadataILi2EEENS1_21BinaryOpScalarFunctorIN3c104HalfELi2ELi1ELi1EEEJNS1_13power_functorIfEEfEEEvT_T0_DpT1_
; %bb.0:
	v_mov_b32_e32 v1, s2
	global_load_ubyte v1, v1, s[0:1] offset:1536
	s_add_u32 s3, s0, s2
	s_mul_hi_u32 s4, s2, 3
	s_mul_i32 s2, s2, 3
	s_addc_u32 s5, s1, 0
	s_add_u32 s2, s3, s2
	s_addc_u32 s3, s5, s4
	s_load_dword s6, s[2:3], 0x740
	s_mov_b32 s9, 0
	s_mov_b32 s11, s9
	s_waitcnt lgkmcnt(0)
	s_ashr_i32 s7, s6, 31
	s_lshl_b64 s[18:19], s[6:7], 17
	s_waitcnt vmcnt(0)
	v_readfirstlane_b32 s2, v1
	s_lshl_b32 s8, s2, 3
	s_load_dwordx2 s[2:3], s[0:1], s8 offset:0x0
	s_load_dword s33, s[0:1], 0xc4c
	s_load_dwordx2 s[12:13], s[0:1], s8 offset:0x400
	s_load_dwordx2 s[4:5], s[0:1], s8 offset:0x200
	s_waitcnt lgkmcnt(0)
	s_add_u32 s34, s2, s18
	s_addc_u32 s35, s3, s19
	s_and_b32 s8, s34, 7
	s_add_u32 s36, s4, s18
	s_addc_u32 s37, s5, s19
	s_and_b32 s10, s36, 7
	s_lshl_b64 s[6:7], s[6:7], 16
	s_sub_u32 s16, s12, s6
	s_subb_u32 s17, s13, s7
	s_and_b32 s6, s12, 3
	s_mov_b32 s7, s9
	s_or_b64 s[6:7], s[10:11], s[6:7]
	s_or_b64 s[6:7], s[6:7], s[8:9]
	s_cmp_eq_u64 s[6:7], 0
	s_mov_b64 s[6:7], -1
	s_cbranch_scc1 .LBB70_21
; %bb.1:
	v_cmp_lt_i64_e64 s[6:7], s[16:17], 1
	s_and_b64 vcc, exec, s[6:7]
	s_cbranch_vccnz .LBB70_20
; %bb.2:
	s_load_dword s6, s[0:1], 0xc5c
	v_mov_b64_e32 v[2:3], 0x10000
	v_cmp_lt_i64_e32 vcc, s[16:17], v[2:3]
	s_and_b64 s[8:9], vcc, exec
	s_cselect_b32 s21, s17, 0
	s_cselect_b32 s20, s16, 0x10000
	s_waitcnt lgkmcnt(0)
	s_and_b32 s6, s6, 0xffff
	v_cmp_lt_u64_e32 vcc, s[16:17], v[2:3]
	s_mov_b32 s7, 0
	v_mov_b32_e32 v1, 0
	s_and_b64 s[8:9], vcc, exec
	s_cselect_b32 s23, s17, 0
	s_cselect_b32 s22, s16, 0x10000
	s_lshl_b32 s24, s6, 2
	s_mov_b32 s25, s7
	v_lshlrev_b32_e32 v12, 1, v0
	v_mov_b32_e32 v13, v1
	v_lshl_add_u64 v[18:19], v[0:1], 0, s[6:7]
	s_lshl_b32 s8, s6, 1
	s_mov_b32 s9, s7
	s_mul_i32 s10, s6, 3
	s_mov_b32 s11, s7
	v_mad_u64_u32 v[8:9], s[12:13], s6, 6, v[12:13]
	v_lshl_add_u64 v[14:15], s[24:25], 0, v[12:13]
	v_lshlrev_b32_e32 v22, 1, v18
	v_mov_b32_e32 v23, v1
                                        ; implicit-def: $vgpr25
	v_lshl_add_u64 v[2:3], s[2:3], 0, v[12:13]
	s_lshl_b32 s26, s6, 3
	s_mov_b32 s27, s7
	v_lshl_add_u64 v[4:5], s[4:5], 0, v[12:13]
	v_lshl_add_u64 v[6:7], s[2:3], 0, v[8:9]
	;; [unrolled: 1-line block ×9, first 2 shown]
	s_mov_b64 s[28:29], 0
	s_movk_i32 s25, 0x204
	s_mov_b32 s42, 0x7f800000
	s_brev_b32 s43, -2
	s_mov_b32 s44, 0x3f2aaaab
	s_mov_b32 s45, 0x3f317218
	v_mov_b32_e32 v24, 0x3e91f4c4
	s_mov_b32 s46, 0x42b17218
	s_mov_b32 s47, 0x3fb8aa3b
	;; [unrolled: 1-line block ×3, first 2 shown]
	v_mov_b32_e32 v25, 0x7f800000
	v_mov_b32_e32 v26, 0x37000000
	;; [unrolled: 1-line block ×3, first 2 shown]
	s_branch .LBB70_4
.LBB70_3:                               ;   in Loop: Header=BB70_4 Depth=1
	s_or_b64 exec, exec, s[6:7]
	s_add_u32 s28, s28, s24
	s_addc_u32 s29, s29, 0
	s_waitcnt vmcnt(0)
	v_mov_b64_e32 v[28:29], s[20:21]
	v_cmp_lt_i64_e32 vcc, s[28:29], v[28:29]
	v_lshl_add_u64 v[2:3], v[2:3], 0, s[26:27]
	v_lshl_add_u64 v[4:5], v[4:5], 0, s[26:27]
	;; [unrolled: 1-line block ×8, first 2 shown]
	s_cbranch_vccz .LBB70_20
.LBB70_4:                               ; =>This Inner Loop Header: Depth=1
	v_lshl_add_u64 v[28:29], v[0:1], 0, s[28:29]
	v_cmp_gt_u64_e64 s[6:7], s[22:23], v[28:29]
	v_mov_b32_e32 v31, 0
	s_and_saveexec_b64 s[2:3], s[6:7]
	s_cbranch_execz .LBB70_6
; %bb.5:                                ;   in Loop: Header=BB70_4 Depth=1
	v_lshl_add_u64 v[28:29], v[2:3], 0, s[18:19]
	global_load_ushort v31, v[28:29], off
.LBB70_6:                               ;   in Loop: Header=BB70_4 Depth=1
	s_or_b64 exec, exec, s[2:3]
	v_lshl_add_u64 v[28:29], v[18:19], 0, s[28:29]
	v_cmp_gt_u64_e64 s[4:5], s[22:23], v[28:29]
	v_mov_b32_e32 v29, 0
	v_mov_b32_e32 v30, 0
	s_and_saveexec_b64 s[2:3], s[4:5]
	s_cbranch_execz .LBB70_8
; %bb.7:                                ;   in Loop: Header=BB70_4 Depth=1
	v_lshl_add_u64 v[32:33], v[20:21], 0, s[18:19]
	global_load_ushort v30, v[32:33], off
.LBB70_8:                               ;   in Loop: Header=BB70_4 Depth=1
	s_or_b64 exec, exec, s[2:3]
	v_lshl_add_u64 v[32:33], v[16:17], 0, s[28:29]
	v_cmp_gt_u64_e64 s[2:3], s[22:23], v[32:33]
	s_and_saveexec_b64 s[8:9], s[2:3]
	s_cbranch_execz .LBB70_10
; %bb.9:                                ;   in Loop: Header=BB70_4 Depth=1
	v_lshl_add_u64 v[28:29], v[12:13], 0, s[18:19]
	global_load_ushort v29, v[28:29], off
.LBB70_10:                              ;   in Loop: Header=BB70_4 Depth=1
	s_or_b64 exec, exec, s[8:9]
	v_lshl_add_u64 v[32:33], v[10:11], 0, s[28:29]
	v_cmp_gt_u64_e32 vcc, s[22:23], v[32:33]
	v_mov_b32_e32 v28, 0
	s_and_saveexec_b64 s[8:9], vcc
	s_cbranch_execnz .LBB70_15
; %bb.11:                               ;   in Loop: Header=BB70_4 Depth=1
	s_or_b64 exec, exec, s[8:9]
	s_and_saveexec_b64 s[30:31], s[6:7]
	s_cbranch_execnz .LBB70_16
.LBB70_12:                              ;   in Loop: Header=BB70_4 Depth=1
	s_or_b64 exec, exec, s[30:31]
	s_and_saveexec_b64 s[10:11], s[4:5]
	s_cbranch_execnz .LBB70_17
.LBB70_13:                              ;   in Loop: Header=BB70_4 Depth=1
	s_or_b64 exec, exec, s[10:11]
	s_and_saveexec_b64 s[8:9], s[2:3]
	s_cbranch_execnz .LBB70_18
.LBB70_14:                              ;   in Loop: Header=BB70_4 Depth=1
	s_or_b64 exec, exec, s[8:9]
	s_and_saveexec_b64 s[6:7], vcc
	s_cbranch_execz .LBB70_3
	s_branch .LBB70_19
.LBB70_15:                              ;   in Loop: Header=BB70_4 Depth=1
	v_lshl_add_u64 v[32:33], v[6:7], 0, s[18:19]
	global_load_ushort v28, v[32:33], off
	s_or_b64 exec, exec, s[8:9]
	s_and_saveexec_b64 s[30:31], s[6:7]
	s_cbranch_execz .LBB70_12
.LBB70_16:                              ;   in Loop: Header=BB70_4 Depth=1
	s_waitcnt vmcnt(0)
	v_cvt_f32_f16_e32 v33, v31
	v_mov_b32_e32 v32, s33
	v_cmp_neq_f16_e64 s[6:7], 1.0, v31
	s_nop 1
	v_cndmask_b32_e64 v31, 1.0, v32, s[6:7]
	v_cmp_neq_f32_e64 s[6:7], 0, v31
	v_cmp_gt_f32_e64 s[8:9], 0, v31
	v_trunc_f32_e32 v32, v31
	v_cndmask_b32_e64 v46, 1.0, v33, s[6:7]
	v_cmp_eq_f32_e64 s[6:7], 0, v46
	s_xor_b64 s[8:9], s[8:9], s[6:7]
	v_cndmask_b32_e64 v34, v25, 0, s[8:9]
	v_cmp_eq_f32_e64 s[8:9], v32, v31
	v_mul_f32_e32 v32, 0.5, v31
	v_trunc_f32_e32 v33, v32
	v_cmp_neq_f32_e64 s[10:11], v33, v32
	v_cvt_f64_f32_e64 v[32:33], |v46|
	v_frexp_exp_i32_f64_e32 v32, v[32:33]
	v_frexp_mant_f32_e64 v33, |v46|
	s_and_b64 s[10:11], s[8:9], s[10:11]
	v_cmp_gt_f32_e64 s[12:13], s44, v33
	v_cndmask_b32_e64 v35, 0, v46, s[10:11]
	v_bfi_b32 v47, s43, v34, v35
	v_subbrev_co_u32_e64 v32, s[14:15], 0, v32, s[12:13]
	v_cvt_f32_i32_e32 v36, v32
	v_cndmask_b32_e64 v35, 1.0, 2.0, s[12:13]
	v_mul_f32_e32 v33, v33, v35
	v_add_f32_e32 v35, 1.0, v33
	v_rcp_f32_e32 v44, v35
	v_mul_f32_e32 v32, 0x3f317218, v36
	v_fma_f32 v34, v36, s45, -v32
	v_fmac_f32_e32 v34, 0xb102e308, v36
	v_add_f32_e32 v36, -1.0, v35
	v_add_f32_e32 v37, -1.0, v33
	v_sub_f32_e32 v36, v33, v36
	v_mul_f32_e32 v33, v37, v44
	v_mul_f32_e32 v38, v35, v33
	v_fma_f32 v40, v33, v35, -v38
	v_fmac_f32_e32 v40, v33, v36
	v_add_f32_e32 v36, v38, v40
	v_sub_f32_e32 v39, v37, v36
	v_pk_add_f32 v[42:43], v[36:37], v[38:39] neg_lo:[0,1] neg_hi:[0,1]
	v_mov_b32_e32 v41, v36
	v_pk_add_f32 v[36:37], v[42:43], v[40:41] neg_lo:[0,1] neg_hi:[0,1]
	v_cmp_neq_f32_e64 s[14:15], v31, |v31|
	v_add_f32_e32 v35, v36, v37
	v_add_f32_e32 v35, v39, v35
	v_mul_f32_e32 v37, v44, v35
	v_add_f32_e32 v36, v33, v37
	v_sub_f32_e32 v33, v36, v33
	v_mul_f32_e32 v39, v36, v36
	v_sub_f32_e32 v48, v37, v33
	v_add_f32_e32 v33, v48, v48
	v_fma_f32 v37, v36, v36, -v39
	v_fmac_f32_e32 v37, v36, v33
	v_add_f32_e32 v38, v39, v37
	v_sub_f32_e32 v33, v38, v39
	v_sub_f32_e32 v33, v37, v33
	v_fmamk_f32 v37, v38, 0x3e76c4e1, v24
	v_fmaak_f32 v37, v38, v37, 0x3ecccdef
	v_mul_f32_e32 v39, v38, v37
	v_fma_f32 v40, v38, v37, -v39
	v_fmac_f32_e32 v40, v33, v37
	v_add_f32_e32 v42, v39, v40
	v_add_f32_e32 v41, 0x3f2aaaaa, v42
	v_sub_f32_e32 v37, v42, v39
	v_sub_f32_e32 v37, v40, v37
	v_add_f32_e32 v39, 0xbf2aaaaa, v41
	v_add_f32_e32 v37, 0x31739010, v37
	v_sub_f32_e32 v39, v42, v39
	v_pk_mul_f32 v[42:43], v[36:37], v[38:39]
	v_pk_add_f32 v[44:45], v[36:37], v[38:39]
	v_fma_f32 v40, v38, v36, -v42
	v_fmac_f32_e32 v40, v38, v48
	v_mov_b32_e32 v43, v45
	v_fmac_f32_e32 v40, v33, v36
	v_ldexp_f32 v35, v36, 1
	v_pk_add_f32 v[36:37], v[42:43], v[40:41]
	v_ldexp_f32 v44, v48, 1
	v_pk_mul_f32 v[38:39], v[36:37], v[36:37] op_sel:[0,1] op_sel_hi:[1,0]
	v_sub_f32_e32 v33, v36, v42
	v_sub_f32_e32 v39, v41, v37
	;; [unrolled: 1-line block ×3, first 2 shown]
	v_add_f32_e32 v39, v45, v39
	v_fma_f32 v40, v36, v37, -v38
	v_fmac_f32_e32 v40, v36, v39
	v_fmac_f32_e32 v40, v33, v37
	v_add_f32_e32 v33, v38, v40
	v_pk_add_f32 v[36:37], v[32:33], v[34:35]
	v_mov_b32_e32 v42, v33
	v_mov_b32_e32 v43, v37
	;; [unrolled: 1-line block ×3, first 2 shown]
	v_pk_add_f32 v[38:39], v[42:43], v[38:39] neg_lo:[0,1] neg_hi:[0,1]
	v_mov_b32_e32 v41, v33
	v_pk_add_f32 v[38:39], v[40:41], v[38:39] neg_lo:[0,1] neg_hi:[0,1]
	v_mov_b32_e32 v35, v36
	v_add_f32_e32 v33, v44, v38
	v_add_f32_e32 v33, v33, v39
	v_pk_add_f32 v[38:39], v[36:37], v[32:33] neg_lo:[0,1] neg_hi:[0,1]
	v_pk_add_f32 v[40:41], v[36:37], v[32:33]
	v_mov_b32_e32 v32, v33
	v_mov_b32_e32 v39, v41
	v_pk_add_f32 v[42:43], v[34:35], v[38:39] neg_lo:[0,1] neg_hi:[0,1]
	v_pk_add_f32 v[34:35], v[34:35], v[38:39]
	v_mov_b32_e32 v33, v36
	v_pk_add_f32 v[38:39], v[34:35], v[36:37] op_sel:[1,0] op_sel_hi:[0,1] neg_lo:[0,1] neg_hi:[0,1]
	v_pk_add_f32 v[44:45], v[40:41], v[38:39] op_sel_hi:[1,0] neg_lo:[0,1] neg_hi:[0,1]
	v_mov_b32_e32 v40, v41
	v_mov_b32_e32 v41, v35
	v_pk_mov_b32 v[38:39], v[36:37], v[38:39] op_sel:[1,0]
	v_mov_b32_e32 v44, v42
	v_pk_add_f32 v[38:39], v[40:41], v[38:39] neg_lo:[0,1] neg_hi:[0,1]
	v_mov_b32_e32 v43, v35
	v_pk_add_f32 v[32:33], v[32:33], v[38:39] neg_lo:[0,1] neg_hi:[0,1]
	v_cmp_lt_f32_e64 s[40:41], |v46|, 1.0
	v_pk_add_f32 v[36:37], v[44:45], v[32:33]
	v_cmp_class_f32_e64 s[38:39], v46, s25
	v_pk_add_f32 v[38:39], v[36:37], v[36:37] op_sel:[0,1] op_sel_hi:[1,0]
	s_or_b64 s[6:7], s[6:7], s[38:39]
	v_pk_add_f32 v[34:35], v[34:35], v[38:39] op_sel:[1,0] op_sel_hi:[0,1]
	v_mov_b32_e32 v37, v34
	v_pk_add_f32 v[40:41], v[36:37], v[42:43] neg_lo:[0,1] neg_hi:[0,1]
	v_mov_b32_e32 v33, v38
	v_sub_f32_e32 v35, v36, v40
	v_pk_add_f32 v[32:33], v[32:33], v[40:41] neg_lo:[0,1] neg_hi:[0,1]
	v_sub_f32_e32 v35, v42, v35
	v_add_f32_e32 v32, v32, v35
	v_add_f32_e32 v32, v32, v33
	;; [unrolled: 1-line block ×3, first 2 shown]
	v_mul_f32_e32 v35, v31, v33
	v_sub_f32_e32 v34, v33, v34
	v_sub_f32_e32 v32, v32, v34
	v_fma_f32 v33, v31, v33, -v35
	v_fmac_f32_e32 v33, v31, v32
	v_add_f32_e32 v32, v35, v33
	v_cmp_class_f32_e64 s[12:13], v35, s25
	s_nop 1
	v_cndmask_b32_e64 v34, v32, v35, s[12:13]
	v_cmp_eq_f32_e64 s[12:13], s46, v34
	v_sub_f32_e32 v32, v32, v35
	v_sub_f32_e32 v32, v33, v32
	v_cndmask_b32_e64 v36, 0, v26, s[12:13]
	v_sub_f32_e32 v37, v34, v36
	v_mul_f32_e32 v38, 0x3fb8aa3b, v37
	v_fma_f32 v39, v37, s47, -v38
	v_rndne_f32_e32 v40, v38
	v_fmac_f32_e32 v39, 0x32a5705f, v37
	v_sub_f32_e32 v38, v38, v40
	v_add_f32_e32 v38, v38, v39
	v_exp_f32_e32 v38, v38
	v_cvt_i32_f32_e32 v39, v40
	s_xor_b64 s[12:13], s[14:15], s[40:41]
	v_cndmask_b32_e64 v40, v25, 0, s[12:13]
	v_cmp_neq_f32_e64 s[12:13], |v46|, 1.0
	v_ldexp_f32 v38, v38, v39
	v_cndmask_b32_e64 v33, 1.0, v46, s[10:11]
	v_cndmask_b32_e64 v40, 1.0, v40, s[12:13]
	v_cmp_ngt_f32_e64 s[12:13], s48, v37
	s_nop 1
	v_cndmask_b32_e64 v38, 0, v38, s[12:13]
	v_cmp_nlt_f32_e64 s[12:13], s46, v37
	s_nop 1
	v_cndmask_b32_e64 v37, v25, v38, s[12:13]
	v_cmp_neq_f32_e64 s[12:13], |v34|, s42
	s_nop 1
	v_cndmask_b32_e64 v32, 0, v32, s[12:13]
	v_add_f32_e32 v32, v36, v32
	v_fma_f32 v32, v37, v32, v37
	v_cmp_class_f32_e64 s[12:13], v37, s25
	s_nop 1
	v_cndmask_b32_e64 v32, v32, v37, s[12:13]
	v_bfi_b32 v32, s43, v32, v33
	v_cndmask_b32_e64 v33, v27, v32, s[8:9]
	v_cmp_gt_f32_e64 s[8:9], 0, v46
	s_nop 1
	v_cndmask_b32_e64 v32, v32, v33, s[8:9]
	v_cmp_class_f32_e64 s[8:9], v31, s25
	s_nop 1
	v_cndmask_b32_e64 v32, v32, v40, s[8:9]
	v_cndmask_b32_e64 v32, v32, v47, s[6:7]
	v_cmp_o_f32_e64 s[6:7], v46, v31
	s_nop 1
	v_cndmask_b32_e64 v31, v27, v32, s[6:7]
	v_cvt_f16_f32_e32 v31, v31
	v_lshl_add_u64 v[32:33], v[4:5], 0, s[18:19]
	global_store_short v[32:33], v31, off
	s_or_b64 exec, exec, s[30:31]
	s_and_saveexec_b64 s[10:11], s[4:5]
	s_cbranch_execz .LBB70_13
.LBB70_17:                              ;   in Loop: Header=BB70_4 Depth=1
	s_waitcnt vmcnt(0)
	v_cvt_f32_f16_e32 v31, v30
	v_mov_b32_e32 v32, s33
	v_cmp_neq_f16_e64 s[4:5], 1.0, v30
	s_nop 1
	v_cndmask_b32_e64 v44, 1.0, v32, s[4:5]
	v_cmp_neq_f32_e64 s[4:5], 0, v44
	s_nop 1
	v_cndmask_b32_e64 v45, 1.0, v31, s[4:5]
	v_frexp_mant_f32_e64 v30, |v45|
	v_cmp_gt_f32_e64 s[4:5], s44, v30
	v_cmp_lt_f32_e64 s[8:9], |v45|, 1.0
	v_cmp_class_f32_e64 s[12:13], v45, s25
	v_cndmask_b32_e64 v31, 1.0, 2.0, s[4:5]
	v_mul_f32_e32 v30, v30, v31
	v_add_f32_e32 v33, 1.0, v30
	v_rcp_f32_e32 v38, v33
	v_add_f32_e32 v31, -1.0, v33
	v_sub_f32_e32 v35, v30, v31
	v_add_f32_e32 v31, -1.0, v30
	v_mul_f32_e32 v39, v31, v38
	v_mul_f32_e32 v32, v33, v39
	v_fma_f32 v34, v39, v33, -v32
	v_fmac_f32_e32 v34, v39, v35
	v_add_f32_e32 v30, v32, v34
	v_sub_f32_e32 v33, v31, v30
	v_pk_add_f32 v[36:37], v[30:31], v[32:33] neg_lo:[0,1] neg_hi:[0,1]
	v_mov_b32_e32 v35, v30
	v_pk_add_f32 v[30:31], v[36:37], v[34:35] neg_lo:[0,1] neg_hi:[0,1]
	s_nop 0
	v_add_f32_e32 v30, v30, v31
	v_add_f32_e32 v30, v33, v30
	v_mul_f32_e32 v31, v38, v30
	v_add_f32_e32 v30, v39, v31
	v_sub_f32_e32 v32, v30, v39
	v_sub_f32_e32 v40, v31, v32
	v_mul_f32_e32 v31, v30, v30
	v_fma_f32 v33, v30, v30, -v31
	v_add_f32_e32 v32, v40, v40
	v_fmac_f32_e32 v33, v30, v32
	v_add_f32_e32 v32, v31, v33
	v_fmamk_f32 v34, v32, 0x3e76c4e1, v24
	v_fmaak_f32 v34, v32, v34, 0x3ecccdef
	v_sub_f32_e32 v31, v32, v31
	v_sub_f32_e32 v41, v33, v31
	v_mul_f32_e32 v31, v32, v34
	v_fma_f32 v33, v32, v34, -v31
	v_fmac_f32_e32 v33, v41, v34
	v_add_f32_e32 v34, v31, v33
	v_add_f32_e32 v35, 0x3f2aaaaa, v34
	v_sub_f32_e32 v31, v34, v31
	v_sub_f32_e32 v31, v33, v31
	v_add_f32_e32 v33, 0xbf2aaaaa, v35
	v_add_f32_e32 v31, 0x31739010, v31
	v_sub_f32_e32 v33, v34, v33
	v_pk_mul_f32 v[36:37], v[30:31], v[32:33]
	v_pk_add_f32 v[38:39], v[30:31], v[32:33]
	v_fma_f32 v34, v32, v30, -v36
	v_fmac_f32_e32 v34, v32, v40
	v_mov_b32_e32 v37, v39
	v_fmac_f32_e32 v34, v41, v30
	v_pk_add_f32 v[32:33], v[36:37], v[34:35]
	v_ldexp_f32 v42, v40, 1
	v_sub_f32_e32 v31, v32, v36
	v_sub_f32_e32 v31, v34, v31
	;; [unrolled: 1-line block ×3, first 2 shown]
	v_add_f32_e32 v38, v39, v34
	v_pk_mul_f32 v[34:35], v[32:33], v[32:33] op_sel:[0,1] op_sel_hi:[1,0]
	v_cvt_f64_f32_e64 v[36:37], |v45|
	v_frexp_exp_i32_f64_e32 v35, v[36:37]
	v_subbrev_co_u32_e64 v35, s[4:5], 0, v35, s[4:5]
	v_cvt_f32_i32_e32 v35, v35
	v_fma_f32 v36, v32, v33, -v34
	v_fmac_f32_e32 v36, v32, v38
	v_fmac_f32_e32 v36, v31, v33
	v_mul_f32_e32 v32, 0x3f317218, v35
	v_fma_f32 v38, v35, s45, -v32
	v_fmac_f32_e32 v38, 0xb102e308, v35
	v_ldexp_f32 v39, v30, 1
	v_add_f32_e32 v33, v34, v36
	v_pk_add_f32 v[30:31], v[32:33], v[38:39]
	v_mov_b32_e32 v40, v33
	v_mov_b32_e32 v41, v31
	;; [unrolled: 1-line block ×3, first 2 shown]
	v_pk_add_f32 v[34:35], v[40:41], v[34:35] neg_lo:[0,1] neg_hi:[0,1]
	v_mov_b32_e32 v37, v33
	v_pk_add_f32 v[34:35], v[36:37], v[34:35] neg_lo:[0,1] neg_hi:[0,1]
	v_mov_b32_e32 v39, v30
	v_add_f32_e32 v33, v42, v34
	v_add_f32_e32 v33, v33, v35
	v_pk_add_f32 v[34:35], v[30:31], v[32:33] neg_lo:[0,1] neg_hi:[0,1]
	v_pk_add_f32 v[36:37], v[30:31], v[32:33]
	v_mov_b32_e32 v32, v33
	v_mov_b32_e32 v35, v37
	v_pk_add_f32 v[40:41], v[38:39], v[34:35] neg_lo:[0,1] neg_hi:[0,1]
	v_pk_add_f32 v[34:35], v[38:39], v[34:35]
	v_mov_b32_e32 v33, v30
	v_pk_add_f32 v[38:39], v[34:35], v[30:31] op_sel:[1,0] op_sel_hi:[0,1] neg_lo:[0,1] neg_hi:[0,1]
	v_pk_add_f32 v[42:43], v[36:37], v[38:39] op_sel_hi:[1,0] neg_lo:[0,1] neg_hi:[0,1]
	v_mov_b32_e32 v36, v37
	v_mov_b32_e32 v37, v35
	v_pk_mov_b32 v[38:39], v[30:31], v[38:39] op_sel:[1,0]
	v_mov_b32_e32 v42, v40
	v_pk_add_f32 v[36:37], v[36:37], v[38:39] neg_lo:[0,1] neg_hi:[0,1]
	v_mov_b32_e32 v41, v35
	v_pk_add_f32 v[30:31], v[32:33], v[36:37] neg_lo:[0,1] neg_hi:[0,1]
	s_nop 0
	v_pk_add_f32 v[32:33], v[42:43], v[30:31]
	s_nop 0
	v_pk_add_f32 v[36:37], v[32:33], v[32:33] op_sel:[0,1] op_sel_hi:[1,0]
	s_nop 0
	v_pk_add_f32 v[34:35], v[34:35], v[36:37] op_sel:[1,0] op_sel_hi:[0,1]
	v_mov_b32_e32 v33, v34
	v_pk_add_f32 v[38:39], v[32:33], v[40:41] neg_lo:[0,1] neg_hi:[0,1]
	v_mov_b32_e32 v31, v36
	v_sub_f32_e32 v32, v32, v38
	v_pk_add_f32 v[30:31], v[30:31], v[38:39] neg_lo:[0,1] neg_hi:[0,1]
	v_sub_f32_e32 v32, v40, v32
	v_add_f32_e32 v30, v30, v32
	v_add_f32_e32 v30, v30, v31
	;; [unrolled: 1-line block ×3, first 2 shown]
	v_sub_f32_e32 v32, v31, v34
	v_sub_f32_e32 v30, v30, v32
	v_mul_f32_e32 v32, v44, v31
	v_fma_f32 v31, v44, v31, -v32
	v_fmac_f32_e32 v31, v44, v30
	v_add_f32_e32 v30, v32, v31
	v_cmp_class_f32_e64 s[4:5], v32, s25
	v_sub_f32_e32 v33, v30, v32
	v_sub_f32_e32 v31, v31, v33
	v_cndmask_b32_e64 v30, v30, v32, s[4:5]
	v_cmp_eq_f32_e64 s[4:5], s46, v30
	s_nop 1
	v_cndmask_b32_e64 v32, 0, v26, s[4:5]
	v_sub_f32_e32 v33, v30, v32
	v_mul_f32_e32 v34, 0x3fb8aa3b, v33
	v_fma_f32 v35, v33, s47, -v34
	v_rndne_f32_e32 v36, v34
	v_fmac_f32_e32 v35, 0x32a5705f, v33
	v_sub_f32_e32 v34, v34, v36
	v_add_f32_e32 v34, v34, v35
	v_exp_f32_e32 v34, v34
	v_cvt_i32_f32_e32 v35, v36
	v_cmp_neq_f32_e64 s[4:5], |v30|, s42
	s_nop 1
	v_cndmask_b32_e64 v30, 0, v31, s[4:5]
	v_ldexp_f32 v31, v34, v35
	v_cmp_ngt_f32_e64 s[4:5], s48, v33
	v_add_f32_e32 v30, v32, v30
	s_nop 0
	v_cndmask_b32_e64 v31, 0, v31, s[4:5]
	v_cmp_nlt_f32_e64 s[4:5], s46, v33
	s_nop 1
	v_cndmask_b32_e64 v31, v25, v31, s[4:5]
	v_fma_f32 v30, v31, v30, v31
	v_cmp_class_f32_e64 s[4:5], v31, s25
	s_nop 1
	v_cndmask_b32_e64 v30, v30, v31, s[4:5]
	v_trunc_f32_e32 v31, v44
	v_cmp_eq_f32_e64 s[4:5], v31, v44
	v_mul_f32_e32 v31, 0.5, v44
	v_trunc_f32_e32 v32, v31
	v_cmp_neq_f32_e64 s[6:7], v32, v31
	s_and_b64 s[6:7], s[4:5], s[6:7]
	s_nop 0
	v_cndmask_b32_e64 v31, 1.0, v45, s[6:7]
	v_bfi_b32 v30, s43, v30, v31
	v_cndmask_b32_e64 v31, v27, v30, s[4:5]
	v_cmp_gt_f32_e64 s[4:5], 0, v45
	v_cndmask_b32_e64 v32, 0, v45, s[6:7]
	s_nop 0
	v_cndmask_b32_e64 v30, v30, v31, s[4:5]
	v_cmp_neq_f32_e64 s[4:5], v44, |v44|
	s_xor_b64 s[4:5], s[4:5], s[8:9]
	v_cmp_gt_f32_e64 s[8:9], 0, v44
	v_cndmask_b32_e64 v31, v25, 0, s[4:5]
	v_cmp_neq_f32_e64 s[4:5], |v45|, 1.0
	s_nop 1
	v_cndmask_b32_e64 v31, 1.0, v31, s[4:5]
	v_cmp_class_f32_e64 s[4:5], v44, s25
	s_nop 1
	v_cndmask_b32_e64 v30, v30, v31, s[4:5]
	v_cmp_eq_f32_e64 s[4:5], 0, v45
	s_xor_b64 s[8:9], s[8:9], s[4:5]
	v_cndmask_b32_e64 v31, v25, 0, s[8:9]
	v_bfi_b32 v31, s43, v31, v32
	s_or_b64 s[4:5], s[4:5], s[12:13]
	v_cndmask_b32_e64 v30, v30, v31, s[4:5]
	v_cmp_o_f32_e64 s[4:5], v45, v44
	s_nop 1
	v_cndmask_b32_e64 v30, v27, v30, s[4:5]
	v_cvt_f16_f32_e32 v32, v30
	v_lshl_add_u64 v[30:31], v[22:23], 0, s[18:19]
	global_store_short v[30:31], v32, off
	s_or_b64 exec, exec, s[10:11]
	s_and_saveexec_b64 s[8:9], s[2:3]
	s_cbranch_execz .LBB70_14
.LBB70_18:                              ;   in Loop: Header=BB70_4 Depth=1
	s_waitcnt vmcnt(0)
	v_cvt_f32_f16_e32 v30, v29
	v_mov_b32_e32 v31, s33
	v_cmp_neq_f16_e64 s[2:3], 1.0, v29
	s_nop 1
	v_cndmask_b32_e64 v29, 1.0, v31, s[2:3]
	v_cmp_neq_f32_e64 s[2:3], 0, v29
	s_nop 1
	v_cndmask_b32_e64 v44, 1.0, v30, s[2:3]
	v_frexp_mant_f32_e64 v30, |v44|
	v_cmp_gt_f32_e64 s[2:3], s44, v30
	v_cmp_lt_f32_e64 s[6:7], |v44|, 1.0
	v_cmp_class_f32_e64 s[10:11], v44, s25
	v_cndmask_b32_e64 v31, 1.0, 2.0, s[2:3]
	v_mul_f32_e32 v30, v30, v31
	v_add_f32_e32 v33, 1.0, v30
	v_rcp_f32_e32 v38, v33
	v_add_f32_e32 v31, -1.0, v33
	v_sub_f32_e32 v35, v30, v31
	v_add_f32_e32 v31, -1.0, v30
	v_mul_f32_e32 v39, v31, v38
	v_mul_f32_e32 v32, v33, v39
	v_fma_f32 v34, v39, v33, -v32
	v_fmac_f32_e32 v34, v39, v35
	v_add_f32_e32 v30, v32, v34
	v_sub_f32_e32 v33, v31, v30
	v_pk_add_f32 v[36:37], v[30:31], v[32:33] neg_lo:[0,1] neg_hi:[0,1]
	v_mov_b32_e32 v35, v30
	v_pk_add_f32 v[30:31], v[36:37], v[34:35] neg_lo:[0,1] neg_hi:[0,1]
	s_nop 0
	v_add_f32_e32 v30, v30, v31
	v_add_f32_e32 v30, v33, v30
	v_mul_f32_e32 v31, v38, v30
	v_add_f32_e32 v30, v39, v31
	v_sub_f32_e32 v32, v30, v39
	v_sub_f32_e32 v40, v31, v32
	v_mul_f32_e32 v31, v30, v30
	v_fma_f32 v33, v30, v30, -v31
	v_add_f32_e32 v32, v40, v40
	v_fmac_f32_e32 v33, v30, v32
	v_add_f32_e32 v32, v31, v33
	v_fmamk_f32 v34, v32, 0x3e76c4e1, v24
	v_fmaak_f32 v34, v32, v34, 0x3ecccdef
	v_sub_f32_e32 v31, v32, v31
	v_sub_f32_e32 v41, v33, v31
	v_mul_f32_e32 v31, v32, v34
	v_fma_f32 v33, v32, v34, -v31
	v_fmac_f32_e32 v33, v41, v34
	v_add_f32_e32 v34, v31, v33
	v_add_f32_e32 v35, 0x3f2aaaaa, v34
	v_sub_f32_e32 v31, v34, v31
	v_sub_f32_e32 v31, v33, v31
	v_add_f32_e32 v33, 0xbf2aaaaa, v35
	v_add_f32_e32 v31, 0x31739010, v31
	v_sub_f32_e32 v33, v34, v33
	v_pk_mul_f32 v[36:37], v[30:31], v[32:33]
	v_pk_add_f32 v[38:39], v[30:31], v[32:33]
	v_fma_f32 v34, v32, v30, -v36
	v_fmac_f32_e32 v34, v32, v40
	v_mov_b32_e32 v37, v39
	v_fmac_f32_e32 v34, v41, v30
	v_pk_add_f32 v[32:33], v[36:37], v[34:35]
	v_ldexp_f32 v42, v40, 1
	v_sub_f32_e32 v31, v32, v36
	v_sub_f32_e32 v31, v34, v31
	;; [unrolled: 1-line block ×3, first 2 shown]
	v_add_f32_e32 v38, v39, v34
	v_pk_mul_f32 v[34:35], v[32:33], v[32:33] op_sel:[0,1] op_sel_hi:[1,0]
	v_cvt_f64_f32_e64 v[36:37], |v44|
	v_frexp_exp_i32_f64_e32 v35, v[36:37]
	v_subbrev_co_u32_e64 v35, s[2:3], 0, v35, s[2:3]
	v_cvt_f32_i32_e32 v35, v35
	v_fma_f32 v36, v32, v33, -v34
	v_fmac_f32_e32 v36, v32, v38
	v_fmac_f32_e32 v36, v31, v33
	v_mul_f32_e32 v32, 0x3f317218, v35
	v_fma_f32 v38, v35, s45, -v32
	v_fmac_f32_e32 v38, 0xb102e308, v35
	v_ldexp_f32 v39, v30, 1
	v_add_f32_e32 v33, v34, v36
	v_pk_add_f32 v[30:31], v[32:33], v[38:39]
	v_mov_b32_e32 v40, v33
	v_mov_b32_e32 v41, v31
	;; [unrolled: 1-line block ×3, first 2 shown]
	v_pk_add_f32 v[34:35], v[40:41], v[34:35] neg_lo:[0,1] neg_hi:[0,1]
	v_mov_b32_e32 v37, v33
	v_pk_add_f32 v[34:35], v[36:37], v[34:35] neg_lo:[0,1] neg_hi:[0,1]
	v_mov_b32_e32 v39, v30
	v_add_f32_e32 v33, v42, v34
	v_add_f32_e32 v33, v33, v35
	v_pk_add_f32 v[34:35], v[30:31], v[32:33] neg_lo:[0,1] neg_hi:[0,1]
	v_pk_add_f32 v[36:37], v[30:31], v[32:33]
	v_mov_b32_e32 v32, v33
	v_mov_b32_e32 v35, v37
	v_pk_add_f32 v[40:41], v[38:39], v[34:35] neg_lo:[0,1] neg_hi:[0,1]
	v_pk_add_f32 v[34:35], v[38:39], v[34:35]
	v_mov_b32_e32 v33, v30
	v_pk_add_f32 v[38:39], v[34:35], v[30:31] op_sel:[1,0] op_sel_hi:[0,1] neg_lo:[0,1] neg_hi:[0,1]
	v_pk_add_f32 v[42:43], v[36:37], v[38:39] op_sel_hi:[1,0] neg_lo:[0,1] neg_hi:[0,1]
	v_mov_b32_e32 v36, v37
	v_mov_b32_e32 v37, v35
	v_pk_mov_b32 v[38:39], v[30:31], v[38:39] op_sel:[1,0]
	v_mov_b32_e32 v42, v40
	v_pk_add_f32 v[36:37], v[36:37], v[38:39] neg_lo:[0,1] neg_hi:[0,1]
	v_mov_b32_e32 v41, v35
	v_pk_add_f32 v[30:31], v[32:33], v[36:37] neg_lo:[0,1] neg_hi:[0,1]
	s_nop 0
	v_pk_add_f32 v[32:33], v[42:43], v[30:31]
	s_nop 0
	v_pk_add_f32 v[36:37], v[32:33], v[32:33] op_sel:[0,1] op_sel_hi:[1,0]
	s_nop 0
	v_pk_add_f32 v[34:35], v[34:35], v[36:37] op_sel:[1,0] op_sel_hi:[0,1]
	v_mov_b32_e32 v33, v34
	v_pk_add_f32 v[38:39], v[32:33], v[40:41] neg_lo:[0,1] neg_hi:[0,1]
	v_mov_b32_e32 v31, v36
	v_sub_f32_e32 v32, v32, v38
	v_pk_add_f32 v[30:31], v[30:31], v[38:39] neg_lo:[0,1] neg_hi:[0,1]
	v_sub_f32_e32 v32, v40, v32
	v_add_f32_e32 v30, v30, v32
	v_add_f32_e32 v30, v30, v31
	v_add_f32_e32 v31, v34, v30
	v_sub_f32_e32 v32, v31, v34
	v_sub_f32_e32 v30, v30, v32
	v_mul_f32_e32 v32, v29, v31
	v_fma_f32 v31, v29, v31, -v32
	v_fmac_f32_e32 v31, v29, v30
	v_add_f32_e32 v30, v32, v31
	v_cmp_class_f32_e64 s[2:3], v32, s25
	v_sub_f32_e32 v33, v30, v32
	v_sub_f32_e32 v31, v31, v33
	v_cndmask_b32_e64 v30, v30, v32, s[2:3]
	v_cmp_eq_f32_e64 s[2:3], s46, v30
	s_nop 1
	v_cndmask_b32_e64 v32, 0, v26, s[2:3]
	v_sub_f32_e32 v33, v30, v32
	v_mul_f32_e32 v34, 0x3fb8aa3b, v33
	v_fma_f32 v35, v33, s47, -v34
	v_rndne_f32_e32 v36, v34
	v_fmac_f32_e32 v35, 0x32a5705f, v33
	v_sub_f32_e32 v34, v34, v36
	v_add_f32_e32 v34, v34, v35
	v_exp_f32_e32 v34, v34
	v_cvt_i32_f32_e32 v35, v36
	v_cmp_neq_f32_e64 s[2:3], |v30|, s42
	s_nop 1
	v_cndmask_b32_e64 v30, 0, v31, s[2:3]
	v_ldexp_f32 v31, v34, v35
	v_cmp_ngt_f32_e64 s[2:3], s48, v33
	v_add_f32_e32 v30, v32, v30
	s_nop 0
	v_cndmask_b32_e64 v31, 0, v31, s[2:3]
	v_cmp_nlt_f32_e64 s[2:3], s46, v33
	s_nop 1
	v_cndmask_b32_e64 v31, v25, v31, s[2:3]
	v_fma_f32 v30, v31, v30, v31
	v_cmp_class_f32_e64 s[2:3], v31, s25
	s_nop 1
	v_cndmask_b32_e64 v30, v30, v31, s[2:3]
	v_trunc_f32_e32 v31, v29
	v_cmp_eq_f32_e64 s[2:3], v31, v29
	v_mul_f32_e32 v31, 0.5, v29
	v_trunc_f32_e32 v32, v31
	v_cmp_neq_f32_e64 s[4:5], v32, v31
	s_and_b64 s[4:5], s[2:3], s[4:5]
	s_nop 0
	v_cndmask_b32_e64 v31, 1.0, v44, s[4:5]
	v_bfi_b32 v30, s43, v30, v31
	v_cndmask_b32_e64 v31, v27, v30, s[2:3]
	v_cmp_gt_f32_e64 s[2:3], 0, v44
	v_cndmask_b32_e64 v32, 0, v44, s[4:5]
	s_nop 0
	v_cndmask_b32_e64 v30, v30, v31, s[2:3]
	v_cmp_neq_f32_e64 s[2:3], v29, |v29|
	s_xor_b64 s[2:3], s[2:3], s[6:7]
	v_cmp_gt_f32_e64 s[6:7], 0, v29
	v_cndmask_b32_e64 v31, v25, 0, s[2:3]
	v_cmp_neq_f32_e64 s[2:3], |v44|, 1.0
	s_nop 1
	v_cndmask_b32_e64 v31, 1.0, v31, s[2:3]
	v_cmp_class_f32_e64 s[2:3], v29, s25
	s_nop 1
	v_cndmask_b32_e64 v30, v30, v31, s[2:3]
	v_cmp_eq_f32_e64 s[2:3], 0, v44
	s_xor_b64 s[6:7], s[6:7], s[2:3]
	v_cndmask_b32_e64 v31, v25, 0, s[6:7]
	v_bfi_b32 v31, s43, v31, v32
	s_or_b64 s[2:3], s[2:3], s[10:11]
	v_cndmask_b32_e64 v30, v30, v31, s[2:3]
	v_cmp_o_f32_e64 s[2:3], v44, v29
	s_nop 1
	v_cndmask_b32_e64 v29, v27, v30, s[2:3]
	v_cvt_f16_f32_e32 v29, v29
	v_lshl_add_u64 v[30:31], v[14:15], 0, s[18:19]
	global_store_short v[30:31], v29, off
	s_or_b64 exec, exec, s[8:9]
	s_and_saveexec_b64 s[6:7], vcc
	s_cbranch_execz .LBB70_3
.LBB70_19:                              ;   in Loop: Header=BB70_4 Depth=1
	s_waitcnt vmcnt(0)
	v_cvt_f32_f16_e32 v29, v28
	v_mov_b32_e32 v30, s33
	v_cmp_neq_f16_e32 vcc, 1.0, v28
	s_nop 1
	v_cndmask_b32_e32 v42, 1.0, v30, vcc
	v_cmp_neq_f32_e32 vcc, 0, v42
	v_cmp_neq_f32_e64 s[4:5], v42, |v42|
	s_nop 0
	v_cndmask_b32_e32 v43, 1.0, v29, vcc
	v_frexp_mant_f32_e64 v28, |v43|
	v_cmp_gt_f32_e32 vcc, s44, v28
	v_cmp_lt_f32_e64 s[8:9], |v43|, 1.0
	s_xor_b64 s[4:5], s[4:5], s[8:9]
	v_cndmask_b32_e64 v29, 1.0, 2.0, vcc
	v_mul_f32_e32 v28, v28, v29
	v_add_f32_e32 v31, 1.0, v28
	v_rcp_f32_e32 v36, v31
	v_add_f32_e32 v29, -1.0, v31
	v_sub_f32_e32 v33, v28, v29
	v_add_f32_e32 v29, -1.0, v28
	v_mul_f32_e32 v37, v29, v36
	v_mul_f32_e32 v30, v31, v37
	v_fma_f32 v32, v37, v31, -v30
	v_fmac_f32_e32 v32, v37, v33
	v_add_f32_e32 v28, v30, v32
	v_sub_f32_e32 v31, v29, v28
	v_pk_add_f32 v[34:35], v[28:29], v[30:31] neg_lo:[0,1] neg_hi:[0,1]
	v_mov_b32_e32 v33, v28
	v_pk_add_f32 v[28:29], v[34:35], v[32:33] neg_lo:[0,1] neg_hi:[0,1]
	v_cmp_class_f32_e64 s[8:9], v43, s25
	v_add_f32_e32 v28, v28, v29
	v_add_f32_e32 v28, v31, v28
	v_mul_f32_e32 v29, v36, v28
	v_add_f32_e32 v28, v37, v29
	v_sub_f32_e32 v30, v28, v37
	v_sub_f32_e32 v38, v29, v30
	v_mul_f32_e32 v29, v28, v28
	v_fma_f32 v31, v28, v28, -v29
	v_add_f32_e32 v30, v38, v38
	v_fmac_f32_e32 v31, v28, v30
	v_add_f32_e32 v30, v29, v31
	v_fmamk_f32 v32, v30, 0x3e76c4e1, v24
	v_fmaak_f32 v32, v30, v32, 0x3ecccdef
	v_sub_f32_e32 v29, v30, v29
	v_sub_f32_e32 v39, v31, v29
	v_mul_f32_e32 v29, v30, v32
	v_fma_f32 v31, v30, v32, -v29
	v_fmac_f32_e32 v31, v39, v32
	v_add_f32_e32 v32, v29, v31
	v_add_f32_e32 v33, 0x3f2aaaaa, v32
	v_sub_f32_e32 v29, v32, v29
	v_sub_f32_e32 v29, v31, v29
	v_add_f32_e32 v31, 0xbf2aaaaa, v33
	v_add_f32_e32 v29, 0x31739010, v29
	v_sub_f32_e32 v31, v32, v31
	v_pk_mul_f32 v[34:35], v[28:29], v[30:31]
	v_pk_add_f32 v[36:37], v[28:29], v[30:31]
	v_fma_f32 v32, v30, v28, -v34
	v_fmac_f32_e32 v32, v30, v38
	v_mov_b32_e32 v35, v37
	v_fmac_f32_e32 v32, v39, v28
	v_pk_add_f32 v[30:31], v[34:35], v[32:33]
	v_ldexp_f32 v40, v38, 1
	v_sub_f32_e32 v29, v30, v34
	v_sub_f32_e32 v29, v32, v29
	;; [unrolled: 1-line block ×3, first 2 shown]
	v_add_f32_e32 v36, v37, v32
	v_pk_mul_f32 v[32:33], v[30:31], v[30:31] op_sel:[0,1] op_sel_hi:[1,0]
	v_cvt_f64_f32_e64 v[34:35], |v43|
	v_frexp_exp_i32_f64_e32 v33, v[34:35]
	v_subbrev_co_u32_e32 v33, vcc, 0, v33, vcc
	v_cvt_f32_i32_e32 v33, v33
	v_fma_f32 v34, v30, v31, -v32
	v_fmac_f32_e32 v34, v30, v36
	v_fmac_f32_e32 v34, v29, v31
	v_mul_f32_e32 v30, 0x3f317218, v33
	v_fma_f32 v36, v33, s45, -v30
	v_fmac_f32_e32 v36, 0xb102e308, v33
	v_ldexp_f32 v37, v28, 1
	v_add_f32_e32 v31, v32, v34
	v_pk_add_f32 v[28:29], v[30:31], v[36:37]
	v_mov_b32_e32 v38, v31
	v_mov_b32_e32 v39, v29
	;; [unrolled: 1-line block ×3, first 2 shown]
	v_pk_add_f32 v[32:33], v[38:39], v[32:33] neg_lo:[0,1] neg_hi:[0,1]
	v_mov_b32_e32 v35, v31
	v_pk_add_f32 v[32:33], v[34:35], v[32:33] neg_lo:[0,1] neg_hi:[0,1]
	v_mov_b32_e32 v37, v28
	v_add_f32_e32 v31, v40, v32
	v_add_f32_e32 v31, v31, v33
	v_pk_add_f32 v[32:33], v[28:29], v[30:31] neg_lo:[0,1] neg_hi:[0,1]
	v_pk_add_f32 v[34:35], v[28:29], v[30:31]
	v_mov_b32_e32 v30, v31
	v_mov_b32_e32 v33, v35
	v_pk_add_f32 v[38:39], v[36:37], v[32:33] neg_lo:[0,1] neg_hi:[0,1]
	v_pk_add_f32 v[32:33], v[36:37], v[32:33]
	v_mov_b32_e32 v31, v28
	v_pk_add_f32 v[36:37], v[32:33], v[28:29] op_sel:[1,0] op_sel_hi:[0,1] neg_lo:[0,1] neg_hi:[0,1]
	v_pk_add_f32 v[40:41], v[34:35], v[36:37] op_sel_hi:[1,0] neg_lo:[0,1] neg_hi:[0,1]
	v_mov_b32_e32 v34, v35
	v_mov_b32_e32 v35, v33
	v_pk_mov_b32 v[36:37], v[28:29], v[36:37] op_sel:[1,0]
	v_mov_b32_e32 v40, v38
	v_pk_add_f32 v[34:35], v[34:35], v[36:37] neg_lo:[0,1] neg_hi:[0,1]
	v_mov_b32_e32 v39, v33
	v_pk_add_f32 v[28:29], v[30:31], v[34:35] neg_lo:[0,1] neg_hi:[0,1]
	s_nop 0
	v_pk_add_f32 v[30:31], v[40:41], v[28:29]
	s_nop 0
	v_pk_add_f32 v[34:35], v[30:31], v[30:31] op_sel:[0,1] op_sel_hi:[1,0]
	s_nop 0
	v_pk_add_f32 v[32:33], v[32:33], v[34:35] op_sel:[1,0] op_sel_hi:[0,1]
	v_mov_b32_e32 v31, v32
	v_pk_add_f32 v[36:37], v[30:31], v[38:39] neg_lo:[0,1] neg_hi:[0,1]
	v_mov_b32_e32 v29, v34
	v_sub_f32_e32 v30, v30, v36
	v_pk_add_f32 v[28:29], v[28:29], v[36:37] neg_lo:[0,1] neg_hi:[0,1]
	v_sub_f32_e32 v30, v38, v30
	v_add_f32_e32 v28, v28, v30
	v_add_f32_e32 v28, v28, v29
	;; [unrolled: 1-line block ×3, first 2 shown]
	v_sub_f32_e32 v30, v29, v32
	v_sub_f32_e32 v28, v28, v30
	v_mul_f32_e32 v30, v42, v29
	v_fma_f32 v29, v42, v29, -v30
	v_fmac_f32_e32 v29, v42, v28
	v_add_f32_e32 v28, v30, v29
	v_cmp_class_f32_e64 vcc, v30, s25
	v_sub_f32_e32 v31, v28, v30
	v_sub_f32_e32 v29, v29, v31
	v_cndmask_b32_e32 v28, v28, v30, vcc
	v_cmp_eq_f32_e32 vcc, s46, v28
	s_nop 1
	v_cndmask_b32_e32 v30, 0, v26, vcc
	v_sub_f32_e32 v31, v28, v30
	v_mul_f32_e32 v32, 0x3fb8aa3b, v31
	v_fma_f32 v33, v31, s47, -v32
	v_rndne_f32_e32 v34, v32
	v_fmac_f32_e32 v33, 0x32a5705f, v31
	v_sub_f32_e32 v32, v32, v34
	v_add_f32_e32 v32, v32, v33
	v_exp_f32_e32 v32, v32
	v_cvt_i32_f32_e32 v33, v34
	v_cmp_neq_f32_e64 vcc, |v28|, s42
	s_nop 1
	v_cndmask_b32_e32 v28, 0, v29, vcc
	v_ldexp_f32 v29, v32, v33
	v_cmp_ngt_f32_e32 vcc, s48, v31
	v_add_f32_e32 v28, v30, v28
	s_nop 0
	v_cndmask_b32_e32 v29, 0, v29, vcc
	v_cmp_nlt_f32_e32 vcc, s46, v31
	s_nop 1
	v_cndmask_b32_e32 v29, v25, v29, vcc
	v_fma_f32 v28, v29, v28, v29
	v_cmp_class_f32_e64 vcc, v29, s25
	s_nop 1
	v_cndmask_b32_e32 v28, v28, v29, vcc
	v_trunc_f32_e32 v29, v42
	v_cmp_eq_f32_e32 vcc, v29, v42
	v_mul_f32_e32 v29, 0.5, v42
	v_trunc_f32_e32 v30, v29
	v_cmp_neq_f32_e64 s[2:3], v30, v29
	s_and_b64 s[2:3], vcc, s[2:3]
	s_nop 0
	v_cndmask_b32_e64 v29, 1.0, v43, s[2:3]
	v_bfi_b32 v28, s43, v28, v29
	v_cndmask_b32_e32 v29, v27, v28, vcc
	v_cmp_gt_f32_e32 vcc, 0, v43
	v_cndmask_b32_e64 v30, 0, v43, s[2:3]
	s_nop 0
	v_cndmask_b32_e32 v28, v28, v29, vcc
	v_cndmask_b32_e64 v29, v25, 0, s[4:5]
	v_cmp_neq_f32_e64 vcc, |v43|, 1.0
	v_cmp_gt_f32_e64 s[4:5], 0, v42
	s_nop 0
	v_cndmask_b32_e32 v29, 1.0, v29, vcc
	v_cmp_class_f32_e64 vcc, v42, s25
	s_nop 1
	v_cndmask_b32_e32 v28, v28, v29, vcc
	v_cmp_eq_f32_e32 vcc, 0, v43
	s_xor_b64 s[4:5], s[4:5], vcc
	v_cndmask_b32_e64 v29, v25, 0, s[4:5]
	v_bfi_b32 v29, s43, v29, v30
	s_or_b64 vcc, vcc, s[8:9]
	v_cndmask_b32_e32 v28, v28, v29, vcc
	v_cmp_o_f32_e32 vcc, v43, v42
	s_nop 1
	v_cndmask_b32_e32 v28, v27, v28, vcc
	v_cvt_f16_f32_e32 v30, v28
	v_lshl_add_u64 v[28:29], v[8:9], 0, s[18:19]
	global_store_short v[28:29], v30, off
	s_branch .LBB70_3
.LBB70_20:
	s_mov_b64 s[6:7], 0
.LBB70_21:
	s_andn2_b64 vcc, exec, s[6:7]
	s_cbranch_vccnz .LBB70_25
; %bb.22:
	v_mov_b64_e32 v[4:5], 0x10000
	v_cmp_lt_i64_e32 vcc, s[16:17], v[4:5]
	s_and_b64 s[2:3], vcc, exec
	v_mov_b32_e32 v3, 0
	s_cselect_b32 s41, s17, 0
	s_cselect_b32 s40, s16, 0x10000
	v_lshlrev_b32_e32 v2, 2, v0
	s_mov_b32 s39, 0
	v_cmp_gt_i64_e32 vcc, s[40:41], v[2:3]
	s_and_saveexec_b64 s[2:3], vcc
	s_cbranch_execz .LBB70_25
; %bb.23:
	s_load_dword s0, s[0:1], 0xc5c
	v_mov_b32_e32 v1, v3
	v_lshlrev_b32_e32 v2, 3, v0
	s_mov_b64 s[42:43], 0
	v_mov_b32_e32 v16, s33
	s_waitcnt lgkmcnt(0)
	s_and_b32 s38, s0, 0xffff
	s_lshl_b32 s33, s38, 3
	s_mov_b32 s46, 0x3f2aaaab
	v_mov_b32_e32 v17, 0x3e91f4c4
	s_mov_b32 s47, 0x3f317218
	s_movk_i32 s48, 0x204
	s_mov_b32 s49, 0x7f800000
	s_mov_b32 s50, 0x42b17218
	v_mov_b32_e32 v18, 0x37000000
	s_mov_b32 s51, 0x3fb8aa3b
	s_mov_b32 s52, 0xc2ce8ed0
	v_mov_b32_e32 v19, 0x7f800000
	s_brev_b32 s53, -2
	v_mov_b32_e32 v20, 0x7fc00000
	v_mov_b32_e32 v21, 0x3c00
                                        ; implicit-def: $vgpr4
.LBB70_24:                              ; =>This Inner Loop Header: Depth=1
	v_lshl_add_u64 v[4:5], s[34:35], 0, v[2:3]
	global_load_dwordx2 v[6:7], v[4:5], off
	global_load_dword v7, v[4:5], off offset:2
	global_load_ushort v8, v[4:5], off offset:6
	v_lshl_add_u64 v[0:1], v[0:1], 0, s[38:39]
	v_lshlrev_b64 v[4:5], 2, v[0:1]
	v_cmp_le_i64_e32 vcc, s[40:41], v[4:5]
	s_waitcnt vmcnt(2)
	v_cmp_neq_f16_e64 s[0:1], 1.0, v6
	v_cvt_f32_f16_e32 v4, v6
	s_nop 0
	v_cndmask_b32_e64 v22, 1.0, v16, s[0:1]
	s_waitcnt vmcnt(1)
	v_cmp_neq_f16_e64 s[0:1], 1.0, v7
	v_cvt_f32_f16_e32 v5, v7
	v_cvt_f32_f16_sdwa v6, v7 dst_sel:DWORD dst_unused:UNUSED_PAD src0_sel:WORD_1
	v_cndmask_b32_e64 v23, 1.0, v16, s[0:1]
	v_cmp_neq_f16_sdwa s[0:1], v7, v21 src0_sel:WORD_1 src1_sel:DWORD
	v_cmp_neq_f32_e64 s[8:9], 0, v22
	v_cmp_neq_f32_e64 s[10:11], 0, v23
	v_cndmask_b32_e64 v24, 1.0, v16, s[0:1]
	s_waitcnt vmcnt(0)
	v_cmp_neq_f16_e64 s[0:1], 1.0, v8
	v_mul_f32_e32 v10, 0.5, v24
	v_trunc_f32_e32 v14, v10
	v_cndmask_b32_e64 v25, 1.0, v16, s[0:1]
	v_mul_f32_e32 v11, 0.5, v25
	v_cndmask_b32_e64 v26, 1.0, v4, s[8:9]
	v_cvt_f32_f16_e32 v7, v8
	v_trunc_f32_e32 v15, v11
	v_cmp_neq_f32_e64 s[4:5], v14, v10
	v_cndmask_b32_e64 v29, 1.0, v5, s[10:11]
	v_frexp_mant_f32_e64 v10, |v26|
	v_cmp_neq_f32_e64 s[12:13], 0, v24
	v_cmp_neq_f32_e64 s[6:7], v15, v11
	v_frexp_mant_f32_e64 v11, |v29|
	v_cmp_gt_f32_e64 s[10:11], s46, v10
	v_cndmask_b32_e64 v28, 1.0, v6, s[12:13]
	v_cvt_f64_f32_e64 v[4:5], |v26|
	v_cndmask_b32_e64 v14, 1.0, 2.0, s[10:11]
	v_cmp_gt_f32_e64 s[12:13], s46, v11
	v_mul_f32_e32 v9, 0.5, v23
	v_cmp_neq_f32_e64 s[14:15], 0, v25
	v_frexp_exp_i32_f64_e32 v4, v[4:5]
	v_cndmask_b32_e64 v5, 1.0, 2.0, s[12:13]
	v_mul_f32_e32 v10, v10, v14
	v_mul_f32_e32 v8, 0.5, v22
	v_trunc_f32_e32 v13, v9
	v_cndmask_b32_e64 v27, 1.0, v7, s[14:15]
	v_cvt_f64_f32_e64 v[6:7], |v29|
	v_mul_f32_e32 v5, v11, v5
	v_add_f32_e32 v11, 1.0, v10
	v_trunc_f32_e32 v12, v8
	v_cmp_neq_f32_e64 s[2:3], v13, v9
	v_frexp_mant_f32_e64 v13, |v27|
	v_frexp_exp_i32_f64_e32 v6, v[6:7]
	v_rcp_f32_e32 v52, v11
	v_cmp_neq_f32_e64 s[0:1], v12, v8
	v_frexp_mant_f32_e64 v12, |v28|
	v_cvt_f64_f32_e64 v[8:9], |v28|
	v_cmp_gt_f32_e64 s[8:9], s46, v13
	v_subbrev_co_u32_e64 v4, s[10:11], 0, v4, s[10:11]
	v_subbrev_co_u32_e64 v6, s[10:11], 0, v6, s[12:13]
	v_cmp_gt_f32_e64 s[14:15], s46, v12
	v_frexp_exp_i32_f64_e32 v8, v[8:9]
	v_cndmask_b32_e64 v9, 1.0, 2.0, s[8:9]
	v_add_f32_e32 v15, 1.0, v5
	v_cvt_f32_i32_e32 v30, v6
	v_cndmask_b32_e64 v7, 1.0, 2.0, s[14:15]
	v_mul_f32_e32 v9, v13, v9
	v_add_f32_e32 v31, -1.0, v10
	v_rcp_f32_e32 v53, v15
	v_mul_f32_e32 v7, v12, v7
	v_add_f32_e32 v36, 1.0, v9
	v_mul_f32_e32 v56, v31, v52
	v_cvt_f32_i32_e32 v13, v4
	v_add_f32_e32 v32, 1.0, v7
	v_add_f32_e32 v4, -1.0, v11
	v_add_f32_e32 v12, -1.0, v36
	v_mul_f32_e32 v38, v11, v56
	v_add_f32_e32 v33, -1.0, v5
	v_add_f32_e32 v37, -1.0, v9
	;; [unrolled: 1-line block ×3, first 2 shown]
	v_rcp_f32_e32 v54, v32
	v_rcp_f32_e32 v55, v36
	v_sub_f32_e32 v39, v10, v4
	v_sub_f32_e32 v9, v9, v12
	v_mul_f32_e32 v12, 0x3f317218, v30
	v_fma_f32 v44, v56, v11, -v38
	v_subbrev_co_u32_e64 v8, s[10:11], 0, v8, s[14:15]
	v_sub_f32_e32 v5, v5, v6
	v_mul_f32_e32 v57, v33, v53
	v_fma_f32 v6, v30, s47, -v12
	v_fmac_f32_e32 v44, v56, v39
	v_cvt_f32_i32_e32 v34, v8
	v_mul_f32_e32 v40, v15, v57
	v_fmac_f32_e32 v6, 0xb102e308, v30
	v_add_f32_e32 v30, v38, v44
	v_add_f32_e32 v35, -1.0, v7
	v_fma_f32 v46, v57, v15, -v40
	v_sub_f32_e32 v39, v31, v30
	v_mul_f32_e32 v58, v35, v54
	v_fmac_f32_e32 v46, v57, v5
	v_mul_f32_e32 v5, v37, v55
	v_mov_b32_e32 v45, v30
	v_pk_add_f32 v[30:31], v[30:31], v[38:39] neg_lo:[0,1] neg_hi:[0,1]
	v_add_f32_e32 v8, -1.0, v32
	v_mul_f32_e32 v42, v32, v58
	v_pk_add_f32 v[30:31], v[30:31], v[44:45] neg_lo:[0,1] neg_hi:[0,1]
	v_mul_f32_e32 v44, v36, v5
	v_sub_f32_e32 v7, v7, v8
	v_mul_f32_e32 v10, 0x3f317218, v34
	v_fma_f32 v48, v58, v32, -v42
	v_fma_f32 v50, v5, v36, -v44
	;; [unrolled: 1-line block ×3, first 2 shown]
	v_fmac_f32_e32 v48, v58, v7
	v_fmac_f32_e32 v50, v5, v9
	;; [unrolled: 1-line block ×3, first 2 shown]
	v_add_f32_e32 v32, v40, v46
	v_add_f32_e32 v34, v42, v48
	;; [unrolled: 1-line block ×3, first 2 shown]
	v_sub_f32_e32 v41, v33, v32
	v_sub_f32_e32 v43, v35, v34
	;; [unrolled: 1-line block ×3, first 2 shown]
	v_mul_f32_e32 v14, 0x3f317218, v13
	v_mov_b32_e32 v47, v32
	v_mov_b32_e32 v49, v34
	;; [unrolled: 1-line block ×3, first 2 shown]
	v_pk_add_f32 v[32:33], v[32:33], v[40:41] neg_lo:[0,1] neg_hi:[0,1]
	v_pk_add_f32 v[34:35], v[34:35], v[42:43] neg_lo:[0,1] neg_hi:[0,1]
	;; [unrolled: 1-line block ×3, first 2 shown]
	v_fma_f32 v8, v13, s47, -v14
	v_pk_add_f32 v[32:33], v[32:33], v[46:47] neg_lo:[0,1] neg_hi:[0,1]
	v_pk_add_f32 v[34:35], v[34:35], v[48:49] neg_lo:[0,1] neg_hi:[0,1]
	;; [unrolled: 1-line block ×3, first 2 shown]
	v_add_f32_e32 v7, v30, v31
	v_fmac_f32_e32 v8, 0xb102e308, v13
	v_add_f32_e32 v9, v32, v33
	v_add_f32_e32 v11, v34, v35
	;; [unrolled: 1-line block ×7, first 2 shown]
	v_mul_f32_e32 v7, v52, v7
	v_mul_f32_e32 v15, v53, v9
	;; [unrolled: 1-line block ×4, first 2 shown]
	v_add_f32_e32 v30, v56, v7
	v_add_f32_e32 v32, v57, v15
	v_add_f32_e32 v34, v58, v11
	v_add_f32_e32 v36, v5, v13
	v_sub_f32_e32 v31, v30, v56
	v_mul_f32_e32 v33, v30, v30
	v_sub_f32_e32 v35, v32, v57
	v_sub_f32_e32 v38, v34, v58
	;; [unrolled: 1-line block ×4, first 2 shown]
	v_mul_f32_e32 v37, v32, v32
	v_mul_f32_e32 v39, v34, v34
	;; [unrolled: 1-line block ×3, first 2 shown]
	v_fma_f32 v7, v30, v30, -v33
	v_sub_f32_e32 v61, v15, v35
	v_sub_f32_e32 v62, v11, v38
	;; [unrolled: 1-line block ×3, first 2 shown]
	v_add_f32_e32 v13, v60, v60
	v_fma_f32 v15, v32, v32, -v37
	v_fma_f32 v11, v34, v34, -v39
	v_fma_f32 v5, v36, v36, -v41
	v_add_f32_e32 v31, v61, v61
	v_add_f32_e32 v35, v62, v62
	;; [unrolled: 1-line block ×3, first 2 shown]
	v_fmac_f32_e32 v7, v30, v13
	v_fmac_f32_e32 v15, v32, v31
	;; [unrolled: 1-line block ×4, first 2 shown]
	v_add_f32_e32 v38, v33, v7
	v_add_f32_e32 v40, v37, v15
	;; [unrolled: 1-line block ×4, first 2 shown]
	v_fmamk_f32 v13, v38, 0x3e76c4e1, v17
	v_sub_f32_e32 v31, v38, v33
	v_sub_f32_e32 v35, v40, v37
	;; [unrolled: 1-line block ×4, first 2 shown]
	v_fmaak_f32 v13, v38, v13, 0x3ecccdef
	v_sub_f32_e32 v7, v7, v31
	v_fmamk_f32 v31, v42, 0x3e76c4e1, v17
	v_sub_f32_e32 v56, v5, v39
	v_mul_f32_e32 v5, v38, v13
	v_sub_f32_e32 v15, v15, v35
	v_fmaak_f32 v35, v42, v31, 0x3ecccdef
	v_fma_f32 v31, v38, v13, -v5
	v_fmac_f32_e32 v31, v7, v13
	v_add_f32_e32 v13, v5, v31
	v_sub_f32_e32 v5, v13, v5
	v_sub_f32_e32 v5, v31, v5
	v_add_f32_e32 v47, 0x3f2aaaaa, v13
	v_fmamk_f32 v33, v40, 0x3e76c4e1, v17
	v_add_f32_e32 v31, 0x31739010, v5
	v_add_f32_e32 v5, 0xbf2aaaaa, v47
	v_fmaak_f32 v33, v40, v33, 0x3ecccdef
	v_sub_f32_e32 v39, v13, v5
	v_pk_mul_f32 v[48:49], v[30:31], v[38:39]
	v_mul_f32_e32 v5, v40, v33
	v_fma_f32 v46, v38, v30, -v48
	v_fma_f32 v13, v40, v33, -v5
	v_fmac_f32_e32 v46, v38, v60
	v_fmac_f32_e32 v13, v15, v33
	v_ldexp_f32 v9, v30, 1
	v_fmac_f32_e32 v46, v7, v30
	v_pk_add_f32 v[30:31], v[30:31], v[38:39]
	v_mul_f32_e32 v7, v42, v35
	v_add_f32_e32 v33, v5, v13
	v_sub_f32_e32 v11, v11, v37
	v_fma_f32 v30, v42, v35, -v7
	v_add_f32_e32 v39, 0x3f2aaaaa, v33
	v_fmac_f32_e32 v30, v11, v35
	v_add_f32_e32 v35, 0xbf2aaaaa, v39
	v_sub_f32_e32 v41, v33, v35
	v_sub_f32_e32 v5, v33, v5
	v_add_f32_e32 v33, v7, v30
	v_add_f32_e32 v51, 0x3f2aaaaa, v33
	;; [unrolled: 1-line block ×3, first 2 shown]
	v_sub_f32_e32 v5, v13, v5
	v_sub_f32_e32 v43, v33, v35
	;; [unrolled: 1-line block ×3, first 2 shown]
	v_add_f32_e32 v33, 0x31739010, v5
	v_pk_mul_f32 v[52:53], v[32:33], v[40:41]
	v_sub_f32_e32 v7, v30, v7
	v_fma_f32 v38, v40, v32, -v52
	v_add_f32_e32 v35, 0x31739010, v7
	v_fmac_f32_e32 v38, v40, v61
	v_fmac_f32_e32 v38, v15, v32
	v_ldexp_f32 v7, v32, 1
	v_pk_add_f32 v[32:33], v[32:33], v[40:41]
	v_pk_mul_f32 v[40:41], v[34:35], v[42:43]
	v_ldexp_f32 v5, v34, 1
	v_fma_f32 v50, v42, v34, -v40
	v_fmac_f32_e32 v50, v42, v62
	v_fmac_f32_e32 v50, v11, v34
	v_fmamk_f32 v11, v44, 0x3e76c4e1, v17
	v_fmaak_f32 v11, v44, v11, 0x3ecccdef
	v_mul_f32_e32 v13, v44, v11
	v_fma_f32 v15, v44, v11, -v13
	v_fmac_f32_e32 v15, v56, v11
	v_add_f32_e32 v11, v13, v15
	v_pk_add_f32 v[34:35], v[34:35], v[42:43]
	v_add_f32_e32 v43, 0x3f2aaaaa, v11
	v_mov_b32_e32 v49, v31
	v_add_f32_e32 v30, 0xbf2aaaaa, v43
	v_pk_add_f32 v[54:55], v[48:49], v[46:47]
	v_sub_f32_e32 v45, v11, v30
	v_sub_f32_e32 v11, v11, v13
	;; [unrolled: 1-line block ×4, first 2 shown]
	v_add_f32_e32 v13, v31, v13
	v_pk_mul_f32 v[30:31], v[54:55], v[54:55] op_sel:[0,1] op_sel_hi:[1,0]
	v_add_f32_e32 v37, 0x31739010, v11
	v_sub_f32_e32 v11, v54, v48
	v_fma_f32 v32, v54, v55, -v30
	v_mov_b32_e32 v53, v33
	v_sub_f32_e32 v11, v46, v11
	v_fmac_f32_e32 v32, v54, v13
	v_pk_mul_f32 v[46:47], v[36:37], v[44:45]
	v_pk_add_f32 v[48:49], v[52:53], v[38:39]
	v_fmac_f32_e32 v32, v11, v55
	v_fma_f32 v42, v44, v36, -v46
	v_sub_f32_e32 v11, v48, v52
	v_fmac_f32_e32 v42, v44, v63
	v_pk_add_f32 v[44:45], v[36:37], v[44:45]
	v_sub_f32_e32 v13, v39, v49
	v_sub_f32_e32 v11, v38, v11
	v_pk_mul_f32 v[38:39], v[48:49], v[48:49] op_sel:[0,1] op_sel_hi:[1,0]
	v_mov_b32_e32 v47, v45
	v_fmac_f32_e32 v42, v56, v36
	v_add_f32_e32 v13, v33, v13
	v_fma_f32 v34, v48, v49, -v38
	v_mov_b32_e32 v41, v35
	v_fmac_f32_e32 v34, v48, v13
	v_pk_add_f32 v[52:53], v[46:47], v[42:43]
	v_fmac_f32_e32 v34, v11, v49
	v_pk_add_f32 v[48:49], v[40:41], v[50:51]
	v_sub_f32_e32 v15, v52, v46
	v_sub_f32_e32 v33, v43, v53
	v_pk_mul_f32 v[46:47], v[52:53], v[52:53] op_sel:[0,1] op_sel_hi:[1,0]
	v_sub_f32_e32 v11, v48, v40
	v_sub_f32_e32 v13, v51, v49
	v_pk_mul_f32 v[40:41], v[48:49], v[48:49] op_sel:[0,1] op_sel_hi:[1,0]
	v_add_f32_e32 v33, v45, v33
	v_fma_f32 v44, v52, v53, -v46
	v_add_f32_e32 v13, v35, v13
	v_sub_f32_e32 v15, v42, v15
	v_fma_f32 v42, v48, v49, -v40
	v_fmac_f32_e32 v44, v52, v33
	v_sub_f32_e32 v11, v50, v11
	v_fmac_f32_e32 v42, v48, v13
	v_fmac_f32_e32 v44, v15, v53
	v_add_f32_e32 v15, v30, v32
	v_fmac_f32_e32 v42, v11, v49
	v_add_f32_e32 v13, v38, v34
	v_pk_add_f32 v[48:49], v[14:15], v[8:9]
	v_mov_b32_e32 v31, v9
	v_add_f32_e32 v11, v40, v42
	v_mov_b32_e32 v50, v15
	v_pk_add_f32 v[52:53], v[12:13], v[6:7]
	v_mov_b32_e32 v51, v49
	v_mov_b32_e32 v39, v7
	;; [unrolled: 1-line block ×3, first 2 shown]
	v_pk_add_f32 v[30:31], v[50:51], v[30:31] neg_lo:[0,1] neg_hi:[0,1]
	v_pk_add_f32 v[50:51], v[10:11], v[4:5]
	v_mov_b32_e32 v55, v53
	v_mov_b32_e32 v41, v5
	v_pk_add_f32 v[38:39], v[54:55], v[38:39] neg_lo:[0,1] neg_hi:[0,1]
	v_mov_b32_e32 v54, v11
	v_mov_b32_e32 v55, v51
	v_pk_add_f32 v[40:41], v[54:55], v[40:41] neg_lo:[0,1] neg_hi:[0,1]
	v_cvt_f64_f32_e64 v[54:55], |v27|
	v_frexp_exp_i32_f64_e32 v5, v[54:55]
	v_subbrev_co_u32_e64 v5, s[8:9], 0, v5, s[8:9]
	v_cvt_f32_i32_e32 v5, v5
	v_ldexp_f32 v37, v36, 1
	v_add_f32_e32 v55, v46, v44
	v_mov_b32_e32 v47, v37
	v_mul_f32_e32 v54, 0x3f317218, v5
	v_fma_f32 v36, v5, s47, -v54
	v_fmac_f32_e32 v36, 0xb102e308, v5
	v_pk_add_f32 v[56:57], v[54:55], v[36:37]
	v_mov_b32_e32 v58, v55
	v_mov_b32_e32 v59, v57
	;; [unrolled: 1-line block ×3, first 2 shown]
	v_pk_add_f32 v[46:47], v[58:59], v[46:47] neg_lo:[0,1] neg_hi:[0,1]
	v_pk_add_f32 v[30:31], v[32:33], v[30:31] neg_lo:[0,1] neg_hi:[0,1]
	v_ldexp_f32 v15, v60, 1
	v_mov_b32_e32 v35, v13
	v_mov_b32_e32 v43, v11
	;; [unrolled: 1-line block ×3, first 2 shown]
	v_trunc_f32_e32 v5, v22
	v_ldexp_f32 v58, v61, 1
	v_ldexp_f32 v59, v62, 1
	;; [unrolled: 1-line block ×3, first 2 shown]
	v_pk_add_f32 v[32:33], v[34:35], v[38:39] neg_lo:[0,1] neg_hi:[0,1]
	v_pk_add_f32 v[38:39], v[42:43], v[40:41] neg_lo:[0,1] neg_hi:[0,1]
	;; [unrolled: 1-line block ×3, first 2 shown]
	v_add_f32_e32 v11, v15, v30
	v_cmp_eq_f32_e64 s[8:9], v5, v22
	v_trunc_f32_e32 v5, v23
	v_add_f32_e32 v15, v11, v31
	v_add_f32_e32 v11, v58, v32
	;; [unrolled: 1-line block ×4, first 2 shown]
	v_cmp_eq_f32_e64 s[10:11], v5, v23
	v_trunc_f32_e32 v5, v24
	v_add_f32_e32 v13, v11, v33
	v_add_f32_e32 v11, v30, v39
	;; [unrolled: 1-line block ×3, first 2 shown]
	v_pk_add_f32 v[32:33], v[48:49], v[14:15] neg_lo:[0,1] neg_hi:[0,1]
	v_pk_add_f32 v[38:39], v[48:49], v[14:15]
	v_cmp_eq_f32_e64 s[12:13], v5, v24
	v_trunc_f32_e32 v5, v25
	v_mov_b32_e32 v9, v48
	v_mov_b32_e32 v34, v15
	v_pk_add_f32 v[14:15], v[52:53], v[12:13] neg_lo:[0,1] neg_hi:[0,1]
	v_pk_add_f32 v[42:43], v[52:53], v[12:13]
	v_mov_b32_e32 v40, v13
	v_pk_add_f32 v[12:13], v[50:51], v[10:11] neg_lo:[0,1] neg_hi:[0,1]
	v_pk_add_f32 v[46:47], v[50:51], v[10:11]
	v_mov_b32_e32 v33, v39
	v_cmp_eq_f32_e64 s[14:15], v5, v25
	v_mov_b32_e32 v7, v52
	v_mov_b32_e32 v5, v50
	;; [unrolled: 1-line block ×3, first 2 shown]
	v_pk_add_f32 v[10:11], v[56:57], v[54:55] neg_lo:[0,1] neg_hi:[0,1]
	v_pk_add_f32 v[58:59], v[56:57], v[54:55]
	v_mov_b32_e32 v30, v55
	v_mov_b32_e32 v15, v43
	;; [unrolled: 1-line block ×3, first 2 shown]
	v_pk_add_f32 v[54:55], v[8:9], v[32:33] neg_lo:[0,1] neg_hi:[0,1]
	v_pk_add_f32 v[8:9], v[8:9], v[32:33]
	v_mov_b32_e32 v37, v56
	v_mov_b32_e32 v11, v59
	v_pk_add_f32 v[32:33], v[6:7], v[14:15] neg_lo:[0,1] neg_hi:[0,1]
	v_pk_add_f32 v[6:7], v[6:7], v[14:15]
	v_pk_add_f32 v[14:15], v[4:5], v[12:13] neg_lo:[0,1] neg_hi:[0,1]
	v_pk_add_f32 v[12:13], v[4:5], v[12:13]
	v_pk_add_f32 v[4:5], v[8:9], v[48:49] op_sel:[1,0] op_sel_hi:[0,1] neg_lo:[0,1] neg_hi:[0,1]
	v_mov_b32_e32 v35, v48
	v_pk_add_f32 v[60:61], v[36:37], v[10:11] neg_lo:[0,1] neg_hi:[0,1]
	v_pk_add_f32 v[10:11], v[36:37], v[10:11]
	v_pk_mov_b32 v[36:37], v[48:49], v[4:5] op_sel:[1,0]
	v_pk_add_f32 v[48:49], v[38:39], v[4:5] op_sel_hi:[1,0] neg_lo:[0,1] neg_hi:[0,1]
	v_mov_b32_e32 v4, v39
	v_mov_b32_e32 v5, v9
	v_pk_add_f32 v[36:37], v[4:5], v[36:37] neg_lo:[0,1] neg_hi:[0,1]
	v_pk_add_f32 v[4:5], v[6:7], v[52:53] op_sel:[1,0] op_sel_hi:[0,1] neg_lo:[0,1] neg_hi:[0,1]
	v_mov_b32_e32 v41, v52
	v_pk_mov_b32 v[38:39], v[52:53], v[4:5] op_sel:[1,0]
	v_pk_add_f32 v[52:53], v[42:43], v[4:5] op_sel_hi:[1,0] neg_lo:[0,1] neg_hi:[0,1]
	v_mov_b32_e32 v4, v43
	v_mov_b32_e32 v5, v7
	v_pk_add_f32 v[38:39], v[4:5], v[38:39] neg_lo:[0,1] neg_hi:[0,1]
	v_pk_add_f32 v[4:5], v[12:13], v[50:51] op_sel:[1,0] op_sel_hi:[0,1] neg_lo:[0,1] neg_hi:[0,1]
	v_mov_b32_e32 v45, v50
	v_pk_mov_b32 v[42:43], v[50:51], v[4:5] op_sel:[1,0]
	v_pk_add_f32 v[50:51], v[46:47], v[4:5] op_sel_hi:[1,0] neg_lo:[0,1] neg_hi:[0,1]
	v_mov_b32_e32 v4, v47
	v_mov_b32_e32 v5, v13
	v_pk_add_f32 v[42:43], v[4:5], v[42:43] neg_lo:[0,1] neg_hi:[0,1]
	v_pk_add_f32 v[4:5], v[10:11], v[56:57] op_sel:[1,0] op_sel_hi:[0,1] neg_lo:[0,1] neg_hi:[0,1]
	v_pk_add_f32 v[34:35], v[34:35], v[36:37] neg_lo:[0,1] neg_hi:[0,1]
	v_mov_b32_e32 v48, v54
	v_mov_b32_e32 v31, v56
	v_pk_mov_b32 v[46:47], v[56:57], v[4:5] op_sel:[1,0]
	v_pk_add_f32 v[56:57], v[58:59], v[4:5] op_sel_hi:[1,0] neg_lo:[0,1] neg_hi:[0,1]
	v_mov_b32_e32 v4, v59
	v_mov_b32_e32 v5, v11
	v_pk_add_f32 v[36:37], v[40:41], v[38:39] neg_lo:[0,1] neg_hi:[0,1]
	v_mov_b32_e32 v52, v32
	v_pk_add_f32 v[40:41], v[48:49], v[34:35]
	v_pk_add_f32 v[46:47], v[4:5], v[46:47] neg_lo:[0,1] neg_hi:[0,1]
	v_pk_add_f32 v[38:39], v[44:45], v[42:43] neg_lo:[0,1] neg_hi:[0,1]
	v_mov_b32_e32 v50, v14
	v_pk_add_f32 v[42:43], v[52:53], v[36:37]
	v_pk_add_f32 v[48:49], v[40:41], v[40:41] op_sel:[0,1] op_sel_hi:[1,0]
	v_mov_b32_e32 v55, v9
	v_mov_b32_e32 v56, v60
	v_pk_add_f32 v[30:31], v[30:31], v[46:47] neg_lo:[0,1] neg_hi:[0,1]
	v_pk_add_f32 v[44:45], v[50:51], v[38:39]
	v_pk_add_f32 v[8:9], v[8:9], v[48:49] op_sel:[1,0] op_sel_hi:[0,1]
	v_mov_b32_e32 v35, v48
	v_pk_add_f32 v[48:49], v[42:43], v[42:43] op_sel:[0,1] op_sel_hi:[1,0]
	v_mov_b32_e32 v33, v7
	v_pk_add_f32 v[46:47], v[56:57], v[30:31]
	v_pk_add_f32 v[6:7], v[6:7], v[48:49] op_sel:[1,0] op_sel_hi:[0,1]
	v_mov_b32_e32 v37, v48
	v_pk_add_f32 v[48:49], v[44:45], v[44:45] op_sel:[0,1] op_sel_hi:[1,0]
	v_mov_b32_e32 v15, v13
	;; [unrolled: 2-line block ×4, first 2 shown]
	v_mov_b32_e32 v61, v11
	v_pk_add_f32 v[10:11], v[10:11], v[48:49] op_sel:[1,0] op_sel_hi:[0,1]
	v_mov_b32_e32 v31, v48
	v_pk_add_f32 v[48:49], v[40:41], v[54:55] neg_lo:[0,1] neg_hi:[0,1]
	v_mov_b32_e32 v43, v6
	v_sub_f32_e32 v7, v40, v48
	v_pk_add_f32 v[40:41], v[42:43], v[32:33] neg_lo:[0,1] neg_hi:[0,1]
	v_mov_b32_e32 v45, v12
	v_sub_f32_e32 v11, v42, v40
	v_pk_add_f32 v[36:37], v[36:37], v[40:41] neg_lo:[0,1] neg_hi:[0,1]
	v_pk_add_f32 v[40:41], v[44:45], v[14:15] neg_lo:[0,1] neg_hi:[0,1]
	v_mov_b32_e32 v47, v10
	v_sub_f32_e32 v15, v44, v40
	v_pk_add_f32 v[38:39], v[38:39], v[40:41] neg_lo:[0,1] neg_hi:[0,1]
	v_pk_add_f32 v[40:41], v[46:47], v[60:61] neg_lo:[0,1] neg_hi:[0,1]
	;; [unrolled: 1-line block ×3, first 2 shown]
	v_sub_f32_e32 v42, v46, v40
	v_pk_add_f32 v[30:31], v[30:31], v[40:41] neg_lo:[0,1] neg_hi:[0,1]
	v_sub_f32_e32 v7, v54, v7
	v_sub_f32_e32 v11, v32, v11
	;; [unrolled: 1-line block ×4, first 2 shown]
	v_add_f32_e32 v7, v34, v7
	v_add_f32_e32 v11, v36, v11
	;; [unrolled: 1-line block ×8, first 2 shown]
	v_cmp_gt_f32_e64 s[16:17], 0, v22
	v_cmp_gt_f32_e64 s[18:19], 0, v23
	;; [unrolled: 1-line block ×4, first 2 shown]
	s_and_b64 s[24:25], s[8:9], s[0:1]
	s_and_b64 s[26:27], s[10:11], s[2:3]
	;; [unrolled: 1-line block ×4, first 2 shown]
	v_cmp_eq_f32_e64 s[0:1], 0, v26
	v_cmp_eq_f32_e64 s[2:3], 0, v29
	;; [unrolled: 1-line block ×4, first 2 shown]
	v_add_f32_e32 v30, v8, v7
	v_add_f32_e32 v31, v6, v11
	;; [unrolled: 1-line block ×4, first 2 shown]
	v_cmp_neq_f32_e64 s[54:55], v22, |v22|
	v_cmp_neq_f32_e64 s[56:57], v23, |v23|
	;; [unrolled: 1-line block ×4, first 2 shown]
	v_cmp_lt_f32_e64 s[62:63], |v26|, 1.0
	v_cmp_lt_f32_e64 s[64:65], |v29|, 1.0
	;; [unrolled: 1-line block ×4, first 2 shown]
	s_xor_b64 s[16:17], s[16:17], s[0:1]
	s_xor_b64 s[18:19], s[18:19], s[2:3]
	;; [unrolled: 1-line block ×4, first 2 shown]
	v_sub_f32_e32 v8, v30, v8
	v_mul_f32_e32 v35, v22, v30
	v_sub_f32_e32 v6, v31, v6
	v_mul_f32_e32 v36, v23, v31
	;; [unrolled: 2-line block ×4, first 2 shown]
	v_cndmask_b32_e64 v9, 1.0, v27, s[30:31]
	v_cndmask_b32_e64 v13, 0, v27, s[30:31]
	s_xor_b64 s[30:31], s[54:55], s[62:63]
	v_cndmask_b32_e64 v43, v19, 0, s[16:17]
	s_xor_b64 s[16:17], s[56:57], s[64:65]
	;; [unrolled: 2-line block ×4, first 2 shown]
	v_cndmask_b32_e64 v46, v19, 0, s[22:23]
	v_sub_f32_e32 v7, v7, v8
	v_fma_f32 v8, v22, v30, -v35
	v_sub_f32_e32 v6, v11, v6
	v_fma_f32 v11, v23, v31, -v36
	;; [unrolled: 2-line block ×4, first 2 shown]
	v_cndmask_b32_e64 v33, v19, 0, s[30:31]
	v_cndmask_b32_e64 v40, v19, 0, s[16:17]
	v_cmp_neq_f32_e64 s[16:17], |v29|, 1.0
	v_cndmask_b32_e64 v44, v19, 0, s[18:19]
	v_cmp_neq_f32_e64 s[18:19], |v28|, 1.0
	v_bfi_b32 v13, s53, v46, v13
	v_cndmask_b32_e64 v46, v19, 0, s[20:21]
	v_cmp_neq_f32_e64 s[20:21], |v27|, 1.0
	v_cmp_neq_f32_e64 s[22:23], |v26|, 1.0
	v_fmac_f32_e32 v8, v22, v7
	v_fmac_f32_e32 v11, v23, v6
	;; [unrolled: 1-line block ×4, first 2 shown]
	v_cndmask_b32_e64 v33, 1.0, v33, s[22:23]
	v_cndmask_b32_e64 v40, 1.0, v40, s[16:17]
	v_cndmask_b32_e64 v44, 1.0, v44, s[18:19]
	v_cndmask_b32_e64 v46, 1.0, v46, s[20:21]
	v_add_f32_e32 v6, v35, v8
	v_cmp_class_f32_e64 s[16:17], v35, s48
	v_add_f32_e32 v7, v36, v11
	v_cmp_class_f32_e64 s[18:19], v36, s48
	;; [unrolled: 2-line block ×4, first 2 shown]
	v_sub_f32_e32 v30, v6, v35
	v_cndmask_b32_e64 v6, v6, v35, s[16:17]
	v_sub_f32_e32 v31, v7, v36
	v_cndmask_b32_e64 v7, v7, v36, s[18:19]
	;; [unrolled: 2-line block ×4, first 2 shown]
	v_cmp_eq_f32_e64 s[16:17], s50, v6
	v_cmp_eq_f32_e64 s[18:19], s50, v7
	;; [unrolled: 1-line block ×4, first 2 shown]
	v_sub_f32_e32 v8, v8, v30
	v_cndmask_b32_e64 v30, 0, v18, s[16:17]
	v_sub_f32_e32 v11, v11, v31
	v_cmp_neq_f32_e64 s[16:17], |v7|, s49
	v_cndmask_b32_e64 v31, 0, v18, s[18:19]
	v_sub_f32_e32 v14, v14, v32
	v_cmp_neq_f32_e64 s[18:19], |v10|, s49
	;; [unrolled: 3-line block ×3, first 2 shown]
	v_cndmask_b32_e64 v34, 0, v18, s[22:23]
	v_cmp_neq_f32_e64 s[22:23], |v6|, s49
	v_sub_f32_e32 v6, v6, v30
	v_cndmask_b32_e64 v11, 0, v11, s[16:17]
	v_cndmask_b32_e64 v8, 0, v8, s[22:23]
	v_sub_f32_e32 v7, v7, v31
	v_cndmask_b32_e64 v14, 0, v14, s[18:19]
	v_sub_f32_e32 v10, v10, v32
	;; [unrolled: 2-line block ×3, first 2 shown]
	v_add_f32_e32 v8, v30, v8
	v_mul_f32_e32 v30, 0x3fb8aa3b, v6
	v_add_f32_e32 v11, v31, v11
	v_mul_f32_e32 v31, 0x3fb8aa3b, v7
	;; [unrolled: 2-line block ×4, first 2 shown]
	v_fma_f32 v35, v6, s51, -v30
	v_rndne_f32_e32 v36, v30
	v_fma_f32 v37, v7, s51, -v31
	v_rndne_f32_e32 v38, v31
	;; [unrolled: 2-line block ×4, first 2 shown]
	v_fmac_f32_e32 v35, 0x32a5705f, v6
	v_sub_f32_e32 v30, v30, v36
	v_fmac_f32_e32 v37, 0x32a5705f, v7
	v_sub_f32_e32 v31, v31, v38
	;; [unrolled: 2-line block ×4, first 2 shown]
	v_add_f32_e32 v30, v30, v35
	v_add_f32_e32 v31, v31, v37
	v_add_f32_e32 v32, v32, v39
	v_add_f32_e32 v34, v34, v47
	v_cvt_i32_f32_e32 v36, v36
	v_cvt_i32_f32_e32 v38, v38
	;; [unrolled: 1-line block ×4, first 2 shown]
	v_exp_f32_e32 v30, v30
	v_exp_f32_e32 v31, v31
	;; [unrolled: 1-line block ×4, first 2 shown]
	v_ldexp_f32 v30, v30, v36
	v_ldexp_f32 v31, v31, v38
	v_cmp_ngt_f32_e64 s[16:17], s52, v7
	v_ldexp_f32 v32, v32, v42
	v_cmp_ngt_f32_e64 s[18:19], s52, v10
	;; [unrolled: 2-line block ×3, first 2 shown]
	v_cmp_ngt_f32_e64 s[22:23], s52, v6
	v_cndmask_b32_e64 v31, 0, v31, s[16:17]
	v_cmp_nlt_f32_e64 s[16:17], s50, v7
	v_cndmask_b32_e64 v30, 0, v30, s[22:23]
	v_cndmask_b32_e64 v7, 0, v32, s[18:19]
	v_cmp_nlt_f32_e64 s[18:19], s50, v10
	v_cndmask_b32_e64 v10, 0, v34, s[20:21]
	v_cmp_nlt_f32_e64 s[20:21], s50, v12
	v_cmp_nlt_f32_e64 s[22:23], s50, v6
	v_cndmask_b32_e64 v12, v19, v31, s[16:17]
	v_cndmask_b32_e64 v7, v19, v7, s[18:19]
	;; [unrolled: 1-line block ×4, first 2 shown]
	v_fma_f32 v8, v6, v8, v6
	v_fma_f32 v11, v12, v11, v12
	v_cmp_class_f32_e64 s[16:17], v12, s48
	v_fma_f32 v14, v7, v14, v7
	v_cmp_class_f32_e64 s[18:19], v7, s48
	;; [unrolled: 2-line block ×3, first 2 shown]
	v_cmp_class_f32_e64 s[22:23], v6, s48
	v_cndmask_b32_e64 v58, 1.0, v26, s[24:25]
	v_cndmask_b32_e64 v62, 1.0, v29, s[26:27]
	;; [unrolled: 1-line block ×3, first 2 shown]
	v_cndmask_b32_e64 v6, v8, v6, s[22:23]
	v_cndmask_b32_e64 v8, v11, v12, s[16:17]
	;; [unrolled: 1-line block ×4, first 2 shown]
	v_cmp_class_f32_e64 s[44:45], v26, s48
	v_cndmask_b32_e64 v59, 0, v26, s[24:25]
	v_cmp_class_f32_e64 s[24:25], v29, s48
	v_cndmask_b32_e64 v63, 0, v29, s[26:27]
	;; [unrolled: 2-line block ×3, first 2 shown]
	v_cmp_class_f32_e64 s[28:29], v27, s48
	v_bfi_b32 v6, s53, v6, v58
	v_bfi_b32 v8, s53, v8, v62
	;; [unrolled: 1-line block ×4, first 2 shown]
	v_cndmask_b32_e64 v10, v20, v6, s[8:9]
	v_cndmask_b32_e64 v11, v20, v8, s[10:11]
	v_cmp_gt_f32_e64 s[8:9], 0, v29
	v_cndmask_b32_e64 v12, v20, v7, s[12:13]
	v_cmp_gt_f32_e64 s[10:11], 0, v28
	;; [unrolled: 2-line block ×3, first 2 shown]
	v_cmp_gt_f32_e64 s[14:15], 0, v26
	s_or_b64 s[2:3], s[2:3], s[24:25]
	s_or_b64 s[4:5], s[4:5], s[26:27]
	;; [unrolled: 1-line block ×4, first 2 shown]
	v_cndmask_b32_e64 v6, v6, v10, s[14:15]
	v_cndmask_b32_e64 v8, v8, v11, s[8:9]
	v_cmp_class_f32_e64 s[8:9], v23, s48
	v_cndmask_b32_e64 v7, v7, v12, s[10:11]
	v_cmp_class_f32_e64 s[10:11], v24, s48
	;; [unrolled: 2-line block ×3, first 2 shown]
	v_cmp_class_f32_e64 s[14:15], v22, s48
	s_add_u32 s34, s34, s33
	v_bfi_b32 v43, s53, v43, v59
	v_bfi_b32 v41, s53, v41, v63
	;; [unrolled: 1-line block ×3, first 2 shown]
	v_cndmask_b32_e64 v6, v6, v33, s[14:15]
	v_cndmask_b32_e64 v8, v8, v40, s[8:9]
	;; [unrolled: 1-line block ×4, first 2 shown]
	s_addc_u32 s35, s35, 0
	v_lshl_add_u64 v[4:5], s[36:37], 0, v[2:3]
	v_cndmask_b32_e64 v6, v6, v43, s[0:1]
	v_cndmask_b32_e64 v8, v8, v41, s[2:3]
	v_cmp_o_f32_e64 s[0:1], v29, v23
	v_cndmask_b32_e64 v7, v7, v45, s[4:5]
	v_cmp_o_f32_e64 s[2:3], v28, v24
	;; [unrolled: 2-line block ×3, first 2 shown]
	v_cmp_o_f32_e64 s[6:7], v26, v22
	s_add_u32 s36, s36, s33
	v_cndmask_b32_e64 v8, v20, v8, s[0:1]
	v_cndmask_b32_e64 v6, v20, v6, s[6:7]
	v_cndmask_b32_e64 v7, v20, v7, s[2:3]
	v_cndmask_b32_e64 v9, v20, v9, s[4:5]
	s_addc_u32 s37, s37, 0
	v_cvt_pk_f16_f32 v6, v6, v8
	v_cvt_pk_f16_f32 v7, v7, v9
	s_or_b64 s[42:43], vcc, s[42:43]
	global_store_dwordx2 v[4:5], v[6:7], off
	s_andn2_b64 exec, exec, s[42:43]
	s_cbranch_execnz .LBB70_24
.LBB70_25:
	s_endpgm
	.section	.rodata,"a",@progbits
	.p2align	6, 0x0
	.amdhsa_kernel _ZN2at6native12_GLOBAL__N_125multi_tensor_apply_kernelINS1_18TensorListMetadataILi2EEENS1_21BinaryOpScalarFunctorIN3c104HalfELi2ELi1ELi1EEEJNS1_13power_functorIfEEfEEEvT_T0_DpT1_
		.amdhsa_group_segment_fixed_size 0
		.amdhsa_private_segment_fixed_size 0
		.amdhsa_kernarg_size 3408
		.amdhsa_user_sgpr_count 2
		.amdhsa_user_sgpr_dispatch_ptr 0
		.amdhsa_user_sgpr_queue_ptr 0
		.amdhsa_user_sgpr_kernarg_segment_ptr 1
		.amdhsa_user_sgpr_dispatch_id 0
		.amdhsa_user_sgpr_kernarg_preload_length 0
		.amdhsa_user_sgpr_kernarg_preload_offset 0
		.amdhsa_user_sgpr_private_segment_size 0
		.amdhsa_uses_dynamic_stack 0
		.amdhsa_enable_private_segment 0
		.amdhsa_system_sgpr_workgroup_id_x 1
		.amdhsa_system_sgpr_workgroup_id_y 0
		.amdhsa_system_sgpr_workgroup_id_z 0
		.amdhsa_system_sgpr_workgroup_info 0
		.amdhsa_system_vgpr_workitem_id 0
		.amdhsa_next_free_vgpr 66
		.amdhsa_next_free_sgpr 70
		.amdhsa_accum_offset 68
		.amdhsa_reserve_vcc 1
		.amdhsa_float_round_mode_32 0
		.amdhsa_float_round_mode_16_64 0
		.amdhsa_float_denorm_mode_32 3
		.amdhsa_float_denorm_mode_16_64 3
		.amdhsa_dx10_clamp 1
		.amdhsa_ieee_mode 1
		.amdhsa_fp16_overflow 0
		.amdhsa_tg_split 0
		.amdhsa_exception_fp_ieee_invalid_op 0
		.amdhsa_exception_fp_denorm_src 0
		.amdhsa_exception_fp_ieee_div_zero 0
		.amdhsa_exception_fp_ieee_overflow 0
		.amdhsa_exception_fp_ieee_underflow 0
		.amdhsa_exception_fp_ieee_inexact 0
		.amdhsa_exception_int_div_zero 0
	.end_amdhsa_kernel
	.section	.text._ZN2at6native12_GLOBAL__N_125multi_tensor_apply_kernelINS1_18TensorListMetadataILi2EEENS1_21BinaryOpScalarFunctorIN3c104HalfELi2ELi1ELi1EEEJNS1_13power_functorIfEEfEEEvT_T0_DpT1_,"axG",@progbits,_ZN2at6native12_GLOBAL__N_125multi_tensor_apply_kernelINS1_18TensorListMetadataILi2EEENS1_21BinaryOpScalarFunctorIN3c104HalfELi2ELi1ELi1EEEJNS1_13power_functorIfEEfEEEvT_T0_DpT1_,comdat
.Lfunc_end70:
	.size	_ZN2at6native12_GLOBAL__N_125multi_tensor_apply_kernelINS1_18TensorListMetadataILi2EEENS1_21BinaryOpScalarFunctorIN3c104HalfELi2ELi1ELi1EEEJNS1_13power_functorIfEEfEEEvT_T0_DpT1_, .Lfunc_end70-_ZN2at6native12_GLOBAL__N_125multi_tensor_apply_kernelINS1_18TensorListMetadataILi2EEENS1_21BinaryOpScalarFunctorIN3c104HalfELi2ELi1ELi1EEEJNS1_13power_functorIfEEfEEEvT_T0_DpT1_
                                        ; -- End function
	.set _ZN2at6native12_GLOBAL__N_125multi_tensor_apply_kernelINS1_18TensorListMetadataILi2EEENS1_21BinaryOpScalarFunctorIN3c104HalfELi2ELi1ELi1EEEJNS1_13power_functorIfEEfEEEvT_T0_DpT1_.num_vgpr, 66
	.set _ZN2at6native12_GLOBAL__N_125multi_tensor_apply_kernelINS1_18TensorListMetadataILi2EEENS1_21BinaryOpScalarFunctorIN3c104HalfELi2ELi1ELi1EEEJNS1_13power_functorIfEEfEEEvT_T0_DpT1_.num_agpr, 0
	.set _ZN2at6native12_GLOBAL__N_125multi_tensor_apply_kernelINS1_18TensorListMetadataILi2EEENS1_21BinaryOpScalarFunctorIN3c104HalfELi2ELi1ELi1EEEJNS1_13power_functorIfEEfEEEvT_T0_DpT1_.numbered_sgpr, 70
	.set _ZN2at6native12_GLOBAL__N_125multi_tensor_apply_kernelINS1_18TensorListMetadataILi2EEENS1_21BinaryOpScalarFunctorIN3c104HalfELi2ELi1ELi1EEEJNS1_13power_functorIfEEfEEEvT_T0_DpT1_.num_named_barrier, 0
	.set _ZN2at6native12_GLOBAL__N_125multi_tensor_apply_kernelINS1_18TensorListMetadataILi2EEENS1_21BinaryOpScalarFunctorIN3c104HalfELi2ELi1ELi1EEEJNS1_13power_functorIfEEfEEEvT_T0_DpT1_.private_seg_size, 0
	.set _ZN2at6native12_GLOBAL__N_125multi_tensor_apply_kernelINS1_18TensorListMetadataILi2EEENS1_21BinaryOpScalarFunctorIN3c104HalfELi2ELi1ELi1EEEJNS1_13power_functorIfEEfEEEvT_T0_DpT1_.uses_vcc, 1
	.set _ZN2at6native12_GLOBAL__N_125multi_tensor_apply_kernelINS1_18TensorListMetadataILi2EEENS1_21BinaryOpScalarFunctorIN3c104HalfELi2ELi1ELi1EEEJNS1_13power_functorIfEEfEEEvT_T0_DpT1_.uses_flat_scratch, 0
	.set _ZN2at6native12_GLOBAL__N_125multi_tensor_apply_kernelINS1_18TensorListMetadataILi2EEENS1_21BinaryOpScalarFunctorIN3c104HalfELi2ELi1ELi1EEEJNS1_13power_functorIfEEfEEEvT_T0_DpT1_.has_dyn_sized_stack, 0
	.set _ZN2at6native12_GLOBAL__N_125multi_tensor_apply_kernelINS1_18TensorListMetadataILi2EEENS1_21BinaryOpScalarFunctorIN3c104HalfELi2ELi1ELi1EEEJNS1_13power_functorIfEEfEEEvT_T0_DpT1_.has_recursion, 0
	.set _ZN2at6native12_GLOBAL__N_125multi_tensor_apply_kernelINS1_18TensorListMetadataILi2EEENS1_21BinaryOpScalarFunctorIN3c104HalfELi2ELi1ELi1EEEJNS1_13power_functorIfEEfEEEvT_T0_DpT1_.has_indirect_call, 0
	.section	.AMDGPU.csdata,"",@progbits
; Kernel info:
; codeLenInByte = 9820
; TotalNumSgprs: 76
; NumVgprs: 66
; NumAgprs: 0
; TotalNumVgprs: 66
; ScratchSize: 0
; MemoryBound: 0
; FloatMode: 240
; IeeeMode: 1
; LDSByteSize: 0 bytes/workgroup (compile time only)
; SGPRBlocks: 9
; VGPRBlocks: 8
; NumSGPRsForWavesPerEU: 76
; NumVGPRsForWavesPerEU: 66
; AccumOffset: 68
; Occupancy: 7
; WaveLimiterHint : 0
; COMPUTE_PGM_RSRC2:SCRATCH_EN: 0
; COMPUTE_PGM_RSRC2:USER_SGPR: 2
; COMPUTE_PGM_RSRC2:TRAP_HANDLER: 0
; COMPUTE_PGM_RSRC2:TGID_X_EN: 1
; COMPUTE_PGM_RSRC2:TGID_Y_EN: 0
; COMPUTE_PGM_RSRC2:TGID_Z_EN: 0
; COMPUTE_PGM_RSRC2:TIDIG_COMP_CNT: 0
; COMPUTE_PGM_RSRC3_GFX90A:ACCUM_OFFSET: 16
; COMPUTE_PGM_RSRC3_GFX90A:TG_SPLIT: 0
	.section	.text._ZN2at6native12_GLOBAL__N_125multi_tensor_apply_kernelINS1_18TensorListMetadataILi2EEENS1_21BinaryOpScalarFunctorIN3c108BFloat16ELi2ELi1ELi1EEEJNS1_13power_functorIfEEfEEEvT_T0_DpT1_,"axG",@progbits,_ZN2at6native12_GLOBAL__N_125multi_tensor_apply_kernelINS1_18TensorListMetadataILi2EEENS1_21BinaryOpScalarFunctorIN3c108BFloat16ELi2ELi1ELi1EEEJNS1_13power_functorIfEEfEEEvT_T0_DpT1_,comdat
	.globl	_ZN2at6native12_GLOBAL__N_125multi_tensor_apply_kernelINS1_18TensorListMetadataILi2EEENS1_21BinaryOpScalarFunctorIN3c108BFloat16ELi2ELi1ELi1EEEJNS1_13power_functorIfEEfEEEvT_T0_DpT1_ ; -- Begin function _ZN2at6native12_GLOBAL__N_125multi_tensor_apply_kernelINS1_18TensorListMetadataILi2EEENS1_21BinaryOpScalarFunctorIN3c108BFloat16ELi2ELi1ELi1EEEJNS1_13power_functorIfEEfEEEvT_T0_DpT1_
	.p2align	8
	.type	_ZN2at6native12_GLOBAL__N_125multi_tensor_apply_kernelINS1_18TensorListMetadataILi2EEENS1_21BinaryOpScalarFunctorIN3c108BFloat16ELi2ELi1ELi1EEEJNS1_13power_functorIfEEfEEEvT_T0_DpT1_,@function
_ZN2at6native12_GLOBAL__N_125multi_tensor_apply_kernelINS1_18TensorListMetadataILi2EEENS1_21BinaryOpScalarFunctorIN3c108BFloat16ELi2ELi1ELi1EEEJNS1_13power_functorIfEEfEEEvT_T0_DpT1_: ; @_ZN2at6native12_GLOBAL__N_125multi_tensor_apply_kernelINS1_18TensorListMetadataILi2EEENS1_21BinaryOpScalarFunctorIN3c108BFloat16ELi2ELi1ELi1EEEJNS1_13power_functorIfEEfEEEvT_T0_DpT1_
; %bb.0:
	v_mov_b32_e32 v1, s2
	global_load_ubyte v1, v1, s[0:1] offset:1536
	s_add_u32 s4, s0, s2
	s_mul_hi_u32 s7, s2, 3
	s_mul_i32 s2, s2, 3
	s_addc_u32 s8, s1, 0
	s_add_u32 s6, s4, s2
	s_addc_u32 s7, s8, s7
	s_load_dword s6, s[6:7], 0x740
	s_mov_b32 s3, 0
	s_mov_b32 s5, s3
	s_waitcnt lgkmcnt(0)
	s_ashr_i32 s7, s6, 31
	s_lshl_b64 s[20:21], s[6:7], 17
	s_lshl_b64 s[6:7], s[6:7], 16
	s_waitcnt vmcnt(0)
	v_readfirstlane_b32 s2, v1
	s_lshl_b32 s2, s2, 3
	s_load_dword s33, s[0:1], 0xc4c
	s_load_dwordx2 s[8:9], s[0:1], s2 offset:0x400
	s_load_dwordx2 s[44:45], s[0:1], s2 offset:0x0
	;; [unrolled: 1-line block ×3, first 2 shown]
	s_waitcnt lgkmcnt(0)
	s_add_u32 s2, s44, s20
	s_and_b32 s4, s46, 7
	s_and_b32 s2, s2, 7
	s_sub_u32 s22, s8, s6
	s_subb_u32 s23, s9, s7
	s_and_b32 s6, s8, 3
	s_mov_b32 s7, s3
	s_or_b64 s[4:5], s[4:5], s[6:7]
	s_or_b64 s[2:3], s[4:5], s[2:3]
	s_cmp_eq_u64 s[2:3], 0
	s_mov_b64 s[2:3], -1
	s_cbranch_scc1 .LBB71_21
; %bb.1:
	v_cmp_lt_i64_e64 s[2:3], s[22:23], 1
	s_and_b64 vcc, exec, s[2:3]
	s_cbranch_vccnz .LBB71_20
; %bb.2:
	s_load_dword s2, s[0:1], 0xc5c
	v_mov_b64_e32 v[2:3], 0x10000
	v_cmp_lt_i64_e32 vcc, s[22:23], v[2:3]
	s_and_b64 s[4:5], vcc, exec
	s_cselect_b32 s25, s23, 0
	s_cselect_b32 s24, s22, 0x10000
	s_waitcnt lgkmcnt(0)
	s_and_b32 s2, s2, 0xffff
	v_cmp_lt_u64_e32 vcc, s[22:23], v[2:3]
	s_mov_b32 s3, 0
	v_mov_b32_e32 v1, 0
	s_and_b64 s[4:5], vcc, exec
	s_cselect_b32 s27, s23, 0
	s_cselect_b32 s26, s22, 0x10000
	s_lshl_b32 s28, s2, 2
	s_mov_b32 s29, s3
	v_lshlrev_b32_e32 v12, 1, v0
	v_mov_b32_e32 v13, v1
	v_lshl_add_u64 v[18:19], v[0:1], 0, s[2:3]
	s_lshl_b32 s4, s2, 1
	s_mov_b32 s5, s3
	s_mul_i32 s6, s2, 3
	s_mov_b32 s7, s3
	v_mad_u64_u32 v[8:9], s[8:9], s2, 6, v[12:13]
	v_lshl_add_u64 v[14:15], s[28:29], 0, v[12:13]
	v_lshlrev_b32_e32 v22, 1, v18
	v_mov_b32_e32 v23, v1
	s_mov_b32 s36, 0x31739010
	s_mov_b32 s40, s33
	v_lshl_add_u64 v[2:3], s[44:45], 0, v[12:13]
	s_lshl_b32 s30, s2, 3
	s_mov_b32 s31, s3
	v_lshl_add_u64 v[4:5], s[46:47], 0, v[12:13]
	v_lshl_add_u64 v[6:7], s[44:45], 0, v[8:9]
	;; [unrolled: 1-line block ×9, first 2 shown]
	s_mov_b64 s[34:35], 0
	s_movk_i32 s41, 0x204
	s_mov_b32 s42, 0x7f800000
	s_brev_b32 s43, -2
	s_mov_b32 s48, 0x3f2aaaab
	s_mov_b32 s49, 0x3f317218
	v_mov_b32_e32 v28, 0x3e91f4c4
	s_mov_b32 s29, 0x3f2aaaaa
	s_mov_b32 s37, 0xbf2aaaaa
	;; [unrolled: 1-line block ×5, first 2 shown]
	s_movk_i32 s53, 0x7fff
	v_mov_b32_e32 v29, 0x204
	v_mov_b32_e32 v30, 0x7f800000
	;; [unrolled: 1-line block ×6, first 2 shown]
                                        ; implicit-def: $vgpr24
	s_branch .LBB71_4
.LBB71_3:                               ;   in Loop: Header=BB71_4 Depth=1
	s_or_b64 exec, exec, s[2:3]
	s_add_u32 s34, s34, s28
	s_addc_u32 s35, s35, 0
	v_mov_b64_e32 v[26:27], s[24:25]
	v_cmp_lt_i64_e32 vcc, s[34:35], v[26:27]
	v_lshl_add_u64 v[2:3], v[2:3], 0, s[30:31]
	v_lshl_add_u64 v[4:5], v[4:5], 0, s[30:31]
	;; [unrolled: 1-line block ×8, first 2 shown]
	s_cbranch_vccz .LBB71_20
.LBB71_4:                               ; =>This Inner Loop Header: Depth=1
	v_lshl_add_u64 v[26:27], v[0:1], 0, s[34:35]
	v_cmp_gt_u64_e32 vcc, s[26:27], v[26:27]
	v_mov_b32_e32 v26, 0
	s_and_saveexec_b64 s[2:3], vcc
	s_cbranch_execz .LBB71_6
; %bb.5:                                ;   in Loop: Header=BB71_4 Depth=1
	v_lshl_add_u64 v[26:27], v[2:3], 0, s[20:21]
	global_load_ushort v24, v[26:27], off
	s_waitcnt vmcnt(0)
	v_lshlrev_b32_e32 v26, 16, v24
.LBB71_6:                               ;   in Loop: Header=BB71_4 Depth=1
	s_or_b64 exec, exec, s[2:3]
	v_lshl_add_u64 v[34:35], v[18:19], 0, s[34:35]
	v_cmp_gt_u64_e64 s[6:7], s[26:27], v[34:35]
	v_mov_b32_e32 v34, 0
	v_mov_b32_e32 v24, 0
	s_and_saveexec_b64 s[2:3], s[6:7]
	s_cbranch_execz .LBB71_8
; %bb.7:                                ;   in Loop: Header=BB71_4 Depth=1
	v_lshl_add_u64 v[36:37], v[20:21], 0, s[20:21]
	global_load_ushort v24, v[36:37], off
	s_waitcnt vmcnt(0)
	v_lshlrev_b32_e32 v24, 16, v24
.LBB71_8:                               ;   in Loop: Header=BB71_4 Depth=1
	s_or_b64 exec, exec, s[2:3]
	v_lshl_add_u64 v[36:37], v[16:17], 0, s[34:35]
	v_cmp_gt_u64_e64 s[2:3], s[26:27], v[36:37]
	s_and_saveexec_b64 s[4:5], s[2:3]
	s_cbranch_execz .LBB71_10
; %bb.9:                                ;   in Loop: Header=BB71_4 Depth=1
	v_lshl_add_u64 v[34:35], v[12:13], 0, s[20:21]
	global_load_ushort v27, v[34:35], off
	s_waitcnt vmcnt(0)
	v_lshlrev_b32_e32 v34, 16, v27
.LBB71_10:                              ;   in Loop: Header=BB71_4 Depth=1
	s_or_b64 exec, exec, s[4:5]
	v_lshl_add_u64 v[36:37], v[10:11], 0, s[34:35]
	v_cmp_gt_u64_e64 s[4:5], s[26:27], v[36:37]
	v_mov_b32_e32 v35, 0
	s_and_saveexec_b64 s[8:9], s[4:5]
	s_cbranch_execnz .LBB71_18
; %bb.11:                               ;   in Loop: Header=BB71_4 Depth=1
	s_or_b64 exec, exec, s[8:9]
	s_and_saveexec_b64 s[16:17], vcc
	s_cbranch_execnz .LBB71_19
.LBB71_12:                              ;   in Loop: Header=BB71_4 Depth=1
	s_or_b64 exec, exec, s[16:17]
	s_and_saveexec_b64 s[10:11], s[6:7]
	s_cbranch_execz .LBB71_14
.LBB71_13:                              ;   in Loop: Header=BB71_4 Depth=1
	v_mov_b32_e32 v26, s33
	v_cmp_neq_f32_e32 vcc, 1.0, v24
	s_nop 1
	v_cndmask_b32_e32 v48, 1.0, v26, vcc
	v_cmp_neq_f32_e32 vcc, 0, v48
	v_cmp_neq_f32_e64 s[8:9], v48, |v48|
	s_nop 0
	v_cndmask_b32_e32 v49, 1.0, v24, vcc
	v_frexp_mant_f32_e64 v24, |v49|
	v_cmp_gt_f32_e32 vcc, s48, v24
	v_cmp_lt_f32_e64 s[12:13], |v49|, 1.0
	s_xor_b64 s[8:9], s[8:9], s[12:13]
	v_cndmask_b32_e64 v26, 1.0, 2.0, vcc
	v_mul_f32_e32 v24, v24, v26
	v_add_f32_e32 v26, 1.0, v24
	v_rcp_f32_e32 v42, v26
	v_add_f32_e32 v27, -1.0, v26
	v_sub_f32_e32 v37, v24, v27
	v_add_f32_e32 v27, -1.0, v24
	v_mul_f32_e32 v24, v27, v42
	v_mul_f32_e32 v36, v26, v24
	v_fma_f32 v38, v24, v26, -v36
	v_fmac_f32_e32 v38, v24, v37
	v_add_f32_e32 v26, v36, v38
	v_sub_f32_e32 v37, v27, v26
	v_pk_add_f32 v[40:41], v[26:27], v[36:37] neg_lo:[0,1] neg_hi:[0,1]
	v_mov_b32_e32 v39, v26
	v_pk_add_f32 v[26:27], v[40:41], v[38:39] neg_lo:[0,1] neg_hi:[0,1]
	v_cmp_class_f32_e64 s[12:13], v49, s41
	v_add_f32_e32 v26, v26, v27
	v_add_f32_e32 v26, v37, v26
	v_mul_f32_e32 v27, v42, v26
	v_add_f32_e32 v26, v24, v27
	v_sub_f32_e32 v24, v26, v24
	v_sub_f32_e32 v44, v27, v24
	v_mul_f32_e32 v24, v26, v26
	v_fma_f32 v27, v26, v26, -v24
	v_add_f32_e32 v36, v44, v44
	v_fmac_f32_e32 v27, v26, v36
	v_add_f32_e32 v36, v24, v27
	v_fmamk_f32 v37, v36, 0x3e76c4e1, v28
	v_fmaak_f32 v37, v36, v37, 0x3ecccdef
	v_sub_f32_e32 v24, v36, v24
	v_sub_f32_e32 v45, v27, v24
	v_mul_f32_e32 v27, v36, v37
	v_fma_f32 v24, v36, v37, -v27
	v_fmac_f32_e32 v24, v45, v37
	v_add_f32_e32 v39, v27, v24
	v_sub_f32_e32 v38, v39, v27
	v_pk_add_f32 v[40:41], v[24:25], v[38:39] neg_lo:[0,1] neg_hi:[0,1]
	v_pk_add_f32 v[42:43], v[38:39], s[28:29]
	s_nop 0
	v_mov_b32_e32 v41, v43
	v_pk_add_f32 v[40:41], v[40:41], s[36:37]
	s_nop 0
	v_sub_f32_e32 v37, v39, v41
	v_mov_b32_e32 v27, v40
	v_pk_mul_f32 v[38:39], v[26:27], v[36:37]
	v_pk_add_f32 v[40:41], v[40:41], v[36:37] op_sel_hi:[0,1]
	v_fma_f32 v42, v36, v26, -v38
	v_fmac_f32_e32 v42, v36, v44
	v_mov_b32_e32 v39, v41
	v_fmac_f32_e32 v42, v45, v26
	v_pk_add_f32 v[36:37], v[38:39], v[42:43]
	s_nop 0
	v_sub_f32_e32 v27, v43, v37
	v_sub_f32_e32 v24, v36, v38
	v_add_f32_e32 v27, v41, v27
	v_pk_mul_f32 v[38:39], v[36:37], v[36:37] op_sel:[0,1] op_sel_hi:[1,0]
	v_cvt_f64_f32_e64 v[40:41], |v49|
	v_frexp_exp_i32_f64_e32 v39, v[40:41]
	v_subbrev_co_u32_e32 v39, vcc, 0, v39, vcc
	v_cvt_f32_i32_e32 v39, v39
	v_fma_f32 v40, v36, v37, -v38
	v_sub_f32_e32 v24, v42, v24
	v_fmac_f32_e32 v40, v36, v27
	v_mul_f32_e32 v36, 0x3f317218, v39
	v_fmac_f32_e32 v40, v24, v37
	v_fma_f32 v42, v39, s49, -v36
	v_fmac_f32_e32 v42, 0xb102e308, v39
	v_ldexp_f32 v43, v26, 1
	v_add_f32_e32 v37, v38, v40
	v_pk_add_f32 v[26:27], v[36:37], v[42:43]
	v_ldexp_f32 v24, v44, 1
	v_mov_b32_e32 v44, v37
	v_mov_b32_e32 v45, v27
	;; [unrolled: 1-line block ×3, first 2 shown]
	v_pk_add_f32 v[38:39], v[44:45], v[38:39] neg_lo:[0,1] neg_hi:[0,1]
	v_mov_b32_e32 v41, v37
	v_pk_add_f32 v[38:39], v[40:41], v[38:39] neg_lo:[0,1] neg_hi:[0,1]
	v_mov_b32_e32 v43, v26
	v_add_f32_e32 v24, v24, v38
	v_add_f32_e32 v37, v24, v39
	v_pk_add_f32 v[38:39], v[26:27], v[36:37] neg_lo:[0,1] neg_hi:[0,1]
	v_pk_add_f32 v[40:41], v[26:27], v[36:37]
	v_mov_b32_e32 v36, v37
	v_mov_b32_e32 v39, v41
	v_pk_add_f32 v[44:45], v[42:43], v[38:39] neg_lo:[0,1] neg_hi:[0,1]
	v_pk_add_f32 v[38:39], v[42:43], v[38:39]
	v_mov_b32_e32 v37, v26
	v_pk_add_f32 v[42:43], v[38:39], v[26:27] op_sel:[1,0] op_sel_hi:[0,1] neg_lo:[0,1] neg_hi:[0,1]
	v_pk_add_f32 v[46:47], v[40:41], v[42:43] op_sel_hi:[1,0] neg_lo:[0,1] neg_hi:[0,1]
	v_mov_b32_e32 v40, v41
	v_mov_b32_e32 v41, v39
	v_pk_mov_b32 v[42:43], v[26:27], v[42:43] op_sel:[1,0]
	v_mov_b32_e32 v46, v44
	v_pk_add_f32 v[40:41], v[40:41], v[42:43] neg_lo:[0,1] neg_hi:[0,1]
	v_mov_b32_e32 v45, v39
	v_pk_add_f32 v[26:27], v[36:37], v[40:41] neg_lo:[0,1] neg_hi:[0,1]
	s_nop 0
	v_pk_add_f32 v[36:37], v[46:47], v[26:27]
	s_nop 0
	v_pk_add_f32 v[40:41], v[36:37], v[36:37] op_sel:[0,1] op_sel_hi:[1,0]
	s_nop 0
	v_pk_add_f32 v[38:39], v[38:39], v[40:41] op_sel:[1,0] op_sel_hi:[0,1]
	v_mov_b32_e32 v37, v38
	v_pk_add_f32 v[42:43], v[36:37], v[44:45] neg_lo:[0,1] neg_hi:[0,1]
	v_mov_b32_e32 v27, v40
	v_sub_f32_e32 v24, v36, v42
	v_pk_add_f32 v[26:27], v[26:27], v[42:43] neg_lo:[0,1] neg_hi:[0,1]
	v_sub_f32_e32 v24, v44, v24
	v_add_f32_e32 v24, v26, v24
	v_add_f32_e32 v24, v24, v27
	;; [unrolled: 1-line block ×3, first 2 shown]
	v_sub_f32_e32 v27, v26, v38
	v_sub_f32_e32 v24, v24, v27
	v_mul_f32_e32 v27, v48, v26
	v_fma_f32 v26, v48, v26, -v27
	v_fmac_f32_e32 v26, v48, v24
	v_add_f32_e32 v24, v27, v26
	v_cmp_class_f32_e64 vcc, v27, s41
	v_sub_f32_e32 v36, v24, v27
	v_sub_f32_e32 v26, v26, v36
	v_cndmask_b32_e32 v24, v24, v27, vcc
	v_cmp_eq_f32_e32 vcc, s50, v24
	s_nop 1
	v_cndmask_b32_e32 v27, 0, v31, vcc
	v_sub_f32_e32 v36, v24, v27
	v_mul_f32_e32 v37, 0x3fb8aa3b, v36
	v_fma_f32 v38, v36, s51, -v37
	v_rndne_f32_e32 v39, v37
	v_fmac_f32_e32 v38, 0x32a5705f, v36
	v_sub_f32_e32 v37, v37, v39
	v_add_f32_e32 v37, v37, v38
	v_exp_f32_e32 v37, v37
	v_cvt_i32_f32_e32 v38, v39
	v_cmp_neq_f32_e64 vcc, |v24|, s42
	s_nop 1
	v_cndmask_b32_e32 v24, 0, v26, vcc
	v_ldexp_f32 v26, v37, v38
	v_cmp_ngt_f32_e32 vcc, s52, v36
	v_add_f32_e32 v24, v27, v24
	s_nop 0
	v_cndmask_b32_e32 v26, 0, v26, vcc
	v_cmp_nlt_f32_e32 vcc, s50, v36
	s_nop 1
	v_cndmask_b32_e32 v26, v30, v26, vcc
	v_fma_f32 v24, v26, v24, v26
	v_cmp_class_f32_e64 vcc, v26, s41
	s_nop 1
	v_cndmask_b32_e32 v24, v24, v26, vcc
	v_trunc_f32_e32 v26, v48
	v_cmp_eq_f32_e32 vcc, v26, v48
	v_mul_f32_e32 v26, 0.5, v48
	v_trunc_f32_e32 v27, v26
	v_cmp_neq_f32_e64 s[6:7], v27, v26
	s_and_b64 s[6:7], vcc, s[6:7]
	s_nop 0
	v_cndmask_b32_e64 v26, 1.0, v49, s[6:7]
	v_bfi_b32 v24, s43, v24, v26
	v_cndmask_b32_e32 v26, v32, v24, vcc
	v_cmp_gt_f32_e32 vcc, 0, v49
	v_cndmask_b32_e64 v27, 0, v49, s[6:7]
	s_nop 0
	v_cndmask_b32_e32 v24, v24, v26, vcc
	v_cndmask_b32_e64 v26, v30, 0, s[8:9]
	v_cmp_neq_f32_e64 vcc, |v49|, 1.0
	v_cmp_gt_f32_e64 s[8:9], 0, v48
	s_nop 0
	v_cndmask_b32_e32 v26, 1.0, v26, vcc
	v_cmp_class_f32_e64 vcc, v48, s41
	s_nop 1
	v_cndmask_b32_e32 v24, v24, v26, vcc
	v_cmp_eq_f32_e32 vcc, 0, v49
	s_xor_b64 s[8:9], s[8:9], vcc
	v_cndmask_b32_e64 v26, v30, 0, s[8:9]
	v_bfi_b32 v26, s43, v26, v27
	s_or_b64 vcc, vcc, s[12:13]
	v_cndmask_b32_e32 v24, v24, v26, vcc
	v_cmp_o_f32_e32 vcc, v49, v48
	s_nop 1
	v_cndmask_b32_e32 v24, v32, v24, vcc
	v_bfe_u32 v26, v24, 16, 1
	v_add3_u32 v26, v24, v26, s53
	v_cmp_o_f32_e32 vcc, v24, v24
	s_nop 1
	v_cndmask_b32_sdwa v24, v33, v26, vcc dst_sel:DWORD dst_unused:UNUSED_PAD src0_sel:DWORD src1_sel:WORD_1
	v_lshl_add_u64 v[26:27], v[22:23], 0, s[20:21]
	global_store_short v[26:27], v24, off
.LBB71_14:                              ;   in Loop: Header=BB71_4 Depth=1
	s_or_b64 exec, exec, s[10:11]
	v_mov_b32_e32 v24, s40
	v_cmp_neq_f32_e32 vcc, 1.0, v34
	s_nop 1
	v_cndmask_b32_e32 v27, 1.0, v24, vcc
	v_mov_b32_e32 v24, s33
	v_cmp_neq_f32_e32 vcc, 1.0, v35
	v_cmp_gt_f32_e64 s[18:19], 0, v27
	s_nop 0
	v_cndmask_b32_e32 v26, 1.0, v24, vcc
	v_cmp_neq_f32_e32 vcc, 0, v26
	v_cmp_neq_f32_e64 s[12:13], v26, |v26|
	s_nop 0
	v_cndmask_b32_e32 v48, 1.0, v35, vcc
	v_cmp_neq_f32_e32 vcc, 0, v27
	v_cmp_lt_f32_e64 s[16:17], |v48|, 1.0
	s_nop 0
	v_cndmask_b32_e32 v49, 1.0, v34, vcc
	v_frexp_mant_f32_e64 v24, |v49|
	v_cmp_gt_f32_e32 vcc, s48, v24
	v_cmp_lt_f32_e64 s[14:15], |v49|, 1.0
	s_nop 0
	v_cndmask_b32_e64 v34, 1.0, 2.0, vcc
	v_mul_f32_e32 v24, v24, v34
	v_add_f32_e32 v34, 1.0, v24
	v_rcp_f32_e32 v42, v34
	v_add_f32_e32 v35, -1.0, v34
	v_sub_f32_e32 v37, v24, v35
	v_add_f32_e32 v35, -1.0, v24
	v_mul_f32_e32 v24, v35, v42
	v_mul_f32_e32 v36, v34, v24
	v_fma_f32 v38, v24, v34, -v36
	v_fmac_f32_e32 v38, v24, v37
	v_add_f32_e32 v34, v36, v38
	v_sub_f32_e32 v37, v35, v34
	v_pk_add_f32 v[40:41], v[34:35], v[36:37] neg_lo:[0,1] neg_hi:[0,1]
	v_mov_b32_e32 v39, v34
	v_pk_add_f32 v[34:35], v[40:41], v[38:39] neg_lo:[0,1] neg_hi:[0,1]
	s_nop 0
	v_add_f32_e32 v34, v34, v35
	v_add_f32_e32 v34, v37, v34
	v_mul_f32_e32 v35, v42, v34
	v_add_f32_e32 v34, v24, v35
	v_sub_f32_e32 v24, v34, v24
	v_sub_f32_e32 v44, v35, v24
	v_mul_f32_e32 v24, v34, v34
	v_fma_f32 v35, v34, v34, -v24
	v_add_f32_e32 v36, v44, v44
	v_fmac_f32_e32 v35, v34, v36
	v_add_f32_e32 v36, v24, v35
	v_fmamk_f32 v37, v36, 0x3e76c4e1, v28
	v_fmaak_f32 v37, v36, v37, 0x3ecccdef
	v_sub_f32_e32 v24, v36, v24
	v_sub_f32_e32 v45, v35, v24
	v_mul_f32_e32 v35, v36, v37
	v_fma_f32 v24, v36, v37, -v35
	v_fmac_f32_e32 v24, v45, v37
	v_add_f32_e32 v39, v35, v24
	v_sub_f32_e32 v38, v39, v35
	v_pk_add_f32 v[40:41], v[24:25], v[38:39] neg_lo:[0,1] neg_hi:[0,1]
	v_pk_add_f32 v[42:43], v[38:39], s[28:29]
	s_nop 0
	v_mov_b32_e32 v41, v43
	v_pk_add_f32 v[40:41], v[40:41], s[36:37]
	s_nop 0
	v_sub_f32_e32 v37, v39, v41
	v_mov_b32_e32 v35, v40
	v_pk_mul_f32 v[38:39], v[34:35], v[36:37]
	v_pk_add_f32 v[40:41], v[40:41], v[36:37] op_sel_hi:[0,1]
	v_fma_f32 v42, v36, v34, -v38
	v_fmac_f32_e32 v42, v36, v44
	v_mov_b32_e32 v39, v41
	v_fmac_f32_e32 v42, v45, v34
	v_pk_add_f32 v[36:37], v[38:39], v[42:43]
	s_nop 0
	v_sub_f32_e32 v35, v43, v37
	v_sub_f32_e32 v24, v36, v38
	v_add_f32_e32 v35, v41, v35
	v_pk_mul_f32 v[38:39], v[36:37], v[36:37] op_sel:[0,1] op_sel_hi:[1,0]
	v_cvt_f64_f32_e64 v[40:41], |v49|
	v_frexp_exp_i32_f64_e32 v39, v[40:41]
	v_subbrev_co_u32_e32 v39, vcc, 0, v39, vcc
	v_cvt_f32_i32_e32 v39, v39
	v_fma_f32 v40, v36, v37, -v38
	v_sub_f32_e32 v24, v42, v24
	v_fmac_f32_e32 v40, v36, v35
	v_mul_f32_e32 v36, 0x3f317218, v39
	v_fmac_f32_e32 v40, v24, v37
	v_fma_f32 v42, v39, s49, -v36
	v_fmac_f32_e32 v42, 0xb102e308, v39
	v_ldexp_f32 v43, v34, 1
	v_add_f32_e32 v37, v38, v40
	v_pk_add_f32 v[34:35], v[36:37], v[42:43]
	v_ldexp_f32 v24, v44, 1
	v_mov_b32_e32 v44, v37
	v_mov_b32_e32 v45, v35
	;; [unrolled: 1-line block ×3, first 2 shown]
	v_pk_add_f32 v[38:39], v[44:45], v[38:39] neg_lo:[0,1] neg_hi:[0,1]
	v_mov_b32_e32 v41, v37
	v_pk_add_f32 v[38:39], v[40:41], v[38:39] neg_lo:[0,1] neg_hi:[0,1]
	v_mov_b32_e32 v43, v34
	v_add_f32_e32 v24, v24, v38
	v_add_f32_e32 v37, v24, v39
	v_pk_add_f32 v[38:39], v[34:35], v[36:37] neg_lo:[0,1] neg_hi:[0,1]
	v_pk_add_f32 v[40:41], v[34:35], v[36:37]
	v_mov_b32_e32 v36, v37
	v_mov_b32_e32 v39, v41
	v_pk_add_f32 v[44:45], v[42:43], v[38:39] neg_lo:[0,1] neg_hi:[0,1]
	v_pk_add_f32 v[38:39], v[42:43], v[38:39]
	v_mov_b32_e32 v37, v34
	v_pk_add_f32 v[42:43], v[38:39], v[34:35] op_sel:[1,0] op_sel_hi:[0,1] neg_lo:[0,1] neg_hi:[0,1]
	v_pk_add_f32 v[46:47], v[40:41], v[42:43] op_sel_hi:[1,0] neg_lo:[0,1] neg_hi:[0,1]
	v_mov_b32_e32 v40, v41
	v_mov_b32_e32 v41, v39
	v_pk_mov_b32 v[42:43], v[34:35], v[42:43] op_sel:[1,0]
	v_mov_b32_e32 v46, v44
	v_pk_add_f32 v[40:41], v[40:41], v[42:43] neg_lo:[0,1] neg_hi:[0,1]
	v_mov_b32_e32 v45, v39
	v_pk_add_f32 v[34:35], v[36:37], v[40:41] neg_lo:[0,1] neg_hi:[0,1]
	s_nop 0
	v_pk_add_f32 v[36:37], v[46:47], v[34:35]
	s_nop 0
	v_pk_add_f32 v[40:41], v[36:37], v[36:37] op_sel:[0,1] op_sel_hi:[1,0]
	s_nop 0
	v_pk_add_f32 v[38:39], v[38:39], v[40:41] op_sel:[1,0] op_sel_hi:[0,1]
	v_mov_b32_e32 v37, v38
	v_pk_add_f32 v[42:43], v[36:37], v[44:45] neg_lo:[0,1] neg_hi:[0,1]
	v_mov_b32_e32 v35, v40
	v_sub_f32_e32 v24, v36, v42
	v_pk_add_f32 v[34:35], v[34:35], v[42:43] neg_lo:[0,1] neg_hi:[0,1]
	v_sub_f32_e32 v24, v44, v24
	v_add_f32_e32 v24, v34, v24
	v_add_f32_e32 v24, v24, v35
	v_add_f32_e32 v34, v38, v24
	v_sub_f32_e32 v35, v34, v38
	v_sub_f32_e32 v24, v24, v35
	v_mul_f32_e32 v35, v27, v34
	v_fma_f32 v34, v27, v34, -v35
	v_fmac_f32_e32 v34, v27, v24
	v_add_f32_e32 v24, v35, v34
	v_cmp_class_f32_e64 vcc, v35, s41
	v_sub_f32_e32 v36, v24, v35
	v_sub_f32_e32 v50, v34, v36
	v_cndmask_b32_e32 v51, v24, v35, vcc
	v_frexp_mant_f32_e64 v24, |v48|
	v_cmp_gt_f32_e32 vcc, s48, v24
	s_nop 1
	v_cndmask_b32_e64 v34, 1.0, 2.0, vcc
	v_mul_f32_e32 v24, v24, v34
	v_add_f32_e32 v34, 1.0, v24
	v_rcp_f32_e32 v42, v34
	v_add_f32_e32 v35, -1.0, v34
	v_sub_f32_e32 v37, v24, v35
	v_add_f32_e32 v35, -1.0, v24
	v_mul_f32_e32 v24, v35, v42
	v_mul_f32_e32 v36, v34, v24
	v_fma_f32 v38, v24, v34, -v36
	v_fmac_f32_e32 v38, v24, v37
	v_add_f32_e32 v34, v36, v38
	v_sub_f32_e32 v37, v35, v34
	v_pk_add_f32 v[40:41], v[34:35], v[36:37] neg_lo:[0,1] neg_hi:[0,1]
	v_mov_b32_e32 v39, v34
	v_pk_add_f32 v[34:35], v[40:41], v[38:39] neg_lo:[0,1] neg_hi:[0,1]
	s_nop 0
	v_add_f32_e32 v34, v34, v35
	v_add_f32_e32 v34, v37, v34
	v_mul_f32_e32 v35, v42, v34
	v_add_f32_e32 v34, v24, v35
	v_sub_f32_e32 v24, v34, v24
	v_sub_f32_e32 v44, v35, v24
	v_mul_f32_e32 v24, v34, v34
	v_fma_f32 v35, v34, v34, -v24
	v_add_f32_e32 v36, v44, v44
	v_fmac_f32_e32 v35, v34, v36
	v_add_f32_e32 v36, v24, v35
	v_fmamk_f32 v37, v36, 0x3e76c4e1, v28
	v_fmaak_f32 v37, v36, v37, 0x3ecccdef
	v_sub_f32_e32 v24, v36, v24
	v_sub_f32_e32 v45, v35, v24
	v_mul_f32_e32 v35, v36, v37
	v_fma_f32 v24, v36, v37, -v35
	v_fmac_f32_e32 v24, v45, v37
	v_add_f32_e32 v39, v35, v24
	v_sub_f32_e32 v38, v39, v35
	v_pk_add_f32 v[40:41], v[24:25], v[38:39] neg_lo:[0,1] neg_hi:[0,1]
	v_pk_add_f32 v[42:43], v[38:39], s[28:29]
	s_nop 0
	v_mov_b32_e32 v41, v43
	v_pk_add_f32 v[40:41], v[40:41], s[36:37]
	s_nop 0
	v_sub_f32_e32 v37, v39, v41
	v_mov_b32_e32 v35, v40
	v_pk_mul_f32 v[38:39], v[34:35], v[36:37]
	v_pk_add_f32 v[40:41], v[40:41], v[36:37] op_sel_hi:[0,1]
	v_fma_f32 v42, v36, v34, -v38
	v_fmac_f32_e32 v42, v36, v44
	v_mov_b32_e32 v39, v41
	v_fmac_f32_e32 v42, v45, v34
	v_pk_add_f32 v[36:37], v[38:39], v[42:43]
	s_nop 0
	v_sub_f32_e32 v35, v43, v37
	v_sub_f32_e32 v24, v36, v38
	v_add_f32_e32 v35, v41, v35
	v_pk_mul_f32 v[38:39], v[36:37], v[36:37] op_sel:[0,1] op_sel_hi:[1,0]
	v_cvt_f64_f32_e64 v[40:41], |v48|
	v_frexp_exp_i32_f64_e32 v39, v[40:41]
	v_subbrev_co_u32_e32 v39, vcc, 0, v39, vcc
	v_cvt_f32_i32_e32 v39, v39
	v_fma_f32 v40, v36, v37, -v38
	v_sub_f32_e32 v24, v42, v24
	v_fmac_f32_e32 v40, v36, v35
	v_mul_f32_e32 v36, 0x3f317218, v39
	v_fmac_f32_e32 v40, v24, v37
	v_fma_f32 v42, v39, s49, -v36
	v_fmac_f32_e32 v42, 0xb102e308, v39
	v_ldexp_f32 v43, v34, 1
	v_add_f32_e32 v37, v38, v40
	v_pk_add_f32 v[34:35], v[36:37], v[42:43]
	v_ldexp_f32 v24, v44, 1
	v_mov_b32_e32 v44, v37
	v_mov_b32_e32 v45, v35
	;; [unrolled: 1-line block ×3, first 2 shown]
	v_pk_add_f32 v[38:39], v[44:45], v[38:39] neg_lo:[0,1] neg_hi:[0,1]
	v_mov_b32_e32 v41, v37
	v_pk_add_f32 v[38:39], v[40:41], v[38:39] neg_lo:[0,1] neg_hi:[0,1]
	v_mov_b32_e32 v43, v34
	v_add_f32_e32 v24, v24, v38
	v_add_f32_e32 v37, v24, v39
	v_pk_add_f32 v[38:39], v[34:35], v[36:37] neg_lo:[0,1] neg_hi:[0,1]
	v_pk_add_f32 v[40:41], v[34:35], v[36:37]
	v_mov_b32_e32 v36, v37
	v_mov_b32_e32 v39, v41
	v_pk_add_f32 v[44:45], v[42:43], v[38:39] neg_lo:[0,1] neg_hi:[0,1]
	v_pk_add_f32 v[38:39], v[42:43], v[38:39]
	v_mov_b32_e32 v37, v34
	v_pk_add_f32 v[42:43], v[38:39], v[34:35] op_sel:[1,0] op_sel_hi:[0,1] neg_lo:[0,1] neg_hi:[0,1]
	v_pk_add_f32 v[46:47], v[40:41], v[42:43] op_sel_hi:[1,0] neg_lo:[0,1] neg_hi:[0,1]
	v_mov_b32_e32 v40, v41
	v_mov_b32_e32 v41, v39
	v_pk_mov_b32 v[42:43], v[34:35], v[42:43] op_sel:[1,0]
	v_mov_b32_e32 v46, v44
	v_pk_add_f32 v[40:41], v[40:41], v[42:43] neg_lo:[0,1] neg_hi:[0,1]
	v_mov_b32_e32 v45, v39
	v_pk_add_f32 v[34:35], v[36:37], v[40:41] neg_lo:[0,1] neg_hi:[0,1]
	v_cmp_eq_f32_e32 vcc, s50, v51
	v_pk_add_f32 v[36:37], v[46:47], v[34:35]
	s_nop 0
	v_pk_add_f32 v[40:41], v[36:37], v[36:37] op_sel:[0,1] op_sel_hi:[1,0]
	s_nop 0
	v_pk_add_f32 v[38:39], v[38:39], v[40:41] op_sel:[1,0] op_sel_hi:[0,1]
	v_mov_b32_e32 v37, v38
	v_pk_add_f32 v[42:43], v[36:37], v[44:45] neg_lo:[0,1] neg_hi:[0,1]
	v_mov_b32_e32 v35, v40
	v_sub_f32_e32 v24, v36, v42
	v_pk_add_f32 v[34:35], v[34:35], v[42:43] neg_lo:[0,1] neg_hi:[0,1]
	v_sub_f32_e32 v24, v44, v24
	v_add_f32_e32 v24, v34, v24
	v_add_f32_e32 v24, v24, v35
	;; [unrolled: 1-line block ×3, first 2 shown]
	v_sub_f32_e32 v35, v34, v38
	v_mul_f32_e32 v36, v26, v34
	v_sub_f32_e32 v24, v24, v35
	v_fma_f32 v34, v26, v34, -v36
	v_fmac_f32_e32 v34, v26, v24
	v_add_f32_e32 v24, v36, v34
	v_sub_f32_e32 v35, v24, v36
	v_sub_f32_e32 v34, v34, v35
	v_cndmask_b32_e32 v35, 0, v31, vcc
	v_sub_f32_e32 v37, v51, v35
	v_mul_f32_e32 v38, 0x3fb8aa3b, v37
	v_fma_f32 v39, v37, s51, -v38
	v_rndne_f32_e32 v40, v38
	v_fmac_f32_e32 v39, 0x32a5705f, v37
	v_sub_f32_e32 v38, v38, v40
	v_add_f32_e32 v38, v38, v39
	v_exp_f32_e32 v38, v38
	v_cvt_i32_f32_e32 v39, v40
	v_cmp_class_f32_e64 vcc, v36, s41
	v_trunc_f32_e32 v42, v27
	s_nop 0
	v_cndmask_b32_e32 v24, v24, v36, vcc
	v_ldexp_f32 v36, v38, v39
	v_cmp_ngt_f32_e32 vcc, s52, v37
	v_cmp_class_f32_e64 s[6:7], v24, s41
	v_pk_mul_f32 v[38:39], v[26:27], 0.5 op_sel_hi:[1,0]
	v_cndmask_b32_e32 v36, 0, v36, vcc
	v_cmp_nlt_f32_e32 vcc, s50, v37
	v_cndmask_b32_e64 v34, v34, 0, s[6:7]
	v_cmp_class_f32_e64 s[6:7], v51, s41
	v_cndmask_b32_e32 v37, v30, v36, vcc
	v_cmp_eq_f32_e32 vcc, s50, v24
	v_trunc_f32_e32 v43, v39
	v_cmp_neq_f32_e64 s[8:9], v43, v39
	v_cndmask_b32_e32 v40, 0, v31, vcc
	v_sub_f32_e32 v24, v24, v40
	v_mul_f32_e32 v36, 0x3fb8aa3b, v24
	v_fma_f32 v41, v24, s51, -v36
	v_rndne_f32_e32 v44, v36
	v_fmac_f32_e32 v41, 0x32a5705f, v24
	v_sub_f32_e32 v36, v36, v44
	v_add_f32_e32 v36, v36, v41
	v_exp_f32_e32 v36, v36
	v_cvt_i32_f32_e32 v44, v44
	v_cmp_ngt_f32_e32 vcc, s52, v24
	v_cndmask_b32_e64 v41, v50, 0, s[6:7]
	v_pk_add_f32 v[34:35], v[34:35], v[40:41]
	v_ldexp_f32 v36, v36, v44
	v_cndmask_b32_e32 v36, 0, v36, vcc
	v_cmp_nlt_f32_e32 vcc, s50, v24
	s_nop 1
	v_cndmask_b32_e32 v36, v30, v36, vcc
	v_pk_fma_f32 v[34:35], v[36:37], v[34:35], v[36:37]
	v_cmp_class_f32_e32 vcc, v37, v29
	s_nop 1
	v_cndmask_b32_e32 v24, v35, v37, vcc
	v_trunc_f32_e32 v35, v26
	v_cmp_class_f32_e32 vcc, v36, v29
	v_cmp_eq_f32_e64 s[6:7], v35, v26
	v_trunc_f32_e32 v35, v38
	v_cndmask_b32_e32 v34, v34, v36, vcc
	v_cmp_eq_f32_e32 vcc, v42, v27
	v_cmp_neq_f32_e64 s[10:11], v35, v38
	s_and_b64 s[8:9], vcc, s[8:9]
	s_and_b64 s[10:11], s[6:7], s[10:11]
	v_cndmask_b32_e64 v35, 1.0, v49, s[8:9]
	v_cndmask_b32_e64 v36, 1.0, v48, s[10:11]
	v_bfi_b32 v34, s43, v34, v36
	v_bfi_b32 v24, s43, v24, v35
	v_cndmask_b32_e32 v35, v32, v24, vcc
	v_cndmask_b32_e64 v36, v32, v34, s[6:7]
	v_cmp_gt_f32_e32 vcc, 0, v48
	v_cmp_neq_f32_e64 s[6:7], v27, |v27|
	s_xor_b64 s[6:7], s[6:7], s[14:15]
	v_cndmask_b32_e32 v34, v34, v36, vcc
	v_cmp_gt_f32_e32 vcc, 0, v49
	v_cmp_eq_f32_e64 s[14:15], 0, v49
	v_cndmask_b32_e64 v37, 0, v48, s[10:11]
	v_cndmask_b32_e32 v24, v24, v35, vcc
	v_cndmask_b32_e64 v35, v30, 0, s[6:7]
	s_xor_b64 s[6:7], s[12:13], s[16:17]
	v_cndmask_b32_e64 v36, v30, 0, s[6:7]
	v_cmp_neq_f32_e64 vcc, |v48|, 1.0
	v_cmp_eq_f32_e64 s[12:13], 0, v48
	v_cmp_gt_f32_e64 s[16:17], 0, v26
	v_cndmask_b32_e32 v36, 1.0, v36, vcc
	v_cmp_neq_f32_e64 vcc, |v49|, 1.0
	s_xor_b64 s[16:17], s[16:17], s[12:13]
	v_cmp_class_f32_e64 s[6:7], v49, v29
	v_cndmask_b32_e32 v35, 1.0, v35, vcc
	v_cmp_class_f32_e32 vcc, v27, v29
	v_cndmask_b32_e64 v38, 0, v49, s[8:9]
	s_nop 0
	v_cndmask_b32_e32 v24, v24, v35, vcc
	v_cmp_class_f32_e32 vcc, v26, v29
	v_cndmask_b32_e64 v35, v30, 0, s[16:17]
	s_xor_b64 s[16:17], s[18:19], s[14:15]
	v_cndmask_b32_e32 v34, v34, v36, vcc
	v_cmp_class_f32_e32 vcc, v48, v29
	v_cndmask_b32_e64 v36, v30, 0, s[16:17]
	v_bfi_b32 v35, s43, v35, v37
	s_or_b64 vcc, s[12:13], vcc
	v_bfi_b32 v36, s43, v36, v38
	v_cndmask_b32_e32 v34, v34, v35, vcc
	s_or_b64 vcc, s[14:15], s[6:7]
	v_cndmask_b32_e32 v24, v24, v36, vcc
	v_cmp_o_f32_e32 vcc, v49, v27
	s_nop 1
	v_cndmask_b32_e32 v27, v32, v24, vcc
	v_cmp_o_f32_e32 vcc, v48, v26
	s_nop 1
	v_cndmask_b32_e32 v24, v32, v34, vcc
	v_cmp_u_f32_e32 vcc, v27, v27
	v_cmp_u_f32_e64 s[6:7], v24, v24
	s_and_saveexec_b64 s[8:9], s[2:3]
	s_cbranch_execz .LBB71_16
; %bb.15:                               ;   in Loop: Header=BB71_4 Depth=1
	v_bfe_u32 v26, v27, 16, 1
	v_add3_u32 v26, v27, v26, s53
	v_cndmask_b32_sdwa v34, v26, v33, vcc dst_sel:DWORD dst_unused:UNUSED_PAD src0_sel:WORD_1 src1_sel:DWORD
	v_lshl_add_u64 v[26:27], v[14:15], 0, s[20:21]
	global_store_short v[26:27], v34, off
.LBB71_16:                              ;   in Loop: Header=BB71_4 Depth=1
	s_or_b64 exec, exec, s[8:9]
	s_and_saveexec_b64 s[2:3], s[4:5]
	s_cbranch_execz .LBB71_3
; %bb.17:                               ;   in Loop: Header=BB71_4 Depth=1
	v_bfe_u32 v26, v24, 16, 1
	s_mov_b64 vcc, s[6:7]
	v_add3_u32 v24, v24, v26, s53
	v_cndmask_b32_sdwa v24, v24, v33, vcc dst_sel:DWORD dst_unused:UNUSED_PAD src0_sel:WORD_1 src1_sel:DWORD
	v_lshl_add_u64 v[26:27], v[8:9], 0, s[20:21]
	global_store_short v[26:27], v24, off
	s_branch .LBB71_3
.LBB71_18:                              ;   in Loop: Header=BB71_4 Depth=1
	v_lshl_add_u64 v[36:37], v[6:7], 0, s[20:21]
	global_load_ushort v27, v[36:37], off
	s_waitcnt vmcnt(0)
	v_lshlrev_b32_e32 v35, 16, v27
	s_or_b64 exec, exec, s[8:9]
	s_and_saveexec_b64 s[16:17], vcc
	s_cbranch_execz .LBB71_12
.LBB71_19:                              ;   in Loop: Header=BB71_4 Depth=1
	v_mov_b32_e32 v27, s33
	v_cmp_neq_f32_e32 vcc, 1.0, v26
	v_lshl_add_u64 v[36:37], v[4:5], 0, s[20:21]
	s_nop 0
	v_cndmask_b32_e32 v50, 1.0, v27, vcc
	v_cmp_neq_f32_e32 vcc, 0, v50
	v_cmp_gt_f32_e64 s[8:9], 0, v50
	s_nop 0
	v_cndmask_b32_e32 v51, 1.0, v26, vcc
	v_cmp_eq_f32_e32 vcc, 0, v51
	s_xor_b64 s[8:9], s[8:9], vcc
	v_trunc_f32_e32 v26, v50
	v_cndmask_b32_e64 v38, v30, 0, s[8:9]
	v_cmp_eq_f32_e64 s[8:9], v26, v50
	v_mul_f32_e32 v26, 0.5, v50
	v_trunc_f32_e32 v27, v26
	v_cmp_neq_f32_e64 s[10:11], v27, v26
	v_cvt_f64_f32_e64 v[26:27], |v51|
	v_frexp_exp_i32_f64_e32 v26, v[26:27]
	v_frexp_mant_f32_e64 v27, |v51|
	s_and_b64 s[10:11], s[8:9], s[10:11]
	v_cmp_gt_f32_e64 s[12:13], s48, v27
	v_cndmask_b32_e64 v39, 0, v51, s[10:11]
	v_bfi_b32 v52, s43, v38, v39
	v_subbrev_co_u32_e64 v26, s[14:15], 0, v26, s[12:13]
	v_cvt_f32_i32_e32 v40, v26
	v_cndmask_b32_e64 v39, 1.0, 2.0, s[12:13]
	v_mul_f32_e32 v27, v27, v39
	v_add_f32_e32 v39, 1.0, v27
	v_rcp_f32_e32 v48, v39
	v_mul_f32_e32 v26, 0x3f317218, v40
	v_fma_f32 v38, v40, s49, -v26
	v_fmac_f32_e32 v38, 0xb102e308, v40
	v_add_f32_e32 v40, -1.0, v39
	v_add_f32_e32 v41, -1.0, v27
	v_sub_f32_e32 v40, v27, v40
	v_mul_f32_e32 v27, v41, v48
	v_mul_f32_e32 v42, v39, v27
	v_fma_f32 v44, v27, v39, -v42
	v_fmac_f32_e32 v44, v27, v40
	v_add_f32_e32 v40, v42, v44
	v_sub_f32_e32 v43, v41, v40
	v_pk_add_f32 v[46:47], v[40:41], v[42:43] neg_lo:[0,1] neg_hi:[0,1]
	v_mov_b32_e32 v45, v40
	v_pk_add_f32 v[40:41], v[46:47], v[44:45] neg_lo:[0,1] neg_hi:[0,1]
	v_cmp_neq_f32_e64 s[14:15], v50, |v50|
	v_add_f32_e32 v39, v40, v41
	v_add_f32_e32 v39, v43, v39
	v_mul_f32_e32 v41, v48, v39
	v_add_f32_e32 v40, v27, v41
	v_sub_f32_e32 v27, v40, v27
	v_mul_f32_e32 v43, v40, v40
	v_sub_f32_e32 v53, v41, v27
	v_add_f32_e32 v27, v53, v53
	v_fma_f32 v41, v40, v40, -v43
	v_fmac_f32_e32 v41, v40, v27
	v_add_f32_e32 v42, v43, v41
	v_sub_f32_e32 v27, v42, v43
	v_sub_f32_e32 v27, v41, v27
	v_fmamk_f32 v41, v42, 0x3e76c4e1, v28
	v_fmaak_f32 v41, v42, v41, 0x3ecccdef
	v_mul_f32_e32 v43, v42, v41
	v_fma_f32 v44, v42, v41, -v43
	v_fmac_f32_e32 v44, v27, v41
	v_add_f32_e32 v46, v43, v44
	v_add_f32_e32 v45, 0x3f2aaaaa, v46
	v_sub_f32_e32 v41, v46, v43
	v_sub_f32_e32 v41, v44, v41
	v_add_f32_e32 v43, 0xbf2aaaaa, v45
	v_add_f32_e32 v41, 0x31739010, v41
	v_sub_f32_e32 v43, v46, v43
	v_pk_mul_f32 v[46:47], v[40:41], v[42:43]
	v_pk_add_f32 v[48:49], v[40:41], v[42:43]
	v_fma_f32 v44, v42, v40, -v46
	v_fmac_f32_e32 v44, v42, v53
	v_mov_b32_e32 v47, v49
	v_fmac_f32_e32 v44, v27, v40
	v_ldexp_f32 v39, v40, 1
	v_pk_add_f32 v[40:41], v[46:47], v[44:45]
	v_ldexp_f32 v48, v53, 1
	v_pk_mul_f32 v[42:43], v[40:41], v[40:41] op_sel:[0,1] op_sel_hi:[1,0]
	v_sub_f32_e32 v27, v40, v46
	v_sub_f32_e32 v43, v45, v41
	;; [unrolled: 1-line block ×3, first 2 shown]
	v_add_f32_e32 v43, v49, v43
	v_fma_f32 v44, v40, v41, -v42
	v_fmac_f32_e32 v44, v40, v43
	v_fmac_f32_e32 v44, v27, v41
	v_add_f32_e32 v27, v42, v44
	v_pk_add_f32 v[40:41], v[26:27], v[38:39]
	v_mov_b32_e32 v46, v27
	v_mov_b32_e32 v47, v41
	;; [unrolled: 1-line block ×3, first 2 shown]
	v_pk_add_f32 v[42:43], v[46:47], v[42:43] neg_lo:[0,1] neg_hi:[0,1]
	v_mov_b32_e32 v45, v27
	v_pk_add_f32 v[42:43], v[44:45], v[42:43] neg_lo:[0,1] neg_hi:[0,1]
	v_mov_b32_e32 v39, v40
	v_add_f32_e32 v27, v48, v42
	v_add_f32_e32 v27, v27, v43
	v_pk_add_f32 v[42:43], v[40:41], v[26:27] neg_lo:[0,1] neg_hi:[0,1]
	v_pk_add_f32 v[44:45], v[40:41], v[26:27]
	v_mov_b32_e32 v26, v27
	v_mov_b32_e32 v43, v45
	v_pk_add_f32 v[46:47], v[38:39], v[42:43] neg_lo:[0,1] neg_hi:[0,1]
	v_pk_add_f32 v[38:39], v[38:39], v[42:43]
	v_mov_b32_e32 v27, v40
	v_pk_add_f32 v[42:43], v[38:39], v[40:41] op_sel:[1,0] op_sel_hi:[0,1] neg_lo:[0,1] neg_hi:[0,1]
	v_pk_add_f32 v[48:49], v[44:45], v[42:43] op_sel_hi:[1,0] neg_lo:[0,1] neg_hi:[0,1]
	v_mov_b32_e32 v44, v45
	v_mov_b32_e32 v45, v39
	v_pk_mov_b32 v[42:43], v[40:41], v[42:43] op_sel:[1,0]
	v_mov_b32_e32 v48, v46
	v_pk_add_f32 v[42:43], v[44:45], v[42:43] neg_lo:[0,1] neg_hi:[0,1]
	v_mov_b32_e32 v47, v39
	v_pk_add_f32 v[26:27], v[26:27], v[42:43] neg_lo:[0,1] neg_hi:[0,1]
	v_cmp_lt_f32_e64 s[38:39], |v51|, 1.0
	v_pk_add_f32 v[40:41], v[48:49], v[26:27]
	v_cmp_class_f32_e64 s[18:19], v51, s41
	v_pk_add_f32 v[42:43], v[40:41], v[40:41] op_sel:[0,1] op_sel_hi:[1,0]
	s_or_b64 vcc, vcc, s[18:19]
	v_pk_add_f32 v[38:39], v[38:39], v[42:43] op_sel:[1,0] op_sel_hi:[0,1]
	v_mov_b32_e32 v41, v38
	v_pk_add_f32 v[44:45], v[40:41], v[46:47] neg_lo:[0,1] neg_hi:[0,1]
	v_mov_b32_e32 v27, v42
	v_sub_f32_e32 v39, v40, v44
	v_pk_add_f32 v[26:27], v[26:27], v[44:45] neg_lo:[0,1] neg_hi:[0,1]
	v_sub_f32_e32 v39, v46, v39
	v_add_f32_e32 v26, v26, v39
	v_add_f32_e32 v26, v26, v27
	;; [unrolled: 1-line block ×3, first 2 shown]
	v_mul_f32_e32 v39, v50, v27
	v_sub_f32_e32 v38, v27, v38
	v_sub_f32_e32 v26, v26, v38
	v_fma_f32 v27, v50, v27, -v39
	v_fmac_f32_e32 v27, v50, v26
	v_add_f32_e32 v26, v39, v27
	v_cmp_class_f32_e64 s[12:13], v39, s41
	s_nop 1
	v_cndmask_b32_e64 v38, v26, v39, s[12:13]
	v_cmp_eq_f32_e64 s[12:13], s50, v38
	v_sub_f32_e32 v26, v26, v39
	v_sub_f32_e32 v26, v27, v26
	v_cndmask_b32_e64 v40, 0, v31, s[12:13]
	v_sub_f32_e32 v41, v38, v40
	v_mul_f32_e32 v42, 0x3fb8aa3b, v41
	v_fma_f32 v43, v41, s51, -v42
	v_rndne_f32_e32 v44, v42
	v_fmac_f32_e32 v43, 0x32a5705f, v41
	v_sub_f32_e32 v42, v42, v44
	v_add_f32_e32 v42, v42, v43
	v_exp_f32_e32 v42, v42
	v_cvt_i32_f32_e32 v43, v44
	s_xor_b64 s[12:13], s[14:15], s[38:39]
	v_cndmask_b32_e64 v44, v30, 0, s[12:13]
	v_cmp_neq_f32_e64 s[12:13], |v51|, 1.0
	v_ldexp_f32 v42, v42, v43
	v_cndmask_b32_e64 v27, 1.0, v51, s[10:11]
	v_cndmask_b32_e64 v44, 1.0, v44, s[12:13]
	v_cmp_ngt_f32_e64 s[12:13], s52, v41
	s_nop 1
	v_cndmask_b32_e64 v42, 0, v42, s[12:13]
	v_cmp_nlt_f32_e64 s[12:13], s50, v41
	s_nop 1
	v_cndmask_b32_e64 v41, v30, v42, s[12:13]
	v_cmp_neq_f32_e64 s[12:13], |v38|, s42
	s_nop 1
	v_cndmask_b32_e64 v26, 0, v26, s[12:13]
	v_add_f32_e32 v26, v40, v26
	v_fma_f32 v26, v41, v26, v41
	v_cmp_class_f32_e64 s[12:13], v41, s41
	s_nop 1
	v_cndmask_b32_e64 v26, v26, v41, s[12:13]
	v_bfi_b32 v26, s43, v26, v27
	v_cndmask_b32_e64 v27, v32, v26, s[8:9]
	v_cmp_gt_f32_e64 s[8:9], 0, v51
	s_nop 1
	v_cndmask_b32_e64 v26, v26, v27, s[8:9]
	v_cmp_class_f32_e64 s[8:9], v50, s41
	s_nop 1
	v_cndmask_b32_e64 v26, v26, v44, s[8:9]
	v_cndmask_b32_e32 v26, v26, v52, vcc
	v_cmp_o_f32_e32 vcc, v51, v50
	s_nop 1
	v_cndmask_b32_e32 v26, v32, v26, vcc
	v_bfe_u32 v27, v26, 16, 1
	v_add3_u32 v27, v26, v27, s53
	v_cmp_o_f32_e32 vcc, v26, v26
	s_nop 1
	v_cndmask_b32_sdwa v26, v33, v27, vcc dst_sel:DWORD dst_unused:UNUSED_PAD src0_sel:DWORD src1_sel:WORD_1
	global_store_short v[36:37], v26, off
	s_or_b64 exec, exec, s[16:17]
	s_and_saveexec_b64 s[10:11], s[6:7]
	s_cbranch_execnz .LBB71_13
	s_branch .LBB71_14
.LBB71_20:
	s_mov_b64 s[2:3], 0
.LBB71_21:
	s_andn2_b64 vcc, exec, s[2:3]
	s_cbranch_vccnz .LBB71_25
; %bb.22:
	v_mov_b64_e32 v[4:5], 0x10000
	v_cmp_lt_i64_e32 vcc, s[22:23], v[4:5]
	s_and_b64 s[2:3], vcc, exec
	v_mov_b32_e32 v3, 0
	s_cselect_b32 s51, s23, 0
	s_cselect_b32 s50, s22, 0x10000
	v_lshlrev_b32_e32 v2, 2, v0
	s_mov_b32 s49, 0
	v_cmp_gt_i64_e32 vcc, s[50:51], v[2:3]
	s_and_saveexec_b64 s[2:3], vcc
	s_cbranch_execz .LBB71_25
; %bb.23:
	s_load_dword s0, s[0:1], 0xc5c
	v_lshlrev_b32_e32 v2, 3, v0
	s_mov_b32 s58, 0x31739010
	v_mov_b32_e32 v1, v3
	v_lshl_add_u64 v[2:3], s[20:21], 0, v[2:3]
	s_waitcnt lgkmcnt(0)
	s_and_b32 s48, s0, 0xffff
	s_lshl_b32 s52, s48, 3
	s_mov_b32 s53, s49
	s_mov_b64 s[54:55], 0
	v_mov_b32_e32 v16, s33
	v_mov_b32_e32 v17, s33
	s_mov_b32 s33, 0x3f2aaaab
	v_mov_b32_e32 v18, 0x3e91f4c4
	s_mov_b32 s57, 0x3f2aaaaa
	s_mov_b32 s59, 0xbf2aaaaa
	;; [unrolled: 1-line block ×3, first 2 shown]
	s_movk_i32 s64, 0x204
	s_mov_b32 s65, 0x42b17218
	v_mov_b32_e32 v19, 0x37000000
	s_mov_b32 s66, 0x3fb8aa3b
	s_mov_b32 s67, 0xc2ce8ed0
	v_mov_b32_e32 v20, 0x7f800000
	v_mov_b32_e32 v21, 0x204
	s_brev_b32 s68, -2
	v_mov_b32_e32 v22, 0x7fc00000
	s_movk_i32 s69, 0x7fff
	v_mov_b32_e32 v23, 0x7fc0
	v_mov_b32_e32 v5, 0x3f2aaaaa
                                        ; implicit-def: $vgpr4
.LBB71_24:                              ; =>This Inner Loop Header: Depth=1
	v_lshl_add_u64 v[6:7], s[44:45], 0, v[2:3]
	global_load_dwordx2 v[6:7], v[6:7], off
	v_lshl_add_u64 v[0:1], v[0:1], 0, s[48:49]
	v_lshlrev_b64 v[8:9], 2, v[0:1]
	v_cmp_le_i64_e32 vcc, s[50:51], v[8:9]
	s_waitcnt vmcnt(0)
	v_lshlrev_b32_e32 v10, 16, v6
	v_and_b32_e32 v4, 0xffff0000, v6
	v_cmp_neq_f32_e64 s[0:1], 1.0, v10
	v_and_b32_e32 v12, 0xffff0000, v7
	v_alignbit_b32 v6, v7, v6, 16
	v_cndmask_b32_e64 v9, 1.0, v16, s[0:1]
	v_cmp_neq_f32_e64 s[0:1], 1.0, v4
	v_and_b32_e32 v25, 0xffff0000, v6
	v_cmp_neq_f32_e64 s[40:41], v9, |v9|
	v_cndmask_b32_e64 v8, 1.0, v17, s[0:1]
	v_cmp_neq_f32_e64 s[0:1], 1.0, v12
	v_trunc_f32_e32 v28, v8
	v_cmp_eq_f32_e64 s[4:5], v28, v8
	v_cndmask_b32_e64 v6, 1.0, v17, s[0:1]
	v_cmp_neq_f32_e64 s[0:1], 0, v8
	v_trunc_f32_e32 v32, v6
	v_cmp_neq_f32_e64 s[38:39], v8, |v8|
	v_cndmask_b32_e64 v26, 1.0, v4, s[0:1]
	v_cmp_neq_f32_e64 s[0:1], 0, v9
	v_trunc_f32_e32 v4, v9
	v_cvt_f64_f32_e64 v[14:15], |v26|
	v_cndmask_b32_e64 v27, 1.0, v10, s[0:1]
	v_cmp_neq_f32_e64 s[0:1], 1.0, v25
	v_frexp_mant_f32_e64 v33, |v27|
	v_pk_mul_f32 v[10:11], v[8:9], 0.5 op_sel_hi:[1,0]
	v_cndmask_b32_e64 v7, 1.0, v16, s[0:1]
	v_cmp_neq_f32_e64 s[0:1], 0, v6
	v_cmp_gt_f32_e64 s[6:7], s33, v33
	v_trunc_f32_e32 v35, v11
	v_cndmask_b32_e64 v24, 1.0, v12, s[0:1]
	v_cmp_neq_f32_e64 s[0:1], 0, v7
	v_frexp_mant_f32_e64 v36, |v24|
	v_cvt_f64_f32_e64 v[12:13], |v27|
	v_cmp_eq_f32_e64 s[2:3], v4, v9
	v_trunc_f32_e32 v4, v10
	v_cndmask_b32_e64 v25, 1.0, v25, s[0:1]
	v_cvt_f64_f32_e64 v[28:29], |v24|
	v_cmp_eq_f32_e64 s[0:1], v32, v6
	v_cndmask_b32_e64 v32, 1.0, 2.0, s[6:7]
	v_cmp_gt_f32_e64 s[14:15], s33, v36
	v_frexp_mant_f32_e64 v34, |v26|
	v_frexp_exp_i32_f64_e32 v12, v[12:13]
	v_frexp_exp_i32_f64_e32 v14, v[14:15]
	v_cmp_neq_f32_e64 s[12:13], v4, v10
	v_cmp_neq_f32_e64 s[10:11], v35, v11
	v_cvt_f64_f32_e64 v[10:11], |v25|
	v_cndmask_b32_e64 v15, 1.0, 2.0, s[14:15]
	v_frexp_exp_i32_f64_e32 v28, v[28:29]
	v_mul_f32_e32 v32, v33, v32
	v_cmp_gt_f32_e64 s[8:9], s33, v34
	v_subbrev_co_u32_e64 v12, s[6:7], 0, v12, s[6:7]
	v_frexp_exp_i32_f64_e32 v56, v[10:11]
	v_mul_f32_e32 v10, v36, v15
	v_subbrev_co_u32_e64 v15, s[6:7], 0, v28, s[14:15]
	v_add_f32_e32 v28, 1.0, v32
	v_pk_mul_f32 v[30:31], v[6:7], 0.5 op_sel_hi:[1,0]
	v_cndmask_b32_e64 v13, 1.0, 2.0, s[8:9]
	v_cvt_f32_i32_e32 v51, v15
	v_rcp_f32_e32 v15, v28
	v_frexp_mant_f32_e64 v4, |v25|
	v_trunc_f32_e32 v35, v30
	v_mul_f32_e32 v13, v34, v13
	v_subbrev_co_u32_e64 v14, s[6:7], 0, v14, s[8:9]
	v_cmp_gt_f32_e64 s[26:27], s33, v4
	v_cmp_neq_f32_e64 s[6:7], v35, v30
	v_add_f32_e32 v35, 1.0, v13
	v_cndmask_b32_e64 v33, 1.0, 2.0, s[26:27]
	v_add_f32_e32 v11, -1.0, v32
	v_add_f32_e32 v37, 1.0, v10
	v_rcp_f32_e32 v48, v35
	v_mul_f32_e32 v4, v4, v33
	v_add_f32_e32 v34, -1.0, v37
	v_mul_f32_e32 v53, v11, v15
	v_trunc_f32_e32 v29, v31
	v_cvt_f32_i32_e32 v30, v12
	v_add_f32_e32 v12, -1.0, v28
	v_add_f32_e32 v39, 1.0, v4
	v_sub_f32_e32 v43, v10, v34
	v_mul_f32_e32 v34, v28, v53
	v_cmp_neq_f32_e64 s[8:9], v29, v31
	v_add_f32_e32 v29, -1.0, v13
	v_sub_f32_e32 v32, v32, v12
	v_rcp_f32_e32 v49, v39
	v_fma_f32 v40, v53, v28, -v34
	v_rcp_f32_e32 v52, v37
	v_mul_f32_e32 v54, v29, v48
	v_fmac_f32_e32 v40, v53, v32
	v_add_f32_e32 v31, -1.0, v10
	v_mul_f32_e32 v36, v35, v54
	v_add_f32_e32 v10, v34, v40
	v_cvt_f32_i32_e32 v50, v14
	v_add_f32_e32 v14, -1.0, v35
	v_add_f32_e32 v33, -1.0, v4
	v_fma_f32 v42, v54, v35, -v36
	v_sub_f32_e32 v35, v11, v10
	v_mul_f32_e32 v57, v33, v49
	v_mov_b32_e32 v41, v10
	v_pk_add_f32 v[10:11], v[10:11], v[34:35] neg_lo:[0,1] neg_hi:[0,1]
	v_sub_f32_e32 v13, v13, v14
	v_add_f32_e32 v12, -1.0, v39
	v_mul_f32_e32 v55, v31, v52
	v_pk_add_f32 v[10:11], v[10:11], v[40:41] neg_lo:[0,1] neg_hi:[0,1]
	v_mul_f32_e32 v40, v39, v57
	v_sub_f32_e32 v4, v4, v12
	v_mul_f32_e32 v38, v37, v55
	v_fmac_f32_e32 v42, v54, v13
	v_fma_f32 v46, v57, v39, -v40
	v_mul_f32_e32 v14, 0x3f317218, v30
	v_fma_f32 v44, v55, v37, -v38
	v_add_f32_e32 v28, v36, v42
	v_fmac_f32_e32 v46, v57, v4
	v_fma_f32 v12, v30, s56, -v14
	v_fmac_f32_e32 v44, v55, v43
	v_sub_f32_e32 v37, v29, v28
	v_add_f32_e32 v32, v40, v46
	v_fmac_f32_e32 v12, 0xb102e308, v30
	v_add_f32_e32 v30, v38, v44
	v_mov_b32_e32 v43, v28
	v_pk_add_f32 v[28:29], v[28:29], v[36:37] neg_lo:[0,1] neg_hi:[0,1]
	v_sub_f32_e32 v41, v33, v32
	v_sub_f32_e32 v39, v31, v30
	v_mov_b32_e32 v47, v32
	v_pk_add_f32 v[28:29], v[28:29], v[42:43] neg_lo:[0,1] neg_hi:[0,1]
	v_pk_add_f32 v[32:33], v[32:33], v[40:41] neg_lo:[0,1] neg_hi:[0,1]
	v_add_f32_e32 v4, v10, v11
	v_mov_b32_e32 v45, v30
	v_pk_add_f32 v[30:31], v[30:31], v[38:39] neg_lo:[0,1] neg_hi:[0,1]
	v_add_f32_e32 v13, v28, v29
	v_pk_add_f32 v[10:11], v[32:33], v[46:47] neg_lo:[0,1] neg_hi:[0,1]
	v_add_f32_e32 v4, v35, v4
	;; [unrolled: 2-line block ×3, first 2 shown]
	v_add_f32_e32 v10, v10, v11
	v_mul_f32_e32 v4, v15, v4
	v_add_f32_e32 v28, v30, v31
	v_mul_f32_e32 v11, v48, v13
	v_add_f32_e32 v13, v41, v10
	v_add_f32_e32 v10, v53, v4
	;; [unrolled: 1-line block ×4, first 2 shown]
	v_mul_f32_e32 v15, v49, v13
	v_sub_f32_e32 v29, v10, v53
	v_mul_f32_e32 v31, v10, v10
	v_sub_f32_e32 v32, v28, v54
	v_add_f32_e32 v30, v57, v15
	v_sub_f32_e32 v53, v4, v29
	v_mul_f32_e32 v33, v28, v28
	v_fma_f32 v4, v10, v10, -v31
	v_sub_f32_e32 v54, v11, v32
	v_sub_f32_e32 v29, v30, v57
	v_add_f32_e32 v32, v53, v53
	v_fma_f32 v11, v28, v28, -v33
	v_mul_f32_e32 v35, v30, v30
	v_add_f32_e32 v34, v54, v54
	v_sub_f32_e32 v57, v15, v29
	v_fmac_f32_e32 v4, v10, v32
	v_fma_f32 v15, v30, v30, -v35
	v_fmac_f32_e32 v11, v28, v34
	v_add_f32_e32 v29, v57, v57
	v_add_f32_e32 v32, v31, v4
	v_add_f32_e32 v34, v33, v11
	v_fmac_f32_e32 v15, v30, v29
	v_fmamk_f32 v29, v32, 0x3e76c4e1, v18
	v_sub_f32_e32 v31, v32, v31
	v_sub_f32_e32 v33, v34, v33
	v_add_f32_e32 v36, v35, v15
	v_fmaak_f32 v29, v32, v29, 0x3ecccdef
	v_sub_f32_e32 v31, v4, v31
	v_sub_f32_e32 v48, v11, v33
	v_fmamk_f32 v4, v36, 0x3e76c4e1, v18
	v_mul_f32_e32 v33, v32, v29
	v_fmaak_f32 v46, v36, v4, 0x3ecccdef
	v_fma_f32 v4, v32, v29, -v33
	v_fmac_f32_e32 v4, v31, v29
	v_add_f32_e32 v39, v33, v4
	v_sub_f32_e32 v38, v39, v33
	v_fmamk_f32 v37, v34, 0x3e76c4e1, v18
	v_pk_add_f32 v[40:41], v[4:5], v[38:39] neg_lo:[0,1] neg_hi:[0,1]
	v_pk_add_f32 v[42:43], v[38:39], s[56:57]
	v_fmaak_f32 v37, v34, v37, 0x3ecccdef
	v_mov_b32_e32 v41, v43
	v_sub_f32_e32 v11, v36, v35
	v_mul_f32_e32 v35, v34, v37
	v_pk_add_f32 v[40:41], v[40:41], s[58:59]
	v_sub_f32_e32 v59, v15, v11
	v_fma_f32 v4, v34, v37, -v35
	v_sub_f32_e32 v33, v39, v41
	v_mov_b32_e32 v11, v40
	v_fmac_f32_e32 v4, v48, v37
	v_pk_mul_f32 v[44:45], v[10:11], v[32:33]
	v_add_f32_e32 v39, v35, v4
	v_fma_f32 v42, v32, v10, -v44
	v_sub_f32_e32 v38, v39, v35
	v_fmac_f32_e32 v42, v32, v53
	v_ldexp_f32 v13, v10, 1
	v_pk_add_f32 v[40:41], v[40:41], v[32:33] op_sel_hi:[0,1]
	v_pk_add_f32 v[32:33], v[4:5], v[38:39] neg_lo:[0,1] neg_hi:[0,1]
	v_fmac_f32_e32 v42, v31, v10
	v_pk_add_f32 v[10:11], v[38:39], s[56:57]
	v_mul_f32_e32 v15, v36, v46
	v_mov_b32_e32 v33, v11
	v_fma_f32 v4, v36, v46, -v15
	v_mov_b32_e32 v45, v41
	v_pk_add_f32 v[32:33], v[32:33], s[58:59]
	v_fmac_f32_e32 v4, v59, v46
	v_sub_f32_e32 v35, v39, v33
	v_pk_add_f32 v[38:39], v[44:45], v[42:43]
	v_add_f32_e32 v47, v15, v4
	v_sub_f32_e32 v10, v38, v44
	v_mov_b32_e32 v29, v32
	v_sub_f32_e32 v46, v47, v15
	v_sub_f32_e32 v15, v42, v10
	;; [unrolled: 1-line block ×3, first 2 shown]
	v_pk_mul_f32 v[44:45], v[28:29], v[34:35]
	v_pk_add_f32 v[32:33], v[32:33], v[34:35] op_sel_hi:[0,1]
	v_add_f32_e32 v29, v41, v10
	v_pk_mul_f32 v[40:41], v[38:39], v[38:39] op_sel:[0,1] op_sel_hi:[1,0]
	v_fma_f32 v10, v34, v28, -v44
	v_fma_f32 v32, v38, v39, -v40
	v_fmac_f32_e32 v32, v38, v29
	v_fmac_f32_e32 v32, v15, v39
	v_pk_add_f32 v[38:39], v[4:5], v[46:47] neg_lo:[0,1] neg_hi:[0,1]
	v_pk_add_f32 v[42:43], v[46:47], s[56:57]
	v_fmac_f32_e32 v10, v34, v54
	v_mov_b32_e32 v39, v43
	v_fmac_f32_e32 v10, v48, v28
	v_mov_b32_e32 v45, v33
	v_pk_add_f32 v[38:39], v[38:39], s[58:59]
	v_mov_b32_e32 v41, v13
	v_sub_f32_e32 v37, v47, v39
	v_pk_add_f32 v[46:47], v[44:45], v[10:11]
	v_mov_b32_e32 v31, v38
	v_sub_f32_e32 v4, v46, v44
	v_sub_f32_e32 v15, v11, v47
	;; [unrolled: 1-line block ×3, first 2 shown]
	v_pk_mul_f32 v[10:11], v[46:47], v[46:47] op_sel:[0,1] op_sel_hi:[1,0]
	v_pk_add_f32 v[38:39], v[38:39], v[36:37] op_sel_hi:[0,1]
	v_add_f32_e32 v11, v33, v15
	v_fma_f32 v44, v46, v47, -v10
	v_fmac_f32_e32 v44, v46, v11
	v_fmac_f32_e32 v44, v4, v47
	v_pk_mul_f32 v[46:47], v[30:31], v[36:37]
	v_add_f32_e32 v15, v40, v32
	v_fma_f32 v42, v36, v30, -v46
	v_pk_add_f32 v[48:49], v[14:15], v[12:13]
	v_fmac_f32_e32 v42, v36, v57
	v_mov_b32_e32 v36, v15
	v_mov_b32_e32 v37, v49
	v_pk_add_f32 v[36:37], v[36:37], v[40:41] neg_lo:[0,1] neg_hi:[0,1]
	v_mul_f32_e32 v4, v52, v58
	v_mov_b32_e32 v33, v15
	v_pk_add_f32 v[32:33], v[32:33], v[36:37] neg_lo:[0,1] neg_hi:[0,1]
	v_add_f32_e32 v36, v55, v4
	v_sub_f32_e32 v11, v36, v55
	v_mul_f32_e32 v13, v36, v36
	v_sub_f32_e32 v58, v4, v11
	v_mul_f32_e32 v34, 0x3f317218, v50
	v_mul_f32_e32 v38, 0x3f317218, v51
	v_fma_f32 v4, v36, v36, -v13
	v_add_f32_e32 v11, v58, v58
	v_ldexp_f32 v29, v28, 1
	v_fma_f32 v28, v50, s56, -v34
	v_fma_f32 v40, v51, s56, -v38
	v_fmac_f32_e32 v4, v36, v11
	v_ldexp_f32 v11, v53, 1
	v_mov_b32_e32 v47, v39
	v_fmac_f32_e32 v42, v59, v30
	v_fmac_f32_e32 v28, 0xb102e308, v50
	;; [unrolled: 1-line block ×3, first 2 shown]
	v_add_f32_e32 v11, v11, v32
	v_pk_add_f32 v[50:51], v[46:47], v[42:43]
	v_add_f32_e32 v15, v11, v33
	v_add_f32_e32 v32, v13, v4
	v_sub_f32_e32 v33, v50, v46
	v_fmamk_f32 v11, v32, 0x3e76c4e1, v18
	v_sub_f32_e32 v37, v43, v51
	v_sub_f32_e32 v33, v42, v33
	v_pk_mul_f32 v[42:43], v[50:51], v[50:51] op_sel:[0,1] op_sel_hi:[1,0]
	v_fmaak_f32 v11, v32, v11, 0x3ecccdef
	v_add_f32_e32 v37, v39, v37
	v_fma_f32 v46, v50, v51, -v42
	v_sub_f32_e32 v13, v32, v13
	v_mul_f32_e32 v31, v32, v11
	v_add_f32_e32 v35, v10, v44
	v_fmac_f32_e32 v46, v50, v37
	v_sub_f32_e32 v13, v4, v13
	v_fma_f32 v4, v32, v11, -v31
	v_fmac_f32_e32 v46, v33, v51
	v_pk_add_f32 v[50:51], v[34:35], v[28:29]
	v_fmac_f32_e32 v4, v13, v11
	v_mov_b32_e32 v11, v29
	v_mov_b32_e32 v52, v35
	;; [unrolled: 1-line block ×3, first 2 shown]
	v_pk_add_f32 v[52:53], v[52:53], v[10:11] neg_lo:[0,1] neg_hi:[0,1]
	v_mov_b32_e32 v45, v35
	v_ldexp_f32 v29, v54, 1
	v_pk_add_f32 v[44:45], v[44:45], v[52:53] neg_lo:[0,1] neg_hi:[0,1]
	v_add_f32_e32 v53, v31, v4
	v_sub_f32_e32 v52, v53, v31
	v_add_f32_e32 v29, v29, v44
	v_add_f32_e32 v35, v29, v45
	v_pk_add_f32 v[44:45], v[4:5], v[52:53] neg_lo:[0,1] neg_hi:[0,1]
	v_pk_add_f32 v[54:55], v[52:53], s[56:57]
	v_ldexp_f32 v41, v36, 1
	v_mov_b32_e32 v45, v55
	v_pk_add_f32 v[44:45], v[44:45], s[58:59]
	v_ldexp_f32 v31, v30, 1
	v_sub_f32_e32 v33, v53, v45
	v_mov_b32_e32 v37, v44
	v_pk_mul_f32 v[52:53], v[36:37], v[32:33]
	v_add_f32_e32 v37, v42, v46
	v_fma_f32 v54, v32, v36, -v52
	v_fmac_f32_e32 v54, v32, v58
	v_fmac_f32_e32 v54, v13, v36
	v_subbrev_co_u32_e64 v13, s[26:27], 0, v56, s[26:27]
	v_cvt_f32_i32_e32 v13, v13
	v_pk_add_f32 v[32:33], v[44:45], v[32:33] op_sel_hi:[0,1]
	v_mov_b32_e32 v53, v33
	v_pk_add_f32 v[44:45], v[52:53], v[54:55]
	v_mul_f32_e32 v36, 0x3f317218, v13
	v_sub_f32_e32 v29, v44, v52
	v_sub_f32_e32 v32, v55, v45
	v_pk_mul_f32 v[52:53], v[44:45], v[44:45] op_sel:[0,1] op_sel_hi:[1,0]
	v_fma_f32 v30, v13, s56, -v36
	v_add_f32_e32 v33, v33, v32
	v_fma_f32 v32, v44, v45, -v52
	v_fmac_f32_e32 v30, 0xb102e308, v13
	v_sub_f32_e32 v29, v54, v29
	v_fmac_f32_e32 v32, v44, v33
	v_fmac_f32_e32 v32, v29, v45
	v_pk_add_f32 v[44:45], v[36:37], v[30:31]
	v_mov_b32_e32 v43, v31
	v_mov_b32_e32 v54, v37
	;; [unrolled: 1-line block ×3, first 2 shown]
	v_pk_add_f32 v[42:43], v[54:55], v[42:43] neg_lo:[0,1] neg_hi:[0,1]
	v_mov_b32_e32 v47, v37
	v_ldexp_f32 v57, v57, 1
	v_pk_add_f32 v[42:43], v[46:47], v[42:43] neg_lo:[0,1] neg_hi:[0,1]
	v_add_f32_e32 v39, v52, v32
	v_add_f32_e32 v31, v57, v42
	v_pk_add_f32 v[46:47], v[38:39], v[40:41]
	v_mov_b32_e32 v53, v41
	v_add_f32_e32 v37, v31, v43
	v_mov_b32_e32 v42, v39
	v_mov_b32_e32 v43, v47
	v_pk_add_f32 v[42:43], v[42:43], v[52:53] neg_lo:[0,1] neg_hi:[0,1]
	v_mov_b32_e32 v33, v39
	v_pk_add_f32 v[32:33], v[32:33], v[42:43] neg_lo:[0,1] neg_hi:[0,1]
	v_pk_add_f32 v[42:43], v[48:49], v[14:15] neg_lo:[0,1] neg_hi:[0,1]
	v_mov_b32_e32 v54, v15
	v_pk_add_f32 v[14:15], v[48:49], v[14:15]
	v_ldexp_f32 v56, v58, 1
	v_mov_b32_e32 v13, v48
	v_mov_b32_e32 v43, v15
	v_add_f32_e32 v31, v56, v32
	v_pk_add_f32 v[56:57], v[12:13], v[42:43] neg_lo:[0,1] neg_hi:[0,1]
	v_pk_add_f32 v[12:13], v[12:13], v[42:43]
	v_mov_b32_e32 v55, v48
	v_pk_add_f32 v[42:43], v[12:13], v[48:49] op_sel:[1,0] op_sel_hi:[0,1] neg_lo:[0,1] neg_hi:[0,1]
	v_add_f32_e32 v39, v31, v33
	v_mov_b32_e32 v32, v15
	v_mov_b32_e32 v33, v13
	v_pk_add_f32 v[14:15], v[14:15], v[42:43] op_sel_hi:[1,0] neg_lo:[0,1] neg_hi:[0,1]
	v_pk_mov_b32 v[42:43], v[48:49], v[42:43] op_sel:[1,0]
	v_pk_add_f32 v[48:49], v[50:51], v[34:35] neg_lo:[0,1] neg_hi:[0,1]
	v_mov_b32_e32 v52, v35
	v_pk_add_f32 v[34:35], v[50:51], v[34:35]
	v_mov_b32_e32 v29, v50
	v_pk_add_f32 v[32:33], v[32:33], v[42:43] neg_lo:[0,1] neg_hi:[0,1]
	v_mov_b32_e32 v49, v35
	v_mov_b32_e32 v14, v56
	v_pk_add_f32 v[32:33], v[54:55], v[32:33] neg_lo:[0,1] neg_hi:[0,1]
	v_pk_add_f32 v[54:55], v[28:29], v[48:49] neg_lo:[0,1] neg_hi:[0,1]
	v_pk_add_f32 v[28:29], v[28:29], v[48:49]
	v_pk_add_f32 v[14:15], v[14:15], v[32:33]
	v_pk_add_f32 v[48:49], v[28:29], v[50:51] op_sel:[1,0] op_sel_hi:[0,1] neg_lo:[0,1] neg_hi:[0,1]
	v_mov_b32_e32 v53, v50
	v_mov_b32_e32 v42, v35
	;; [unrolled: 1-line block ×3, first 2 shown]
	v_pk_add_f32 v[34:35], v[34:35], v[48:49] op_sel_hi:[1,0] neg_lo:[0,1] neg_hi:[0,1]
	v_pk_mov_b32 v[48:49], v[50:51], v[48:49] op_sel:[1,0]
	v_pk_add_f32 v[50:51], v[14:15], v[14:15] op_sel:[0,1] op_sel_hi:[1,0]
	v_mov_b32_e32 v57, v13
	v_pk_add_f32 v[12:13], v[12:13], v[50:51] op_sel:[1,0] op_sel_hi:[0,1]
	v_mov_b32_e32 v33, v50
	v_pk_add_f32 v[50:51], v[44:45], v[36:37] neg_lo:[0,1] neg_hi:[0,1]
	v_pk_add_f32 v[42:43], v[42:43], v[48:49] neg_lo:[0,1] neg_hi:[0,1]
	v_pk_add_f32 v[48:49], v[44:45], v[36:37]
	v_mov_b32_e32 v31, v44
	v_mov_b32_e32 v51, v49
	;; [unrolled: 1-line block ×3, first 2 shown]
	v_pk_add_f32 v[42:43], v[52:53], v[42:43] neg_lo:[0,1] neg_hi:[0,1]
	v_mov_b32_e32 v34, v54
	v_pk_add_f32 v[52:53], v[30:31], v[50:51] neg_lo:[0,1] neg_hi:[0,1]
	v_pk_add_f32 v[30:31], v[30:31], v[50:51]
	v_pk_add_f32 v[50:51], v[14:15], v[56:57] neg_lo:[0,1] neg_hi:[0,1]
	v_pk_add_f32 v[34:35], v[34:35], v[42:43]
	v_sub_f32_e32 v13, v14, v50
	v_mov_b32_e32 v14, v37
	v_pk_add_f32 v[32:33], v[32:33], v[50:51] neg_lo:[0,1] neg_hi:[0,1]
	v_pk_add_f32 v[36:37], v[30:31], v[44:45] op_sel:[1,0] op_sel_hi:[0,1] neg_lo:[0,1] neg_hi:[0,1]
	v_pk_add_f32 v[50:51], v[34:35], v[34:35] op_sel:[0,1] op_sel_hi:[1,0]
	v_mov_b32_e32 v15, v44
	v_mov_b32_e32 v55, v29
	v_pk_mov_b32 v[44:45], v[44:45], v[36:37] op_sel:[1,0]
	v_pk_add_f32 v[36:37], v[48:49], v[36:37] op_sel_hi:[1,0] neg_lo:[0,1] neg_hi:[0,1]
	v_mov_b32_e32 v48, v49
	v_mov_b32_e32 v49, v31
	v_sub_f32_e32 v13, v56, v13
	v_pk_add_f32 v[28:29], v[28:29], v[50:51] op_sel:[1,0] op_sel_hi:[0,1]
	v_pk_add_f32 v[44:45], v[48:49], v[44:45] neg_lo:[0,1] neg_hi:[0,1]
	v_add_f32_e32 v13, v32, v13
	v_mov_b32_e32 v35, v28
	v_cmp_lt_f32_e64 s[70:71], |v26|, 1.0
	v_cmp_lt_f32_e64 s[72:73], |v27|, 1.0
	v_mov_b32_e32 v43, v50
	v_pk_add_f32 v[50:51], v[46:47], v[38:39] neg_lo:[0,1] neg_hi:[0,1]
	v_pk_add_f32 v[48:49], v[46:47], v[38:39]
	v_pk_add_f32 v[14:15], v[14:15], v[44:45] neg_lo:[0,1] neg_hi:[0,1]
	v_add_f32_e32 v13, v13, v33
	v_pk_add_f32 v[32:33], v[34:35], v[54:55] neg_lo:[0,1] neg_hi:[0,1]
	v_mov_b32_e32 v36, v52
	s_xor_b64 s[40:41], s[40:41], s[72:73]
	s_xor_b64 s[38:39], s[38:39], s[70:71]
	v_mov_b32_e32 v41, v46
	v_mov_b32_e32 v51, v49
	v_sub_f32_e32 v38, v34, v32
	v_pk_add_f32 v[36:37], v[36:37], v[14:15]
	v_cmp_gt_f32_e64 s[30:31], 0, v9
	v_cmp_eq_f32_e64 s[20:21], 0, v27
	v_cndmask_b32_e64 v59, v20, 0, s[38:39]
	v_cndmask_b32_e64 v53, v20, 0, s[40:41]
	v_cmp_neq_f32_e64 s[38:39], |v27|, 1.0
	v_pk_add_f32 v[44:45], v[40:41], v[50:51] neg_lo:[0,1] neg_hi:[0,1]
	v_pk_add_f32 v[40:41], v[40:41], v[50:51]
	v_mov_b32_e32 v34, v39
	v_sub_f32_e32 v54, v54, v38
	v_pk_add_f32 v[38:39], v[36:37], v[36:37] op_sel:[0,1] op_sel_hi:[1,0]
	v_cmp_gt_f32_e64 s[28:29], 0, v8
	v_cmp_gt_f32_e64 s[34:35], 0, v6
	v_cmp_eq_f32_e64 s[24:25], 0, v26
	v_trunc_f32_e32 v4, v7
	v_cmp_eq_f32_e64 s[16:17], 0, v24
	s_xor_b64 s[26:27], s[30:31], s[20:21]
	s_and_b64 s[10:11], s[2:3], s[10:11]
	v_cndmask_b32_e64 v56, 1.0, v53, s[38:39]
	v_mov_b32_e32 v53, v31
	v_pk_add_f32 v[30:31], v[30:31], v[38:39] op_sel:[1,0] op_sel_hi:[0,1]
	v_mov_b32_e32 v15, v38
	v_pk_add_f32 v[38:39], v[40:41], v[46:47] op_sel:[1,0] op_sel_hi:[0,1] neg_lo:[0,1] neg_hi:[0,1]
	v_cmp_gt_f32_e64 s[36:37], 0, v7
	v_cndmask_b32_e64 v29, v20, 0, s[26:27]
	s_xor_b64 s[26:27], s[28:29], s[24:25]
	v_cmp_eq_f32_e64 s[30:31], v4, v7
	v_cmp_eq_f32_e64 s[28:29], 0, v25
	s_xor_b64 s[34:35], s[34:35], s[16:17]
	v_pk_add_f32 v[32:33], v[42:43], v[32:33] neg_lo:[0,1] neg_hi:[0,1]
	v_mov_b32_e32 v35, v46
	v_pk_mov_b32 v[42:43], v[46:47], v[38:39] op_sel:[1,0]
	v_mov_b32_e32 v46, v49
	v_mov_b32_e32 v47, v41
	v_cndmask_b32_e64 v37, 0, v27, s[10:11]
	s_and_b64 s[6:7], s[0:1], s[6:7]
	v_cmp_neq_f32_e64 s[60:61], v7, |v7|
	v_cmp_lt_f32_e64 s[70:71], |v25|, 1.0
	v_cndmask_b32_e64 v50, v20, 0, s[34:35]
	s_xor_b64 s[36:37], s[36:37], s[28:29]
	v_pk_add_f32 v[42:43], v[46:47], v[42:43] neg_lo:[0,1] neg_hi:[0,1]
	s_and_b64 s[8:9], s[30:31], s[8:9]
	v_bfi_b32 v47, s68, v29, v37
	v_cndmask_b32_e64 v29, 0, v24, s[6:7]
	s_xor_b64 s[34:35], s[60:61], s[70:71]
	v_pk_add_f32 v[38:39], v[48:49], v[38:39] op_sel_hi:[1,0] neg_lo:[0,1] neg_hi:[0,1]
	v_cndmask_b32_e64 v31, v20, 0, s[36:37]
	v_bfi_b32 v48, s68, v50, v29
	v_cndmask_b32_e64 v29, 0, v25, s[8:9]
	s_and_b64 s[12:13], s[4:5], s[12:13]
	v_pk_add_f32 v[34:35], v[34:35], v[42:43] neg_lo:[0,1] neg_hi:[0,1]
	v_cndmask_b32_e64 v42, 1.0, v24, s[6:7]
	v_bfi_b32 v49, s68, v31, v29
	v_add_f32_e32 v29, v12, v13
	v_cndmask_b32_e64 v31, v20, 0, s[34:35]
	v_cmp_neq_f32_e64 s[6:7], |v25|, 1.0
	v_cndmask_b32_e64 v45, v20, 0, s[26:27]
	v_cndmask_b32_e64 v38, 0, v26, s[12:13]
	v_sub_f32_e32 v12, v29, v12
	v_cndmask_b32_e64 v50, 1.0, v31, s[6:7]
	v_mul_f32_e32 v31, v9, v29
	v_bfi_b32 v43, s68, v45, v38
	v_sub_f32_e32 v12, v13, v12
	v_mov_b32_e32 v38, v44
	v_fma_f32 v58, v9, v29, -v31
	v_add_f32_e32 v13, v32, v54
	v_mov_b32_e32 v37, v30
	v_fmac_f32_e32 v58, v9, v12
	v_add_f32_e32 v54, v13, v33
	v_pk_add_f32 v[12:13], v[36:37], v[52:53] neg_lo:[0,1] neg_hi:[0,1]
	v_pk_add_f32 v[32:33], v[38:39], v[34:35]
	v_add_f32_e32 v29, v31, v58
	v_cmp_class_f32_e64 s[6:7], v31, s64
	v_sub_f32_e32 v35, v36, v12
	v_add_f32_e32 v36, v28, v54
	v_pk_add_f32 v[12:13], v[14:15], v[12:13] neg_lo:[0,1] neg_hi:[0,1]
	v_pk_add_f32 v[14:15], v[32:33], v[32:33] op_sel:[0,1] op_sel_hi:[1,0]
	v_sub_f32_e32 v37, v29, v31
	v_cndmask_b32_e64 v31, v29, v31, s[6:7]
	v_sub_f32_e32 v33, v36, v28
	v_mul_f32_e32 v38, v8, v36
	v_pk_add_f32 v[28:29], v[40:41], v[14:15] op_sel:[1,0] op_sel_hi:[0,1]
	v_sub_f32_e32 v39, v52, v35
	v_sub_f32_e32 v29, v54, v33
	v_fma_f32 v36, v8, v36, -v38
	v_cmp_eq_f32_e64 s[6:7], s65, v31
	v_mov_b32_e32 v45, v41
	v_mov_b32_e32 v35, v14
	v_sub_f32_e32 v14, v58, v37
	v_cndmask_b32_e64 v15, 0, v19, s[6:7]
	v_cmp_class_f32_e64 s[6:7], v31, s64
	v_add_f32_e32 v12, v12, v39
	v_mov_b32_e32 v33, v28
	v_fmac_f32_e32 v36, v8, v29
	v_sub_f32_e32 v37, v31, v15
	v_cndmask_b32_e64 v31, v14, 0, s[6:7]
	v_add_f32_e32 v14, v12, v13
	v_pk_add_f32 v[12:13], v[32:33], v[44:45] neg_lo:[0,1] neg_hi:[0,1]
	v_add_f32_e32 v29, v38, v36
	v_cmp_class_f32_e64 s[6:7], v38, s64
	v_mul_f32_e32 v33, 0x3fb8aa3b, v37
	v_add_f32_e32 v39, v30, v14
	v_pk_add_f32 v[34:35], v[34:35], v[12:13] neg_lo:[0,1] neg_hi:[0,1]
	v_sub_f32_e32 v12, v32, v12
	v_sub_f32_e32 v13, v29, v38
	v_cndmask_b32_e64 v29, v29, v38, s[6:7]
	v_fma_f32 v32, v37, s66, -v33
	v_rndne_f32_e32 v38, v33
	v_sub_f32_e32 v40, v39, v30
	v_mul_f32_e32 v41, v7, v39
	v_sub_f32_e32 v12, v44, v12
	v_cmp_eq_f32_e64 s[6:7], s65, v29
	v_sub_f32_e32 v13, v36, v13
	v_fmac_f32_e32 v32, 0x32a5705f, v37
	v_sub_f32_e32 v33, v33, v38
	v_cvt_i32_f32_e32 v36, v38
	v_cndmask_b32_e64 v30, 0, v19, s[6:7]
	v_sub_f32_e32 v38, v14, v40
	v_fma_f32 v39, v7, v39, -v41
	v_add_f32_e32 v12, v34, v12
	v_cmp_class_f32_e64 s[6:7], v29, s64
	v_fmac_f32_e32 v39, v7, v38
	v_cndmask_b32_e64 v46, 1.0, v25, s[8:9]
	v_cndmask_b32_e64 v14, v13, 0, s[6:7]
	v_add_f32_e32 v13, v33, v32
	v_sub_f32_e32 v32, v29, v30
	v_add_f32_e32 v29, v12, v35
	v_exp_f32_e32 v33, v13
	v_pk_add_f32 v[12:13], v[14:15], v[30:31]
	v_mul_f32_e32 v14, 0x3fb8aa3b, v32
	v_add_f32_e32 v15, v41, v39
	v_cmp_class_f32_e64 s[6:7], v41, s64
	v_add_f32_e32 v30, v28, v29
	v_fma_f32 v31, v32, s66, -v14
	v_rndne_f32_e32 v34, v14
	v_sub_f32_e32 v35, v15, v41
	v_cndmask_b32_e64 v38, v15, v41, s[6:7]
	v_sub_f32_e32 v15, v30, v28
	v_mul_f32_e32 v28, v6, v30
	v_fmac_f32_e32 v31, 0x32a5705f, v32
	v_sub_f32_e32 v14, v14, v34
	v_sub_f32_e32 v29, v29, v15
	v_fma_f32 v30, v6, v30, -v28
	v_cmp_eq_f32_e64 s[6:7], s65, v38
	v_sub_f32_e32 v35, v39, v35
	v_add_f32_e32 v14, v14, v31
	v_cndmask_b32_e64 v15, 0, v19, s[6:7]
	v_cmp_class_f32_e64 s[6:7], v38, s64
	v_fmac_f32_e32 v30, v6, v29
	v_sub_f32_e32 v38, v38, v15
	v_cndmask_b32_e64 v29, v35, 0, s[6:7]
	v_ldexp_f32 v31, v33, v36
	v_exp_f32_e32 v33, v14
	v_add_f32_e32 v14, v28, v30
	v_cmp_class_f32_e64 s[6:7], v28, s64
	v_cmp_ngt_f32_e64 s[8:9], s67, v37
	v_cvt_i32_f32_e32 v34, v34
	v_mul_f32_e32 v35, 0x3fb8aa3b, v38
	v_cndmask_b32_e64 v31, 0, v31, s[8:9]
	v_cndmask_b32_e64 v39, v14, v28, s[6:7]
	v_cmp_nlt_f32_e64 s[6:7], s65, v37
	v_sub_f32_e32 v36, v14, v28
	v_fma_f32 v40, v38, s66, -v35
	v_rndne_f32_e32 v14, v35
	v_cndmask_b32_e64 v31, v20, v31, s[6:7]
	v_cmp_eq_f32_e64 s[6:7], s65, v39
	v_sub_f32_e32 v30, v30, v36
	v_fmac_f32_e32 v40, 0x32a5705f, v38
	v_sub_f32_e32 v35, v35, v14
	v_cndmask_b32_e64 v28, 0, v19, s[6:7]
	v_cmp_class_f32_e64 s[6:7], v39, s64
	v_cvt_i32_f32_e32 v36, v14
	v_ldexp_f32 v33, v33, v34
	v_cndmask_b32_e64 v14, v30, 0, s[6:7]
	v_add_f32_e32 v30, v35, v40
	v_sub_f32_e32 v35, v39, v28
	v_pk_add_f32 v[14:15], v[14:15], v[28:29]
	v_mul_f32_e32 v28, 0x3fb8aa3b, v35
	v_cmp_ngt_f32_e64 s[6:7], s67, v32
	v_exp_f32_e32 v34, v30
	v_rndne_f32_e32 v37, v28
	v_cndmask_b32_e64 v29, 0, v33, s[6:7]
	v_fma_f32 v33, v35, s66, -v28
	v_cmp_nlt_f32_e64 s[6:7], s65, v32
	v_fmac_f32_e32 v33, 0x32a5705f, v35
	v_sub_f32_e32 v28, v28, v37
	v_cndmask_b32_e64 v30, v20, v29, s[6:7]
	v_pk_fma_f32 v[12:13], v[30:31], v[12:13], v[30:31]
	v_cmp_class_f32_e64 s[6:7], v31, v21
	v_add_f32_e32 v28, v28, v33
	v_cmp_class_f32_e64 s[8:9], v30, v21
	v_cndmask_b32_e64 v51, 1.0, v26, s[12:13]
	v_cndmask_b32_e64 v55, 1.0, v27, s[10:11]
	v_cvt_i32_f32_e32 v29, v37
	v_cndmask_b32_e64 v12, v12, v30, s[8:9]
	v_cndmask_b32_e64 v13, v13, v31, s[6:7]
	v_exp_f32_e32 v28, v28
	v_ldexp_f32 v30, v34, v36
	v_cmp_ngt_f32_e64 s[6:7], s67, v38
	v_bfi_b32 v31, s68, v13, v55
	v_bfi_b32 v12, s68, v12, v51
	v_cmp_neq_f32_e64 s[40:41], |v26|, 1.0
	v_cndmask_b32_e64 v13, 0, v30, s[6:7]
	v_cndmask_b32_e64 v30, v22, v12, s[4:5]
	v_cmp_gt_f32_e64 s[4:5], 0, v26
	v_cndmask_b32_e64 v32, v22, v31, s[2:3]
	v_cmp_gt_f32_e64 s[2:3], 0, v27
	v_cmp_class_f32_e64 s[18:19], v27, v21
	v_cmp_class_f32_e64 s[22:23], v26, v21
	v_cndmask_b32_e64 v57, 1.0, v59, s[40:41]
	v_cmp_nlt_f32_e64 s[6:7], s65, v38
	v_cndmask_b32_e64 v31, v31, v32, s[2:3]
	v_cndmask_b32_e64 v12, v12, v30, s[4:5]
	v_cmp_class_f32_e64 s[2:3], v9, v21
	v_cmp_class_f32_e64 s[4:5], v8, v21
	v_cndmask_b32_e64 v13, v20, v13, s[6:7]
	v_cndmask_b32_e64 v30, v31, v56, s[2:3]
	;; [unrolled: 1-line block ×3, first 2 shown]
	s_or_b64 s[2:3], s[24:25], s[22:23]
	v_ldexp_f32 v28, v28, v29
	v_cmp_ngt_f32_e64 s[4:5], s67, v35
	s_or_b64 s[6:7], s[20:21], s[18:19]
	v_cndmask_b32_e64 v29, v30, v47, s[6:7]
	v_cndmask_b32_e64 v12, v12, v43, s[2:3]
	v_cmp_o_f32_e64 s[2:3], v27, v9
	v_cndmask_b32_e64 v9, 0, v28, s[4:5]
	v_cmp_nlt_f32_e64 s[4:5], s65, v35
	v_cmp_o_f32_e64 s[6:7], v26, v8
	v_cndmask_b32_e64 v27, v22, v29, s[2:3]
	v_cmp_class_f32_e64 s[2:3], v13, v21
	v_cndmask_b32_e64 v26, v22, v12, s[6:7]
	v_cndmask_b32_e64 v12, v20, v9, s[4:5]
	v_bfe_u32 v29, v26, 16, 1
	v_pk_fma_f32 v[8:9], v[12:13], v[14:15], v[12:13]
	v_cmp_class_f32_e64 s[4:5], v12, v21
	v_cmp_neq_f32_e64 s[42:43], v6, |v6|
	v_cmp_lt_f32_e64 s[62:63], |v24|, 1.0
	v_bfe_u32 v28, v27, 16, 1
	v_add3_u32 v15, v26, v29, s69
	v_cndmask_b32_e64 v8, v8, v12, s[4:5]
	v_cndmask_b32_e64 v9, v9, v13, s[2:3]
	s_xor_b64 s[26:27], s[42:43], s[62:63]
	v_add3_u32 v14, v27, v28, s69
	v_and_b32_e32 v13, 0xffff0000, v15
	v_bfi_b32 v9, s68, v9, v46
	v_bfi_b32 v8, s68, v8, v42
	v_cmp_o_f32_e64 s[2:3], v26, v26
	v_cndmask_b32_e64 v4, v20, 0, s[26:27]
	v_cmp_neq_f32_e64 s[42:43], |v24|, 1.0
	v_lshrrev_b32_e32 v12, 16, v14
	v_cndmask_b32_e64 v14, v22, v8, s[0:1]
	v_cmp_gt_f32_e64 s[0:1], 0, v24
	v_cndmask_b32_e64 v15, v22, v9, s[30:31]
	v_cndmask_b32_e64 v13, v22, v13, s[2:3]
	v_cmp_gt_f32_e64 s[2:3], 0, v25
	v_cmp_class_f32_e64 s[14:15], v24, v21
	v_cmp_class_f32_e64 s[26:27], v25, v21
	v_cndmask_b32_e64 v4, 1.0, v4, s[42:43]
	v_cndmask_b32_e64 v9, v9, v15, s[2:3]
	v_cndmask_b32_e64 v8, v8, v14, s[0:1]
	v_cmp_class_f32_e64 s[0:1], v7, v21
	v_cmp_class_f32_e64 s[2:3], v6, v21
	v_cmp_o_f32_e64 s[4:5], v27, v27
	v_cndmask_b32_e64 v9, v9, v50, s[0:1]
	v_cndmask_b32_e64 v4, v8, v4, s[2:3]
	s_or_b64 s[0:1], s[16:17], s[14:15]
	s_or_b64 s[2:3], s[28:29], s[26:27]
	v_cndmask_b32_e64 v9, v9, v49, s[2:3]
	v_cndmask_b32_e64 v4, v4, v48, s[0:1]
	v_cmp_o_f32_e64 s[0:1], v25, v7
	s_or_b64 s[54:55], vcc, s[54:55]
	v_cmp_o_f32_e32 vcc, v24, v6
	v_cndmask_b32_e64 v6, v22, v9, s[0:1]
	v_bfe_u32 v7, v6, 16, 1
	v_cndmask_b32_e32 v4, v22, v4, vcc
	v_bfe_u32 v9, v4, 16, 1
	v_add3_u32 v7, v6, v7, s69
	v_add3_u32 v9, v4, v9, s69
	v_cndmask_b32_e64 v12, v23, v12, s[4:5]
	v_lshrrev_b32_e32 v7, 16, v7
	v_and_b32_e32 v9, 0xffff0000, v9
	v_cmp_o_f32_e32 vcc, v6, v6
	v_cmp_o_f32_e64 s[0:1], v4, v4
	v_or_b32_e32 v12, v12, v13
	v_cndmask_b32_e32 v6, v23, v7, vcc
	v_cndmask_b32_e64 v4, v22, v9, s[0:1]
	v_lshl_add_u64 v[10:11], s[46:47], 0, v[2:3]
	v_lshl_add_u64 v[2:3], v[2:3], 0, s[52:53]
	v_or3_b32 v8, v12, 0, 0
	v_or3_b32 v9, 0, v6, v4
	global_store_dwordx2 v[10:11], v[8:9], off
	s_andn2_b64 exec, exec, s[54:55]
	s_cbranch_execnz .LBB71_24
.LBB71_25:
	s_endpgm
	.section	.rodata,"a",@progbits
	.p2align	6, 0x0
	.amdhsa_kernel _ZN2at6native12_GLOBAL__N_125multi_tensor_apply_kernelINS1_18TensorListMetadataILi2EEENS1_21BinaryOpScalarFunctorIN3c108BFloat16ELi2ELi1ELi1EEEJNS1_13power_functorIfEEfEEEvT_T0_DpT1_
		.amdhsa_group_segment_fixed_size 0
		.amdhsa_private_segment_fixed_size 0
		.amdhsa_kernarg_size 3408
		.amdhsa_user_sgpr_count 2
		.amdhsa_user_sgpr_dispatch_ptr 0
		.amdhsa_user_sgpr_queue_ptr 0
		.amdhsa_user_sgpr_kernarg_segment_ptr 1
		.amdhsa_user_sgpr_dispatch_id 0
		.amdhsa_user_sgpr_kernarg_preload_length 0
		.amdhsa_user_sgpr_kernarg_preload_offset 0
		.amdhsa_user_sgpr_private_segment_size 0
		.amdhsa_uses_dynamic_stack 0
		.amdhsa_enable_private_segment 0
		.amdhsa_system_sgpr_workgroup_id_x 1
		.amdhsa_system_sgpr_workgroup_id_y 0
		.amdhsa_system_sgpr_workgroup_id_z 0
		.amdhsa_system_sgpr_workgroup_info 0
		.amdhsa_system_vgpr_workitem_id 0
		.amdhsa_next_free_vgpr 60
		.amdhsa_next_free_sgpr 74
		.amdhsa_accum_offset 60
		.amdhsa_reserve_vcc 1
		.amdhsa_float_round_mode_32 0
		.amdhsa_float_round_mode_16_64 0
		.amdhsa_float_denorm_mode_32 3
		.amdhsa_float_denorm_mode_16_64 3
		.amdhsa_dx10_clamp 1
		.amdhsa_ieee_mode 1
		.amdhsa_fp16_overflow 0
		.amdhsa_tg_split 0
		.amdhsa_exception_fp_ieee_invalid_op 0
		.amdhsa_exception_fp_denorm_src 0
		.amdhsa_exception_fp_ieee_div_zero 0
		.amdhsa_exception_fp_ieee_overflow 0
		.amdhsa_exception_fp_ieee_underflow 0
		.amdhsa_exception_fp_ieee_inexact 0
		.amdhsa_exception_int_div_zero 0
	.end_amdhsa_kernel
	.section	.text._ZN2at6native12_GLOBAL__N_125multi_tensor_apply_kernelINS1_18TensorListMetadataILi2EEENS1_21BinaryOpScalarFunctorIN3c108BFloat16ELi2ELi1ELi1EEEJNS1_13power_functorIfEEfEEEvT_T0_DpT1_,"axG",@progbits,_ZN2at6native12_GLOBAL__N_125multi_tensor_apply_kernelINS1_18TensorListMetadataILi2EEENS1_21BinaryOpScalarFunctorIN3c108BFloat16ELi2ELi1ELi1EEEJNS1_13power_functorIfEEfEEEvT_T0_DpT1_,comdat
.Lfunc_end71:
	.size	_ZN2at6native12_GLOBAL__N_125multi_tensor_apply_kernelINS1_18TensorListMetadataILi2EEENS1_21BinaryOpScalarFunctorIN3c108BFloat16ELi2ELi1ELi1EEEJNS1_13power_functorIfEEfEEEvT_T0_DpT1_, .Lfunc_end71-_ZN2at6native12_GLOBAL__N_125multi_tensor_apply_kernelINS1_18TensorListMetadataILi2EEENS1_21BinaryOpScalarFunctorIN3c108BFloat16ELi2ELi1ELi1EEEJNS1_13power_functorIfEEfEEEvT_T0_DpT1_
                                        ; -- End function
	.set _ZN2at6native12_GLOBAL__N_125multi_tensor_apply_kernelINS1_18TensorListMetadataILi2EEENS1_21BinaryOpScalarFunctorIN3c108BFloat16ELi2ELi1ELi1EEEJNS1_13power_functorIfEEfEEEvT_T0_DpT1_.num_vgpr, 60
	.set _ZN2at6native12_GLOBAL__N_125multi_tensor_apply_kernelINS1_18TensorListMetadataILi2EEENS1_21BinaryOpScalarFunctorIN3c108BFloat16ELi2ELi1ELi1EEEJNS1_13power_functorIfEEfEEEvT_T0_DpT1_.num_agpr, 0
	.set _ZN2at6native12_GLOBAL__N_125multi_tensor_apply_kernelINS1_18TensorListMetadataILi2EEENS1_21BinaryOpScalarFunctorIN3c108BFloat16ELi2ELi1ELi1EEEJNS1_13power_functorIfEEfEEEvT_T0_DpT1_.numbered_sgpr, 74
	.set _ZN2at6native12_GLOBAL__N_125multi_tensor_apply_kernelINS1_18TensorListMetadataILi2EEENS1_21BinaryOpScalarFunctorIN3c108BFloat16ELi2ELi1ELi1EEEJNS1_13power_functorIfEEfEEEvT_T0_DpT1_.num_named_barrier, 0
	.set _ZN2at6native12_GLOBAL__N_125multi_tensor_apply_kernelINS1_18TensorListMetadataILi2EEENS1_21BinaryOpScalarFunctorIN3c108BFloat16ELi2ELi1ELi1EEEJNS1_13power_functorIfEEfEEEvT_T0_DpT1_.private_seg_size, 0
	.set _ZN2at6native12_GLOBAL__N_125multi_tensor_apply_kernelINS1_18TensorListMetadataILi2EEENS1_21BinaryOpScalarFunctorIN3c108BFloat16ELi2ELi1ELi1EEEJNS1_13power_functorIfEEfEEEvT_T0_DpT1_.uses_vcc, 1
	.set _ZN2at6native12_GLOBAL__N_125multi_tensor_apply_kernelINS1_18TensorListMetadataILi2EEENS1_21BinaryOpScalarFunctorIN3c108BFloat16ELi2ELi1ELi1EEEJNS1_13power_functorIfEEfEEEvT_T0_DpT1_.uses_flat_scratch, 0
	.set _ZN2at6native12_GLOBAL__N_125multi_tensor_apply_kernelINS1_18TensorListMetadataILi2EEENS1_21BinaryOpScalarFunctorIN3c108BFloat16ELi2ELi1ELi1EEEJNS1_13power_functorIfEEfEEEvT_T0_DpT1_.has_dyn_sized_stack, 0
	.set _ZN2at6native12_GLOBAL__N_125multi_tensor_apply_kernelINS1_18TensorListMetadataILi2EEENS1_21BinaryOpScalarFunctorIN3c108BFloat16ELi2ELi1ELi1EEEJNS1_13power_functorIfEEfEEEvT_T0_DpT1_.has_recursion, 0
	.set _ZN2at6native12_GLOBAL__N_125multi_tensor_apply_kernelINS1_18TensorListMetadataILi2EEENS1_21BinaryOpScalarFunctorIN3c108BFloat16ELi2ELi1ELi1EEEJNS1_13power_functorIfEEfEEEvT_T0_DpT1_.has_indirect_call, 0
	.section	.AMDGPU.csdata,"",@progbits
; Kernel info:
; codeLenInByte = 9884
; TotalNumSgprs: 80
; NumVgprs: 60
; NumAgprs: 0
; TotalNumVgprs: 60
; ScratchSize: 0
; MemoryBound: 0
; FloatMode: 240
; IeeeMode: 1
; LDSByteSize: 0 bytes/workgroup (compile time only)
; SGPRBlocks: 9
; VGPRBlocks: 7
; NumSGPRsForWavesPerEU: 80
; NumVGPRsForWavesPerEU: 60
; AccumOffset: 60
; Occupancy: 8
; WaveLimiterHint : 0
; COMPUTE_PGM_RSRC2:SCRATCH_EN: 0
; COMPUTE_PGM_RSRC2:USER_SGPR: 2
; COMPUTE_PGM_RSRC2:TRAP_HANDLER: 0
; COMPUTE_PGM_RSRC2:TGID_X_EN: 1
; COMPUTE_PGM_RSRC2:TGID_Y_EN: 0
; COMPUTE_PGM_RSRC2:TGID_Z_EN: 0
; COMPUTE_PGM_RSRC2:TIDIG_COMP_CNT: 0
; COMPUTE_PGM_RSRC3_GFX90A:ACCUM_OFFSET: 14
; COMPUTE_PGM_RSRC3_GFX90A:TG_SPLIT: 0
	.section	.text._ZN2at6native12_GLOBAL__N_125multi_tensor_apply_kernelINS1_18TensorListMetadataILi2EEENS1_21BinaryOpScalarFunctorIhLi2ELi1ELi1EEEJNS1_21reverse_power_functorIhEEhEEEvT_T0_DpT1_,"axG",@progbits,_ZN2at6native12_GLOBAL__N_125multi_tensor_apply_kernelINS1_18TensorListMetadataILi2EEENS1_21BinaryOpScalarFunctorIhLi2ELi1ELi1EEEJNS1_21reverse_power_functorIhEEhEEEvT_T0_DpT1_,comdat
	.globl	_ZN2at6native12_GLOBAL__N_125multi_tensor_apply_kernelINS1_18TensorListMetadataILi2EEENS1_21BinaryOpScalarFunctorIhLi2ELi1ELi1EEEJNS1_21reverse_power_functorIhEEhEEEvT_T0_DpT1_ ; -- Begin function _ZN2at6native12_GLOBAL__N_125multi_tensor_apply_kernelINS1_18TensorListMetadataILi2EEENS1_21BinaryOpScalarFunctorIhLi2ELi1ELi1EEEJNS1_21reverse_power_functorIhEEhEEEvT_T0_DpT1_
	.p2align	8
	.type	_ZN2at6native12_GLOBAL__N_125multi_tensor_apply_kernelINS1_18TensorListMetadataILi2EEENS1_21BinaryOpScalarFunctorIhLi2ELi1ELi1EEEJNS1_21reverse_power_functorIhEEhEEEvT_T0_DpT1_,@function
_ZN2at6native12_GLOBAL__N_125multi_tensor_apply_kernelINS1_18TensorListMetadataILi2EEENS1_21BinaryOpScalarFunctorIhLi2ELi1ELi1EEEJNS1_21reverse_power_functorIhEEhEEEvT_T0_DpT1_: ; @_ZN2at6native12_GLOBAL__N_125multi_tensor_apply_kernelINS1_18TensorListMetadataILi2EEENS1_21BinaryOpScalarFunctorIhLi2ELi1ELi1EEEJNS1_21reverse_power_functorIhEEhEEEvT_T0_DpT1_
; %bb.0:
	v_mov_b32_e32 v1, s2
	global_load_ubyte v1, v1, s[0:1] offset:1536
	s_load_dword s3, s[0:1], 0xc48
	s_mul_hi_u32 s4, s2, 3
	s_mul_i32 s5, s2, 3
	s_waitcnt lgkmcnt(0)
	s_lshr_b32 s30, s3, 16
	s_add_u32 s2, s0, s2
	s_addc_u32 s3, s1, 0
	s_add_u32 s2, s2, s5
	s_addc_u32 s3, s3, s4
	s_load_dword s2, s[2:3], 0x740
	s_waitcnt vmcnt(0)
	v_readfirstlane_b32 s3, v1
	s_lshl_b32 s3, s3, 3
	s_load_dwordx2 s[4:5], s[0:1], s3 offset:0x0
	s_load_dwordx2 s[6:7], s[0:1], s3 offset:0x400
	;; [unrolled: 1-line block ×3, first 2 shown]
	s_waitcnt lgkmcnt(0)
	s_ashr_i32 s3, s2, 31
	s_lshl_b64 s[2:3], s[2:3], 16
	s_add_u32 s10, s4, s2
	s_addc_u32 s11, s5, s3
	s_add_u32 s12, s8, s2
	s_addc_u32 s13, s9, s3
	s_sub_u32 s14, s6, s2
	s_subb_u32 s15, s7, s3
	s_or_b32 s2, s6, s12
	s_or_b32 s2, s2, s10
	s_and_b32 s2, s2, 3
	s_cmp_eq_u32 s2, 0
	s_mov_b64 s[2:3], -1
	s_cbranch_scc1 .LBB72_37
; %bb.1:
	v_cmp_lt_i64_e64 s[2:3], s[14:15], 1
	s_and_b64 vcc, exec, s[2:3]
	s_cbranch_vccnz .LBB72_36
; %bb.2:
	s_load_dword s4, s[0:1], 0xc5c
	v_mov_b64_e32 v[2:3], 0x10000
	v_cmp_lt_i64_e32 vcc, s[14:15], v[2:3]
	s_and_b64 s[2:3], vcc, exec
	s_cselect_b32 s3, s15, 0
	s_cselect_b32 s2, s14, 0x10000
	s_waitcnt lgkmcnt(0)
	s_and_b32 s16, s4, 0xffff
	v_cmp_lt_u64_e32 vcc, s[14:15], v[2:3]
	s_mov_b32 s17, 0
	s_and_b64 s[4:5], vcc, exec
	v_mov_b32_e32 v1, 0
	s_cselect_b32 s19, s15, 0
	s_cselect_b32 s18, s14, 0x10000
	s_lshl_b32 s20, s16, 1
	s_mov_b32 s21, s17
	s_mul_i32 s22, s16, 3
	s_mov_b32 s23, s17
	s_lshl_b32 s31, s16, 2
	s_mov_b64 s[24:25], 0
	v_mov_b64_e32 v[2:3], s[2:3]
	v_mov_b32_e32 v12, 1
	v_mov_b32_e32 v13, 2
	s_branch .LBB72_4
.LBB72_3:                               ;   in Loop: Header=BB72_4 Depth=1
	s_or_b64 exec, exec, s[2:3]
	s_add_u32 s24, s24, s31
	s_addc_u32 s25, s25, 0
	v_cmp_ge_i64_e32 vcc, s[24:25], v[2:3]
	s_cbranch_vccnz .LBB72_36
.LBB72_4:                               ; =>This Loop Header: Depth=1
                                        ;     Child Loop BB72_14 Depth 2
                                        ;     Child Loop BB72_18 Depth 2
	;; [unrolled: 1-line block ×4, first 2 shown]
	v_lshl_add_u64 v[4:5], s[24:25], 0, v[0:1]
	v_cmp_gt_u64_e32 vcc, s[18:19], v[4:5]
	v_mov_b32_e32 v17, 0
	s_and_saveexec_b64 s[2:3], vcc
	s_cbranch_execz .LBB72_6
; %bb.5:                                ;   in Loop: Header=BB72_4 Depth=1
	v_lshl_add_u64 v[6:7], s[10:11], 0, v[4:5]
	global_load_ubyte v17, v[6:7], off
.LBB72_6:                               ;   in Loop: Header=BB72_4 Depth=1
	s_or_b64 exec, exec, s[2:3]
	v_lshl_add_u64 v[6:7], v[4:5], 0, s[16:17]
	v_cmp_gt_u64_e64 s[2:3], s[18:19], v[6:7]
	v_mov_b32_e32 v16, 0
	v_mov_b32_e32 v18, 0
	s_and_saveexec_b64 s[4:5], s[2:3]
	s_cbranch_execz .LBB72_8
; %bb.7:                                ;   in Loop: Header=BB72_4 Depth=1
	v_lshl_add_u64 v[8:9], s[10:11], 0, v[6:7]
	global_load_ubyte v18, v[8:9], off
.LBB72_8:                               ;   in Loop: Header=BB72_4 Depth=1
	s_or_b64 exec, exec, s[4:5]
	v_lshl_add_u64 v[8:9], v[4:5], 0, s[20:21]
	v_cmp_gt_u64_e64 s[4:5], s[18:19], v[8:9]
	s_and_saveexec_b64 s[6:7], s[4:5]
	s_cbranch_execz .LBB72_10
; %bb.9:                                ;   in Loop: Header=BB72_4 Depth=1
	v_lshl_add_u64 v[10:11], s[10:11], 0, v[8:9]
	global_load_ubyte v16, v[10:11], off
.LBB72_10:                              ;   in Loop: Header=BB72_4 Depth=1
	s_or_b64 exec, exec, s[6:7]
	v_lshl_add_u64 v[10:11], v[4:5], 0, s[22:23]
	v_cmp_gt_u64_e64 s[6:7], s[18:19], v[10:11]
	v_mov_b32_e32 v15, 0
	s_and_saveexec_b64 s[8:9], s[6:7]
	s_cbranch_execz .LBB72_12
; %bb.11:                               ;   in Loop: Header=BB72_4 Depth=1
	v_lshl_add_u64 v[14:15], s[10:11], 0, v[10:11]
	global_load_ubyte v15, v[14:15], off
.LBB72_12:                              ;   in Loop: Header=BB72_4 Depth=1
	s_or_b64 exec, exec, s[8:9]
	s_waitcnt vmcnt(0)
	v_cmp_ne_u16_sdwa s[8:9], v17, v1 src0_sel:BYTE_0 src1_sel:DWORD
	v_mov_b32_e32 v14, 1
	s_and_saveexec_b64 s[26:27], s[8:9]
	s_cbranch_execz .LBB72_16
; %bb.13:                               ;   in Loop: Header=BB72_4 Depth=1
	v_mov_b32_e32 v14, 1
	s_mov_b64 s[28:29], 0
	s_mov_b32 s33, s30
.LBB72_14:                              ;   Parent Loop BB72_4 Depth=1
                                        ; =>  This Inner Loop Header: Depth=2
	v_and_b32_e32 v19, 1, v17
	v_mov_b32_e32 v20, s33
	v_cmp_eq_u32_e64 s[8:9], 1, v19
	s_mul_i32 s33, s33, s33
	s_nop 0
	v_cndmask_b32_e64 v19, 1, v20, s[8:9]
	v_mul_lo_u16_e32 v14, v19, v14
	v_lshrrev_b16_sdwa v19, v12, v17 dst_sel:DWORD dst_unused:UNUSED_PAD src0_sel:DWORD src1_sel:BYTE_0
	v_cmp_lt_u16_sdwa s[8:9], v17, v13 src0_sel:BYTE_0 src1_sel:DWORD
	s_or_b64 s[28:29], s[8:9], s[28:29]
	v_mov_b32_e32 v17, v19
	s_andn2_b64 exec, exec, s[28:29]
	s_cbranch_execnz .LBB72_14
; %bb.15:                               ;   in Loop: Header=BB72_4 Depth=1
	s_or_b64 exec, exec, s[28:29]
.LBB72_16:                              ;   in Loop: Header=BB72_4 Depth=1
	s_or_b64 exec, exec, s[26:27]
	v_cmp_ne_u16_sdwa s[8:9], v18, v1 src0_sel:BYTE_0 src1_sel:DWORD
	v_mov_b32_e32 v17, 1
	s_and_saveexec_b64 s[26:27], s[8:9]
	s_cbranch_execz .LBB72_20
; %bb.17:                               ;   in Loop: Header=BB72_4 Depth=1
	v_mov_b32_e32 v17, 1
	s_mov_b64 s[28:29], 0
	s_mov_b32 s33, s30
.LBB72_18:                              ;   Parent Loop BB72_4 Depth=1
                                        ; =>  This Inner Loop Header: Depth=2
	v_and_b32_e32 v19, 1, v18
	v_mov_b32_e32 v20, s33
	v_cmp_eq_u32_e64 s[8:9], 1, v19
	s_mul_i32 s33, s33, s33
	s_nop 0
	v_cndmask_b32_e64 v19, 1, v20, s[8:9]
	v_mul_lo_u16_e32 v17, v19, v17
	v_lshrrev_b16_sdwa v19, v12, v18 dst_sel:DWORD dst_unused:UNUSED_PAD src0_sel:DWORD src1_sel:BYTE_0
	v_cmp_lt_u16_sdwa s[8:9], v18, v13 src0_sel:BYTE_0 src1_sel:DWORD
	s_or_b64 s[28:29], s[8:9], s[28:29]
	v_mov_b32_e32 v18, v19
	s_andn2_b64 exec, exec, s[28:29]
	s_cbranch_execnz .LBB72_18
; %bb.19:                               ;   in Loop: Header=BB72_4 Depth=1
	s_or_b64 exec, exec, s[28:29]
.LBB72_20:                              ;   in Loop: Header=BB72_4 Depth=1
	s_or_b64 exec, exec, s[26:27]
	v_cmp_ne_u16_sdwa s[8:9], v16, v1 src0_sel:BYTE_0 src1_sel:DWORD
	v_mov_b32_e32 v18, 1
	s_and_saveexec_b64 s[26:27], s[8:9]
	s_cbranch_execz .LBB72_24
; %bb.21:                               ;   in Loop: Header=BB72_4 Depth=1
	v_mov_b32_e32 v18, 1
	s_mov_b64 s[28:29], 0
	s_mov_b32 s33, s30
.LBB72_22:                              ;   Parent Loop BB72_4 Depth=1
                                        ; =>  This Inner Loop Header: Depth=2
	v_and_b32_e32 v19, 1, v16
	v_mov_b32_e32 v20, s33
	v_cmp_eq_u32_e64 s[8:9], 1, v19
	s_mul_i32 s33, s33, s33
	s_nop 0
	v_cndmask_b32_e64 v19, 1, v20, s[8:9]
	v_mul_lo_u16_e32 v18, v19, v18
	v_lshrrev_b16_sdwa v19, v12, v16 dst_sel:DWORD dst_unused:UNUSED_PAD src0_sel:DWORD src1_sel:BYTE_0
	v_cmp_lt_u16_sdwa s[8:9], v16, v13 src0_sel:BYTE_0 src1_sel:DWORD
	s_or_b64 s[28:29], s[8:9], s[28:29]
	v_mov_b32_e32 v16, v19
	s_andn2_b64 exec, exec, s[28:29]
	s_cbranch_execnz .LBB72_22
; %bb.23:                               ;   in Loop: Header=BB72_4 Depth=1
	s_or_b64 exec, exec, s[28:29]
.LBB72_24:                              ;   in Loop: Header=BB72_4 Depth=1
	s_or_b64 exec, exec, s[26:27]
	v_cmp_ne_u16_sdwa s[8:9], v15, v1 src0_sel:BYTE_0 src1_sel:DWORD
	v_mov_b32_e32 v16, 1
	s_and_saveexec_b64 s[26:27], s[8:9]
	s_cbranch_execnz .LBB72_29
; %bb.25:                               ;   in Loop: Header=BB72_4 Depth=1
	s_or_b64 exec, exec, s[26:27]
	s_and_saveexec_b64 s[8:9], vcc
	s_xor_b64 s[8:9], exec, s[8:9]
	s_cbranch_execnz .LBB72_32
.LBB72_26:                              ;   in Loop: Header=BB72_4 Depth=1
	s_or_b64 exec, exec, s[8:9]
	s_and_saveexec_b64 s[8:9], s[2:3]
	s_cbranch_execnz .LBB72_33
.LBB72_27:                              ;   in Loop: Header=BB72_4 Depth=1
	s_or_b64 exec, exec, s[8:9]
	s_and_saveexec_b64 s[2:3], s[4:5]
	s_cbranch_execnz .LBB72_34
.LBB72_28:                              ;   in Loop: Header=BB72_4 Depth=1
	s_or_b64 exec, exec, s[2:3]
	s_and_saveexec_b64 s[2:3], s[6:7]
	s_cbranch_execz .LBB72_3
	s_branch .LBB72_35
.LBB72_29:                              ;   in Loop: Header=BB72_4 Depth=1
	v_mov_b32_e32 v16, 1
	s_mov_b64 s[28:29], 0
	s_mov_b32 s33, s30
.LBB72_30:                              ;   Parent Loop BB72_4 Depth=1
                                        ; =>  This Inner Loop Header: Depth=2
	v_and_b32_e32 v19, 1, v15
	v_mov_b32_e32 v20, s33
	v_cmp_eq_u32_e64 s[8:9], 1, v19
	s_mul_i32 s33, s33, s33
	s_nop 0
	v_cndmask_b32_e64 v19, 1, v20, s[8:9]
	v_mul_lo_u16_e32 v16, v19, v16
	v_lshrrev_b16_sdwa v19, v12, v15 dst_sel:DWORD dst_unused:UNUSED_PAD src0_sel:DWORD src1_sel:BYTE_0
	v_cmp_lt_u16_sdwa s[8:9], v15, v13 src0_sel:BYTE_0 src1_sel:DWORD
	s_or_b64 s[28:29], s[8:9], s[28:29]
	v_mov_b32_e32 v15, v19
	s_andn2_b64 exec, exec, s[28:29]
	s_cbranch_execnz .LBB72_30
; %bb.31:                               ;   in Loop: Header=BB72_4 Depth=1
	s_or_b64 exec, exec, s[28:29]
	s_or_b64 exec, exec, s[26:27]
	s_and_saveexec_b64 s[8:9], vcc
	s_xor_b64 s[8:9], exec, s[8:9]
	s_cbranch_execz .LBB72_26
.LBB72_32:                              ;   in Loop: Header=BB72_4 Depth=1
	v_lshl_add_u64 v[4:5], s[12:13], 0, v[4:5]
	global_store_byte v[4:5], v14, off
	s_or_b64 exec, exec, s[8:9]
	s_and_saveexec_b64 s[8:9], s[2:3]
	s_cbranch_execz .LBB72_27
.LBB72_33:                              ;   in Loop: Header=BB72_4 Depth=1
	v_lshl_add_u64 v[4:5], s[12:13], 0, v[6:7]
	global_store_byte v[4:5], v17, off
	s_or_b64 exec, exec, s[8:9]
	s_and_saveexec_b64 s[2:3], s[4:5]
	s_cbranch_execz .LBB72_28
.LBB72_34:                              ;   in Loop: Header=BB72_4 Depth=1
	v_lshl_add_u64 v[4:5], s[12:13], 0, v[8:9]
	global_store_byte v[4:5], v18, off
	s_or_b64 exec, exec, s[2:3]
	s_and_saveexec_b64 s[2:3], s[6:7]
	s_cbranch_execz .LBB72_3
.LBB72_35:                              ;   in Loop: Header=BB72_4 Depth=1
	v_lshl_add_u64 v[4:5], s[12:13], 0, v[10:11]
	global_store_byte v[4:5], v16, off
	s_branch .LBB72_3
.LBB72_36:
	s_mov_b64 s[2:3], 0
.LBB72_37:
	s_andn2_b64 vcc, exec, s[2:3]
	s_cbranch_vccnz .LBB72_57
; %bb.38:
	v_mov_b64_e32 v[4:5], 0x10000
	v_cmp_lt_i64_e32 vcc, s[14:15], v[4:5]
	s_and_b64 s[4:5], vcc, exec
	v_mov_b32_e32 v3, 0
	s_cselect_b32 s5, s15, 0
	s_cselect_b32 s4, s14, 0x10000
	v_lshlrev_b32_e32 v2, 2, v0
	s_mov_b32 s3, 0
	v_cmp_gt_i64_e32 vcc, s[4:5], v[2:3]
	s_and_saveexec_b64 s[6:7], vcc
	s_cbranch_execz .LBB72_57
; %bb.39:
	s_load_dword s2, s[0:1], 0xc5c
	v_mov_b32_e32 v1, v3
	s_mov_b64 s[0:1], 0
	s_mov_b32 s14, 0xffffff
	s_mov_b32 s15, 0xc0c0004
	s_waitcnt lgkmcnt(0)
	s_and_b32 s2, s2, 0xffff
	v_mov_b32_e32 v2, 1
	v_mov_b32_e32 v4, 2
	s_branch .LBB72_41
.LBB72_40:                              ;   in Loop: Header=BB72_41 Depth=1
	s_or_b64 exec, exec, s[6:7]
	v_perm_b32 v5, v5, v7, s15
	v_perm_b32 v6, v8, v9, s15
	v_lshl_or_b32 v5, v6, 16, v5
	v_lshl_add_u64 v[6:7], v[0:1], 2, s[12:13]
	v_lshl_add_u64 v[0:1], v[0:1], 0, s[2:3]
	v_lshlrev_b64 v[8:9], 2, v[0:1]
	v_cmp_le_i64_e32 vcc, s[4:5], v[8:9]
	s_or_b64 s[0:1], vcc, s[0:1]
	global_store_dword v[6:7], v5, off
	s_andn2_b64 exec, exec, s[0:1]
	s_cbranch_execz .LBB72_57
.LBB72_41:                              ; =>This Loop Header: Depth=1
                                        ;     Child Loop BB72_43 Depth 2
                                        ;     Child Loop BB72_47 Depth 2
	;; [unrolled: 1-line block ×4, first 2 shown]
	v_lshl_add_u64 v[6:7], v[0:1], 2, s[10:11]
	global_load_dword v6, v[6:7], off
	v_mov_b32_e32 v5, 1
	s_waitcnt vmcnt(0)
	v_cmp_ne_u16_sdwa s[8:9], v6, v3 src0_sel:BYTE_0 src1_sel:DWORD
	s_and_saveexec_b64 s[6:7], s[8:9]
	s_cbranch_execz .LBB72_45
; %bb.42:                               ;   in Loop: Header=BB72_41 Depth=1
	v_mov_b32_e32 v5, 1
	s_mov_b64 s[8:9], 0
	v_mov_b32_e32 v7, v6
	s_mov_b32 s16, s30
.LBB72_43:                              ;   Parent Loop BB72_41 Depth=1
                                        ; =>  This Inner Loop Header: Depth=2
	v_and_b32_e32 v8, 1, v7
	v_mov_b32_e32 v9, s16
	v_cmp_eq_u32_e32 vcc, 1, v8
	v_cmp_lt_u16_sdwa s[18:19], v7, v4 src0_sel:BYTE_0 src1_sel:DWORD
	s_mul_i32 s16, s16, s16
	v_cndmask_b32_e32 v8, 1, v9, vcc
	v_mul_lo_u16_e32 v5, v8, v5
	v_lshrrev_b16_sdwa v8, v2, v7 dst_sel:DWORD dst_unused:UNUSED_PAD src0_sel:DWORD src1_sel:BYTE_0
	s_or_b64 s[8:9], s[18:19], s[8:9]
	v_mov_b32_e32 v7, v8
	s_andn2_b64 exec, exec, s[8:9]
	s_cbranch_execnz .LBB72_43
; %bb.44:                               ;   in Loop: Header=BB72_41 Depth=1
	s_or_b64 exec, exec, s[8:9]
.LBB72_45:                              ;   in Loop: Header=BB72_41 Depth=1
	s_or_b64 exec, exec, s[6:7]
	v_lshrrev_b32_e32 v8, 8, v6
	v_cmp_ne_u16_sdwa s[8:9], v8, v3 src0_sel:BYTE_0 src1_sel:DWORD
	v_mov_b32_e32 v7, 1
	s_and_saveexec_b64 s[6:7], s[8:9]
	s_cbranch_execz .LBB72_49
; %bb.46:                               ;   in Loop: Header=BB72_41 Depth=1
	v_mov_b32_e32 v7, 1
	s_mov_b64 s[8:9], 0
	s_mov_b32 s16, s30
.LBB72_47:                              ;   Parent Loop BB72_41 Depth=1
                                        ; =>  This Inner Loop Header: Depth=2
	v_and_b32_e32 v9, 1, v8
	v_mov_b32_e32 v10, s16
	v_cmp_eq_u32_e32 vcc, 1, v9
	v_cmp_lt_u16_sdwa s[18:19], v8, v4 src0_sel:BYTE_0 src1_sel:DWORD
	s_mul_i32 s16, s16, s16
	v_cndmask_b32_e32 v9, 1, v10, vcc
	v_mul_lo_u16_e32 v7, v9, v7
	v_lshrrev_b16_sdwa v9, v2, v8 dst_sel:DWORD dst_unused:UNUSED_PAD src0_sel:DWORD src1_sel:BYTE_0
	s_or_b64 s[8:9], s[18:19], s[8:9]
	v_mov_b32_e32 v8, v9
	s_andn2_b64 exec, exec, s[8:9]
	s_cbranch_execnz .LBB72_47
; %bb.48:                               ;   in Loop: Header=BB72_41 Depth=1
	s_or_b64 exec, exec, s[8:9]
.LBB72_49:                              ;   in Loop: Header=BB72_41 Depth=1
	s_or_b64 exec, exec, s[6:7]
	v_lshrrev_b32_e32 v9, 16, v6
	v_cmp_ne_u16_sdwa s[8:9], v9, v3 src0_sel:BYTE_0 src1_sel:DWORD
	v_mov_b32_e32 v8, 1
	s_and_saveexec_b64 s[6:7], s[8:9]
	s_cbranch_execz .LBB72_53
; %bb.50:                               ;   in Loop: Header=BB72_41 Depth=1
	v_mov_b32_e32 v8, 1
	s_mov_b64 s[8:9], 0
	s_mov_b32 s16, s30
.LBB72_51:                              ;   Parent Loop BB72_41 Depth=1
                                        ; =>  This Inner Loop Header: Depth=2
	v_and_b32_e32 v10, 1, v9
	v_mov_b32_e32 v11, s16
	v_cmp_eq_u32_e32 vcc, 1, v10
	v_cmp_lt_u16_sdwa s[18:19], v9, v4 src0_sel:BYTE_0 src1_sel:DWORD
	s_mul_i32 s16, s16, s16
	v_cndmask_b32_e32 v10, 1, v11, vcc
	v_mul_lo_u16_e32 v8, v10, v8
	v_lshrrev_b16_sdwa v10, v2, v9 dst_sel:DWORD dst_unused:UNUSED_PAD src0_sel:DWORD src1_sel:BYTE_0
	s_or_b64 s[8:9], s[18:19], s[8:9]
	v_mov_b32_e32 v9, v10
	s_andn2_b64 exec, exec, s[8:9]
	s_cbranch_execnz .LBB72_51
; %bb.52:                               ;   in Loop: Header=BB72_41 Depth=1
	s_or_b64 exec, exec, s[8:9]
.LBB72_53:                              ;   in Loop: Header=BB72_41 Depth=1
	s_or_b64 exec, exec, s[6:7]
	v_cmp_lt_u32_e32 vcc, s14, v6
	v_mov_b32_e32 v9, 1
	s_and_saveexec_b64 s[6:7], vcc
	s_cbranch_execz .LBB72_40
; %bb.54:                               ;   in Loop: Header=BB72_41 Depth=1
	v_lshrrev_b32_e32 v6, 24, v6
	v_mov_b32_e32 v9, 1
	s_mov_b64 s[8:9], 0
	s_mov_b32 s16, s30
.LBB72_55:                              ;   Parent Loop BB72_41 Depth=1
                                        ; =>  This Inner Loop Header: Depth=2
	v_and_b32_e32 v10, 1, v6
	v_mov_b32_e32 v11, s16
	v_cmp_eq_u32_e32 vcc, 1, v10
	v_cmp_lt_u16_sdwa s[18:19], v6, v4 src0_sel:BYTE_0 src1_sel:DWORD
	s_mul_i32 s16, s16, s16
	v_cndmask_b32_e32 v10, 1, v11, vcc
	v_mul_lo_u16_e32 v9, v10, v9
	v_lshrrev_b16_sdwa v10, v2, v6 dst_sel:DWORD dst_unused:UNUSED_PAD src0_sel:DWORD src1_sel:BYTE_0
	s_or_b64 s[8:9], s[18:19], s[8:9]
	v_mov_b32_e32 v6, v10
	s_andn2_b64 exec, exec, s[8:9]
	s_cbranch_execnz .LBB72_55
; %bb.56:                               ;   in Loop: Header=BB72_41 Depth=1
	s_or_b64 exec, exec, s[8:9]
	s_branch .LBB72_40
.LBB72_57:
	s_endpgm
	.section	.rodata,"a",@progbits
	.p2align	6, 0x0
	.amdhsa_kernel _ZN2at6native12_GLOBAL__N_125multi_tensor_apply_kernelINS1_18TensorListMetadataILi2EEENS1_21BinaryOpScalarFunctorIhLi2ELi1ELi1EEEJNS1_21reverse_power_functorIhEEhEEEvT_T0_DpT1_
		.amdhsa_group_segment_fixed_size 0
		.amdhsa_private_segment_fixed_size 0
		.amdhsa_kernarg_size 3408
		.amdhsa_user_sgpr_count 2
		.amdhsa_user_sgpr_dispatch_ptr 0
		.amdhsa_user_sgpr_queue_ptr 0
		.amdhsa_user_sgpr_kernarg_segment_ptr 1
		.amdhsa_user_sgpr_dispatch_id 0
		.amdhsa_user_sgpr_kernarg_preload_length 0
		.amdhsa_user_sgpr_kernarg_preload_offset 0
		.amdhsa_user_sgpr_private_segment_size 0
		.amdhsa_uses_dynamic_stack 0
		.amdhsa_enable_private_segment 0
		.amdhsa_system_sgpr_workgroup_id_x 1
		.amdhsa_system_sgpr_workgroup_id_y 0
		.amdhsa_system_sgpr_workgroup_id_z 0
		.amdhsa_system_sgpr_workgroup_info 0
		.amdhsa_system_vgpr_workitem_id 0
		.amdhsa_next_free_vgpr 21
		.amdhsa_next_free_sgpr 34
		.amdhsa_accum_offset 24
		.amdhsa_reserve_vcc 1
		.amdhsa_float_round_mode_32 0
		.amdhsa_float_round_mode_16_64 0
		.amdhsa_float_denorm_mode_32 3
		.amdhsa_float_denorm_mode_16_64 3
		.amdhsa_dx10_clamp 1
		.amdhsa_ieee_mode 1
		.amdhsa_fp16_overflow 0
		.amdhsa_tg_split 0
		.amdhsa_exception_fp_ieee_invalid_op 0
		.amdhsa_exception_fp_denorm_src 0
		.amdhsa_exception_fp_ieee_div_zero 0
		.amdhsa_exception_fp_ieee_overflow 0
		.amdhsa_exception_fp_ieee_underflow 0
		.amdhsa_exception_fp_ieee_inexact 0
		.amdhsa_exception_int_div_zero 0
	.end_amdhsa_kernel
	.section	.text._ZN2at6native12_GLOBAL__N_125multi_tensor_apply_kernelINS1_18TensorListMetadataILi2EEENS1_21BinaryOpScalarFunctorIhLi2ELi1ELi1EEEJNS1_21reverse_power_functorIhEEhEEEvT_T0_DpT1_,"axG",@progbits,_ZN2at6native12_GLOBAL__N_125multi_tensor_apply_kernelINS1_18TensorListMetadataILi2EEENS1_21BinaryOpScalarFunctorIhLi2ELi1ELi1EEEJNS1_21reverse_power_functorIhEEhEEEvT_T0_DpT1_,comdat
.Lfunc_end72:
	.size	_ZN2at6native12_GLOBAL__N_125multi_tensor_apply_kernelINS1_18TensorListMetadataILi2EEENS1_21BinaryOpScalarFunctorIhLi2ELi1ELi1EEEJNS1_21reverse_power_functorIhEEhEEEvT_T0_DpT1_, .Lfunc_end72-_ZN2at6native12_GLOBAL__N_125multi_tensor_apply_kernelINS1_18TensorListMetadataILi2EEENS1_21BinaryOpScalarFunctorIhLi2ELi1ELi1EEEJNS1_21reverse_power_functorIhEEhEEEvT_T0_DpT1_
                                        ; -- End function
	.set _ZN2at6native12_GLOBAL__N_125multi_tensor_apply_kernelINS1_18TensorListMetadataILi2EEENS1_21BinaryOpScalarFunctorIhLi2ELi1ELi1EEEJNS1_21reverse_power_functorIhEEhEEEvT_T0_DpT1_.num_vgpr, 21
	.set _ZN2at6native12_GLOBAL__N_125multi_tensor_apply_kernelINS1_18TensorListMetadataILi2EEENS1_21BinaryOpScalarFunctorIhLi2ELi1ELi1EEEJNS1_21reverse_power_functorIhEEhEEEvT_T0_DpT1_.num_agpr, 0
	.set _ZN2at6native12_GLOBAL__N_125multi_tensor_apply_kernelINS1_18TensorListMetadataILi2EEENS1_21BinaryOpScalarFunctorIhLi2ELi1ELi1EEEJNS1_21reverse_power_functorIhEEhEEEvT_T0_DpT1_.numbered_sgpr, 34
	.set _ZN2at6native12_GLOBAL__N_125multi_tensor_apply_kernelINS1_18TensorListMetadataILi2EEENS1_21BinaryOpScalarFunctorIhLi2ELi1ELi1EEEJNS1_21reverse_power_functorIhEEhEEEvT_T0_DpT1_.num_named_barrier, 0
	.set _ZN2at6native12_GLOBAL__N_125multi_tensor_apply_kernelINS1_18TensorListMetadataILi2EEENS1_21BinaryOpScalarFunctorIhLi2ELi1ELi1EEEJNS1_21reverse_power_functorIhEEhEEEvT_T0_DpT1_.private_seg_size, 0
	.set _ZN2at6native12_GLOBAL__N_125multi_tensor_apply_kernelINS1_18TensorListMetadataILi2EEENS1_21BinaryOpScalarFunctorIhLi2ELi1ELi1EEEJNS1_21reverse_power_functorIhEEhEEEvT_T0_DpT1_.uses_vcc, 1
	.set _ZN2at6native12_GLOBAL__N_125multi_tensor_apply_kernelINS1_18TensorListMetadataILi2EEENS1_21BinaryOpScalarFunctorIhLi2ELi1ELi1EEEJNS1_21reverse_power_functorIhEEhEEEvT_T0_DpT1_.uses_flat_scratch, 0
	.set _ZN2at6native12_GLOBAL__N_125multi_tensor_apply_kernelINS1_18TensorListMetadataILi2EEENS1_21BinaryOpScalarFunctorIhLi2ELi1ELi1EEEJNS1_21reverse_power_functorIhEEhEEEvT_T0_DpT1_.has_dyn_sized_stack, 0
	.set _ZN2at6native12_GLOBAL__N_125multi_tensor_apply_kernelINS1_18TensorListMetadataILi2EEENS1_21BinaryOpScalarFunctorIhLi2ELi1ELi1EEEJNS1_21reverse_power_functorIhEEhEEEvT_T0_DpT1_.has_recursion, 0
	.set _ZN2at6native12_GLOBAL__N_125multi_tensor_apply_kernelINS1_18TensorListMetadataILi2EEENS1_21BinaryOpScalarFunctorIhLi2ELi1ELi1EEEJNS1_21reverse_power_functorIhEEhEEEvT_T0_DpT1_.has_indirect_call, 0
	.section	.AMDGPU.csdata,"",@progbits
; Kernel info:
; codeLenInByte = 1720
; TotalNumSgprs: 40
; NumVgprs: 21
; NumAgprs: 0
; TotalNumVgprs: 21
; ScratchSize: 0
; MemoryBound: 0
; FloatMode: 240
; IeeeMode: 1
; LDSByteSize: 0 bytes/workgroup (compile time only)
; SGPRBlocks: 4
; VGPRBlocks: 2
; NumSGPRsForWavesPerEU: 40
; NumVGPRsForWavesPerEU: 21
; AccumOffset: 24
; Occupancy: 8
; WaveLimiterHint : 0
; COMPUTE_PGM_RSRC2:SCRATCH_EN: 0
; COMPUTE_PGM_RSRC2:USER_SGPR: 2
; COMPUTE_PGM_RSRC2:TRAP_HANDLER: 0
; COMPUTE_PGM_RSRC2:TGID_X_EN: 1
; COMPUTE_PGM_RSRC2:TGID_Y_EN: 0
; COMPUTE_PGM_RSRC2:TGID_Z_EN: 0
; COMPUTE_PGM_RSRC2:TIDIG_COMP_CNT: 0
; COMPUTE_PGM_RSRC3_GFX90A:ACCUM_OFFSET: 5
; COMPUTE_PGM_RSRC3_GFX90A:TG_SPLIT: 0
	.section	.text._ZN2at6native12_GLOBAL__N_125multi_tensor_apply_kernelINS1_18TensorListMetadataILi2EEENS1_21BinaryOpScalarFunctorIaLi2ELi1ELi1EEEJNS1_21reverse_power_functorIaEEaEEEvT_T0_DpT1_,"axG",@progbits,_ZN2at6native12_GLOBAL__N_125multi_tensor_apply_kernelINS1_18TensorListMetadataILi2EEENS1_21BinaryOpScalarFunctorIaLi2ELi1ELi1EEEJNS1_21reverse_power_functorIaEEaEEEvT_T0_DpT1_,comdat
	.globl	_ZN2at6native12_GLOBAL__N_125multi_tensor_apply_kernelINS1_18TensorListMetadataILi2EEENS1_21BinaryOpScalarFunctorIaLi2ELi1ELi1EEEJNS1_21reverse_power_functorIaEEaEEEvT_T0_DpT1_ ; -- Begin function _ZN2at6native12_GLOBAL__N_125multi_tensor_apply_kernelINS1_18TensorListMetadataILi2EEENS1_21BinaryOpScalarFunctorIaLi2ELi1ELi1EEEJNS1_21reverse_power_functorIaEEaEEEvT_T0_DpT1_
	.p2align	8
	.type	_ZN2at6native12_GLOBAL__N_125multi_tensor_apply_kernelINS1_18TensorListMetadataILi2EEENS1_21BinaryOpScalarFunctorIaLi2ELi1ELi1EEEJNS1_21reverse_power_functorIaEEaEEEvT_T0_DpT1_,@function
_ZN2at6native12_GLOBAL__N_125multi_tensor_apply_kernelINS1_18TensorListMetadataILi2EEENS1_21BinaryOpScalarFunctorIaLi2ELi1ELi1EEEJNS1_21reverse_power_functorIaEEaEEEvT_T0_DpT1_: ; @_ZN2at6native12_GLOBAL__N_125multi_tensor_apply_kernelINS1_18TensorListMetadataILi2EEENS1_21BinaryOpScalarFunctorIaLi2ELi1ELi1EEEJNS1_21reverse_power_functorIaEEaEEEvT_T0_DpT1_
; %bb.0:
	v_mov_b32_e32 v1, s2
	global_load_ubyte v1, v1, s[0:1] offset:1536
	s_load_dword s3, s[0:1], 0xc48
	s_mul_hi_u32 s4, s2, 3
	s_mul_i32 s5, s2, 3
	s_waitcnt lgkmcnt(0)
	s_lshr_b32 s33, s3, 16
	s_add_u32 s2, s0, s2
	s_addc_u32 s3, s1, 0
	s_add_u32 s2, s2, s5
	s_addc_u32 s3, s3, s4
	s_load_dword s2, s[2:3], 0x740
	s_waitcnt vmcnt(0)
	v_readfirstlane_b32 s3, v1
	s_lshl_b32 s3, s3, 3
	s_load_dwordx2 s[4:5], s[0:1], s3 offset:0x0
	s_load_dwordx2 s[6:7], s[0:1], s3 offset:0x400
	;; [unrolled: 1-line block ×3, first 2 shown]
	s_waitcnt lgkmcnt(0)
	s_ashr_i32 s3, s2, 31
	s_lshl_b64 s[2:3], s[2:3], 16
	s_add_u32 s10, s4, s2
	s_addc_u32 s11, s5, s3
	s_add_u32 s12, s8, s2
	s_addc_u32 s13, s9, s3
	s_sub_u32 s14, s6, s2
	s_subb_u32 s15, s7, s3
	s_or_b32 s2, s6, s12
	s_or_b32 s2, s2, s10
	s_and_b32 s2, s2, 3
	s_cmp_eq_u32 s2, 0
	s_mov_b64 s[2:3], -1
	s_cbranch_scc1 .LBB73_73
; %bb.1:
	v_cmp_lt_i64_e64 s[2:3], s[14:15], 1
	s_and_b64 vcc, exec, s[2:3]
	s_cbranch_vccnz .LBB73_72
; %bb.2:
	s_load_dword s4, s[0:1], 0xc5c
	v_mov_b64_e32 v[2:3], 0x10000
	v_cmp_lt_i64_e32 vcc, s[14:15], v[2:3]
	s_and_b64 s[2:3], vcc, exec
	s_cselect_b32 s19, s15, 0
	s_cselect_b32 s18, s14, 0x10000
	s_waitcnt lgkmcnt(0)
	s_and_b32 s16, s4, 0xffff
	v_cmp_lt_u64_e32 vcc, s[14:15], v[2:3]
	s_and_b64 s[2:3], vcc, exec
	s_mov_b32 s17, 0
	s_cselect_b32 s21, s15, 0
	s_cselect_b32 s20, s14, 0x10000
	s_and_b32 s37, s33, 0xff
	v_mov_b32_e32 v1, 0
	s_lshl_b32 s22, s16, 1
	s_mov_b32 s23, s17
	s_mul_i32 s24, s16, 3
	s_mov_b32 s25, s17
	s_lshl_b32 s36, s16, 2
	s_mov_b64 s[26:27], 0
	v_mov_b32_e32 v10, -1
	v_mov_b32_e32 v11, 2
	s_and_b32 s38, 0xffff, s37
	s_branch .LBB73_4
.LBB73_3:                               ;   in Loop: Header=BB73_4 Depth=1
	s_or_b64 exec, exec, s[2:3]
	s_add_u32 s26, s26, s36
	s_addc_u32 s27, s27, 0
	v_mov_b64_e32 v[2:3], s[18:19]
	v_cmp_ge_i64_e32 vcc, s[26:27], v[2:3]
	s_cbranch_vccnz .LBB73_72
.LBB73_4:                               ; =>This Loop Header: Depth=1
                                        ;     Child Loop BB73_15 Depth 2
                                        ;     Child Loop BB73_28 Depth 2
	;; [unrolled: 1-line block ×4, first 2 shown]
	v_lshl_add_u64 v[2:3], s[26:27], 0, v[0:1]
	v_cmp_gt_u64_e64 s[2:3], s[20:21], v[2:3]
	v_mov_b32_e32 v14, 0
	s_and_saveexec_b64 s[4:5], s[2:3]
	s_cbranch_execz .LBB73_6
; %bb.5:                                ;   in Loop: Header=BB73_4 Depth=1
	v_lshl_add_u64 v[4:5], s[10:11], 0, v[2:3]
	global_load_ubyte v14, v[4:5], off
.LBB73_6:                               ;   in Loop: Header=BB73_4 Depth=1
	s_or_b64 exec, exec, s[4:5]
	v_lshl_add_u64 v[4:5], v[2:3], 0, s[16:17]
	v_cmp_gt_u64_e64 s[4:5], s[20:21], v[4:5]
	v_mov_b32_e32 v15, 0
	v_mov_b32_e32 v16, 0
	s_and_saveexec_b64 s[6:7], s[4:5]
	s_cbranch_execz .LBB73_8
; %bb.7:                                ;   in Loop: Header=BB73_4 Depth=1
	v_lshl_add_u64 v[6:7], s[10:11], 0, v[4:5]
	global_load_ubyte v16, v[6:7], off
.LBB73_8:                               ;   in Loop: Header=BB73_4 Depth=1
	s_or_b64 exec, exec, s[6:7]
	v_lshl_add_u64 v[6:7], v[2:3], 0, s[22:23]
	v_cmp_gt_u64_e64 s[6:7], s[20:21], v[6:7]
	s_and_saveexec_b64 s[8:9], s[6:7]
	s_cbranch_execz .LBB73_10
; %bb.9:                                ;   in Loop: Header=BB73_4 Depth=1
	v_lshl_add_u64 v[8:9], s[10:11], 0, v[6:7]
	global_load_ubyte v15, v[8:9], off
.LBB73_10:                              ;   in Loop: Header=BB73_4 Depth=1
	s_or_b64 exec, exec, s[8:9]
	v_lshl_add_u64 v[8:9], v[2:3], 0, s[24:25]
	v_cmp_gt_u64_e64 s[8:9], s[20:21], v[8:9]
	v_mov_b32_e32 v13, 0
	s_and_saveexec_b64 s[28:29], s[8:9]
	s_cbranch_execz .LBB73_12
; %bb.11:                               ;   in Loop: Header=BB73_4 Depth=1
	v_lshl_add_u64 v[12:13], s[10:11], 0, v[8:9]
	global_load_ubyte v13, v[12:13], off
.LBB73_12:                              ;   in Loop: Header=BB73_4 Depth=1
	s_or_b64 exec, exec, s[28:29]
	s_waitcnt vmcnt(0)
	v_cmp_gt_i16_sdwa s[28:29], sext(v14), v10 src0_sel:BYTE_0 src1_sel:DWORD
                                        ; implicit-def: $vgpr12
	s_and_saveexec_b64 s[30:31], s[28:29]
	s_xor_b64 s[28:29], exec, s[30:31]
	s_cbranch_execz .LBB73_18
; %bb.13:                               ;   in Loop: Header=BB73_4 Depth=1
	v_cmp_ne_u16_sdwa s[34:35], v14, v1 src0_sel:BYTE_0 src1_sel:DWORD
	v_mov_b32_e32 v12, 1
	s_and_saveexec_b64 s[30:31], s[34:35]
	s_cbranch_execz .LBB73_17
; %bb.14:                               ;   in Loop: Header=BB73_4 Depth=1
	v_mov_b32_e32 v12, 1
	s_mov_b64 s[34:35], 0
	s_mov_b32 s39, s33
.LBB73_15:                              ;   Parent Loop BB73_4 Depth=1
                                        ; =>  This Inner Loop Header: Depth=2
	v_and_b32_e32 v17, 1, v14
	v_mov_b32_e32 v18, s39
	v_cmp_eq_u32_e32 vcc, 1, v17
	v_cmp_lt_i16_sdwa s[40:41], sext(v14), v11 src0_sel:BYTE_0 src1_sel:DWORD
	s_mul_i32 s39, s39, s39
	v_cndmask_b32_e32 v17, 1, v18, vcc
	v_mul_lo_u16_e32 v12, v17, v12
	v_lshrrev_b16_e32 v17, 1, v14
	v_and_b32_e32 v17, 0x7f, v17
	s_or_b64 s[34:35], s[40:41], s[34:35]
	v_mov_b32_e32 v14, v17
	s_andn2_b64 exec, exec, s[34:35]
	s_cbranch_execnz .LBB73_15
; %bb.16:                               ;   in Loop: Header=BB73_4 Depth=1
	s_or_b64 exec, exec, s[34:35]
.LBB73_17:                              ;   in Loop: Header=BB73_4 Depth=1
	s_or_b64 exec, exec, s[30:31]
                                        ; implicit-def: $vgpr14
.LBB73_18:                              ;   in Loop: Header=BB73_4 Depth=1
	s_andn2_saveexec_b64 s[28:29], s[28:29]
	s_cbranch_execz .LBB73_25
; %bb.19:                               ;   in Loop: Header=BB73_4 Depth=1
	s_cmpk_gt_i32 s37, 0xfe
	s_mov_b64 s[30:31], -1
                                        ; implicit-def: $vgpr12
	s_cbranch_scc0 .LBB73_21
; %bb.20:                               ;   in Loop: Header=BB73_4 Depth=1
	v_and_b32_e32 v12, 1, v14
	v_cmp_eq_u16_e32 vcc, 0, v12
	s_mov_b64 s[30:31], 0
	s_nop 0
	v_cndmask_b32_e64 v12, -1, 1, vcc
.LBB73_21:                              ;   in Loop: Header=BB73_4 Depth=1
	s_andn2_b64 vcc, exec, s[30:31]
	s_cbranch_vccnz .LBB73_25
; %bb.22:                               ;   in Loop: Header=BB73_4 Depth=1
	s_cmp_lg_u32 s38, 1
	s_mov_b32 s30, 1
	s_cbranch_scc0 .LBB73_24
; %bb.23:                               ;   in Loop: Header=BB73_4 Depth=1
	s_mov_b32 s30, 0
.LBB73_24:                              ;   in Loop: Header=BB73_4 Depth=1
	v_mov_b32_e32 v12, s30
.LBB73_25:                              ;   in Loop: Header=BB73_4 Depth=1
	s_or_b64 exec, exec, s[28:29]
	v_cmp_gt_i16_sdwa s[28:29], sext(v16), v10 src0_sel:BYTE_0 src1_sel:DWORD
                                        ; implicit-def: $vgpr14
	s_and_saveexec_b64 s[30:31], s[28:29]
	s_xor_b64 s[28:29], exec, s[30:31]
	s_cbranch_execz .LBB73_31
; %bb.26:                               ;   in Loop: Header=BB73_4 Depth=1
	v_cmp_ne_u16_sdwa s[34:35], v16, v1 src0_sel:BYTE_0 src1_sel:DWORD
	v_mov_b32_e32 v14, 1
	s_and_saveexec_b64 s[30:31], s[34:35]
	s_cbranch_execz .LBB73_30
; %bb.27:                               ;   in Loop: Header=BB73_4 Depth=1
	v_mov_b32_e32 v14, 1
	s_mov_b64 s[34:35], 0
	s_mov_b32 s39, s33
.LBB73_28:                              ;   Parent Loop BB73_4 Depth=1
                                        ; =>  This Inner Loop Header: Depth=2
	v_and_b32_e32 v17, 1, v16
	v_mov_b32_e32 v18, s39
	v_cmp_eq_u32_e32 vcc, 1, v17
	v_cmp_lt_i16_sdwa s[40:41], sext(v16), v11 src0_sel:BYTE_0 src1_sel:DWORD
	s_mul_i32 s39, s39, s39
	v_cndmask_b32_e32 v17, 1, v18, vcc
	v_mul_lo_u16_e32 v14, v17, v14
	v_lshrrev_b16_e32 v17, 1, v16
	v_and_b32_e32 v17, 0x7f, v17
	s_or_b64 s[34:35], s[40:41], s[34:35]
	v_mov_b32_e32 v16, v17
	s_andn2_b64 exec, exec, s[34:35]
	s_cbranch_execnz .LBB73_28
; %bb.29:                               ;   in Loop: Header=BB73_4 Depth=1
	s_or_b64 exec, exec, s[34:35]
.LBB73_30:                              ;   in Loop: Header=BB73_4 Depth=1
	s_or_b64 exec, exec, s[30:31]
                                        ; implicit-def: $vgpr16
.LBB73_31:                              ;   in Loop: Header=BB73_4 Depth=1
	s_andn2_saveexec_b64 s[28:29], s[28:29]
	s_cbranch_execz .LBB73_38
; %bb.32:                               ;   in Loop: Header=BB73_4 Depth=1
	s_cmpk_gt_i32 s37, 0xfe
	s_mov_b64 s[30:31], -1
                                        ; implicit-def: $vgpr14
	s_cbranch_scc0 .LBB73_34
; %bb.33:                               ;   in Loop: Header=BB73_4 Depth=1
	v_and_b32_e32 v14, 1, v16
	v_cmp_eq_u16_e32 vcc, 0, v14
	s_mov_b64 s[30:31], 0
	s_nop 0
	v_cndmask_b32_e64 v14, -1, 1, vcc
.LBB73_34:                              ;   in Loop: Header=BB73_4 Depth=1
	s_andn2_b64 vcc, exec, s[30:31]
	s_cbranch_vccnz .LBB73_38
; %bb.35:                               ;   in Loop: Header=BB73_4 Depth=1
	s_cmp_lg_u32 s38, 1
	s_mov_b32 s30, 1
	s_cbranch_scc0 .LBB73_37
; %bb.36:                               ;   in Loop: Header=BB73_4 Depth=1
	s_mov_b32 s30, 0
.LBB73_37:                              ;   in Loop: Header=BB73_4 Depth=1
	v_mov_b32_e32 v14, s30
.LBB73_38:                              ;   in Loop: Header=BB73_4 Depth=1
	s_or_b64 exec, exec, s[28:29]
	v_cmp_gt_i16_sdwa s[28:29], sext(v15), v10 src0_sel:BYTE_0 src1_sel:DWORD
                                        ; implicit-def: $vgpr16
	s_and_saveexec_b64 s[30:31], s[28:29]
	s_xor_b64 s[28:29], exec, s[30:31]
	s_cbranch_execz .LBB73_44
; %bb.39:                               ;   in Loop: Header=BB73_4 Depth=1
	v_cmp_ne_u16_sdwa s[34:35], v15, v1 src0_sel:BYTE_0 src1_sel:DWORD
	v_mov_b32_e32 v16, 1
	s_and_saveexec_b64 s[30:31], s[34:35]
	s_cbranch_execz .LBB73_43
; %bb.40:                               ;   in Loop: Header=BB73_4 Depth=1
	v_mov_b32_e32 v16, 1
	s_mov_b64 s[34:35], 0
	s_mov_b32 s39, s33
.LBB73_41:                              ;   Parent Loop BB73_4 Depth=1
                                        ; =>  This Inner Loop Header: Depth=2
	v_and_b32_e32 v17, 1, v15
	v_mov_b32_e32 v18, s39
	v_cmp_eq_u32_e32 vcc, 1, v17
	v_cmp_lt_i16_sdwa s[40:41], sext(v15), v11 src0_sel:BYTE_0 src1_sel:DWORD
	s_mul_i32 s39, s39, s39
	v_cndmask_b32_e32 v17, 1, v18, vcc
	v_mul_lo_u16_e32 v16, v17, v16
	v_lshrrev_b16_e32 v17, 1, v15
	v_and_b32_e32 v17, 0x7f, v17
	s_or_b64 s[34:35], s[40:41], s[34:35]
	v_mov_b32_e32 v15, v17
	s_andn2_b64 exec, exec, s[34:35]
	s_cbranch_execnz .LBB73_41
; %bb.42:                               ;   in Loop: Header=BB73_4 Depth=1
	s_or_b64 exec, exec, s[34:35]
.LBB73_43:                              ;   in Loop: Header=BB73_4 Depth=1
	s_or_b64 exec, exec, s[30:31]
                                        ; implicit-def: $vgpr15
.LBB73_44:                              ;   in Loop: Header=BB73_4 Depth=1
	s_andn2_saveexec_b64 s[28:29], s[28:29]
	s_cbranch_execz .LBB73_51
; %bb.45:                               ;   in Loop: Header=BB73_4 Depth=1
	s_cmpk_gt_i32 s37, 0xfe
	s_mov_b64 s[30:31], -1
                                        ; implicit-def: $vgpr16
	s_cbranch_scc0 .LBB73_47
; %bb.46:                               ;   in Loop: Header=BB73_4 Depth=1
	v_and_b32_e32 v15, 1, v15
	v_cmp_eq_u16_e32 vcc, 0, v15
	s_mov_b64 s[30:31], 0
	s_nop 0
	v_cndmask_b32_e64 v16, -1, 1, vcc
.LBB73_47:                              ;   in Loop: Header=BB73_4 Depth=1
	s_andn2_b64 vcc, exec, s[30:31]
	s_cbranch_vccnz .LBB73_51
; %bb.48:                               ;   in Loop: Header=BB73_4 Depth=1
	s_cmp_lg_u32 s38, 1
	s_mov_b32 s30, 1
	s_cbranch_scc0 .LBB73_50
; %bb.49:                               ;   in Loop: Header=BB73_4 Depth=1
	s_mov_b32 s30, 0
.LBB73_50:                              ;   in Loop: Header=BB73_4 Depth=1
	v_mov_b32_e32 v16, s30
.LBB73_51:                              ;   in Loop: Header=BB73_4 Depth=1
	s_or_b64 exec, exec, s[28:29]
	v_cmp_gt_i16_sdwa s[28:29], sext(v13), v10 src0_sel:BYTE_0 src1_sel:DWORD
                                        ; implicit-def: $vgpr15
	s_and_saveexec_b64 s[30:31], s[28:29]
	s_xor_b64 s[28:29], exec, s[30:31]
	s_cbranch_execz .LBB73_57
; %bb.52:                               ;   in Loop: Header=BB73_4 Depth=1
	v_cmp_ne_u16_sdwa s[34:35], v13, v1 src0_sel:BYTE_0 src1_sel:DWORD
	v_mov_b32_e32 v15, 1
	s_and_saveexec_b64 s[30:31], s[34:35]
	s_cbranch_execz .LBB73_56
; %bb.53:                               ;   in Loop: Header=BB73_4 Depth=1
	v_mov_b32_e32 v15, 1
	s_mov_b64 s[34:35], 0
	s_mov_b32 s39, s33
.LBB73_54:                              ;   Parent Loop BB73_4 Depth=1
                                        ; =>  This Inner Loop Header: Depth=2
	v_and_b32_e32 v17, 1, v13
	v_mov_b32_e32 v18, s39
	v_cmp_eq_u32_e32 vcc, 1, v17
	v_cmp_lt_i16_sdwa s[40:41], sext(v13), v11 src0_sel:BYTE_0 src1_sel:DWORD
	s_mul_i32 s39, s39, s39
	v_cndmask_b32_e32 v17, 1, v18, vcc
	v_mul_lo_u16_e32 v15, v17, v15
	v_lshrrev_b16_e32 v17, 1, v13
	v_and_b32_e32 v17, 0x7f, v17
	s_or_b64 s[34:35], s[40:41], s[34:35]
	v_mov_b32_e32 v13, v17
	s_andn2_b64 exec, exec, s[34:35]
	s_cbranch_execnz .LBB73_54
; %bb.55:                               ;   in Loop: Header=BB73_4 Depth=1
	s_or_b64 exec, exec, s[34:35]
.LBB73_56:                              ;   in Loop: Header=BB73_4 Depth=1
	s_or_b64 exec, exec, s[30:31]
                                        ; implicit-def: $vgpr13
.LBB73_57:                              ;   in Loop: Header=BB73_4 Depth=1
	s_andn2_saveexec_b64 s[28:29], s[28:29]
	s_cbranch_execz .LBB73_64
; %bb.58:                               ;   in Loop: Header=BB73_4 Depth=1
	s_cmpk_gt_i32 s37, 0xfe
	s_mov_b64 s[30:31], -1
                                        ; implicit-def: $vgpr15
	s_cbranch_scc0 .LBB73_60
; %bb.59:                               ;   in Loop: Header=BB73_4 Depth=1
	v_and_b32_e32 v13, 1, v13
	v_cmp_eq_u16_e32 vcc, 0, v13
	s_mov_b64 s[30:31], 0
	s_nop 0
	v_cndmask_b32_e64 v15, -1, 1, vcc
.LBB73_60:                              ;   in Loop: Header=BB73_4 Depth=1
	s_andn2_b64 vcc, exec, s[30:31]
	s_cbranch_vccnz .LBB73_64
; %bb.61:                               ;   in Loop: Header=BB73_4 Depth=1
	s_cmp_lg_u32 s38, 1
	s_mov_b32 s30, 1
	s_cbranch_scc0 .LBB73_63
; %bb.62:                               ;   in Loop: Header=BB73_4 Depth=1
	s_mov_b32 s30, 0
.LBB73_63:                              ;   in Loop: Header=BB73_4 Depth=1
	v_mov_b32_e32 v15, s30
.LBB73_64:                              ;   in Loop: Header=BB73_4 Depth=1
	s_or_b64 exec, exec, s[28:29]
	s_and_saveexec_b64 s[28:29], s[2:3]
	s_xor_b64 s[2:3], exec, s[28:29]
	s_cbranch_execnz .LBB73_68
; %bb.65:                               ;   in Loop: Header=BB73_4 Depth=1
	s_or_b64 exec, exec, s[2:3]
	s_and_saveexec_b64 s[2:3], s[4:5]
	s_cbranch_execnz .LBB73_69
.LBB73_66:                              ;   in Loop: Header=BB73_4 Depth=1
	s_or_b64 exec, exec, s[2:3]
	s_and_saveexec_b64 s[2:3], s[6:7]
	s_cbranch_execnz .LBB73_70
.LBB73_67:                              ;   in Loop: Header=BB73_4 Depth=1
	s_or_b64 exec, exec, s[2:3]
	s_and_saveexec_b64 s[2:3], s[8:9]
	s_cbranch_execz .LBB73_3
	s_branch .LBB73_71
.LBB73_68:                              ;   in Loop: Header=BB73_4 Depth=1
	v_lshl_add_u64 v[2:3], s[12:13], 0, v[2:3]
	global_store_byte v[2:3], v12, off
	s_or_b64 exec, exec, s[2:3]
	s_and_saveexec_b64 s[2:3], s[4:5]
	s_cbranch_execz .LBB73_66
.LBB73_69:                              ;   in Loop: Header=BB73_4 Depth=1
	v_lshl_add_u64 v[2:3], s[12:13], 0, v[4:5]
	global_store_byte v[2:3], v14, off
	s_or_b64 exec, exec, s[2:3]
	s_and_saveexec_b64 s[2:3], s[6:7]
	s_cbranch_execz .LBB73_67
.LBB73_70:                              ;   in Loop: Header=BB73_4 Depth=1
	v_lshl_add_u64 v[2:3], s[12:13], 0, v[6:7]
	global_store_byte v[2:3], v16, off
	s_or_b64 exec, exec, s[2:3]
	s_and_saveexec_b64 s[2:3], s[8:9]
	s_cbranch_execz .LBB73_3
.LBB73_71:                              ;   in Loop: Header=BB73_4 Depth=1
	v_lshl_add_u64 v[2:3], s[12:13], 0, v[8:9]
	global_store_byte v[2:3], v15, off
	s_branch .LBB73_3
.LBB73_72:
	s_mov_b64 s[2:3], 0
.LBB73_73:
	s_andn2_b64 vcc, exec, s[2:3]
	s_cbranch_vccnz .LBB73_129
; %bb.74:
	v_mov_b64_e32 v[4:5], 0x10000
	v_cmp_lt_i64_e32 vcc, s[14:15], v[4:5]
	s_and_b64 s[4:5], vcc, exec
	v_mov_b32_e32 v3, 0
	s_cselect_b32 s5, s15, 0
	s_cselect_b32 s4, s14, 0x10000
	v_lshlrev_b32_e32 v2, 2, v0
	s_mov_b32 s3, 0
	v_cmp_gt_i64_e32 vcc, s[4:5], v[2:3]
	s_and_saveexec_b64 s[6:7], vcc
	s_cbranch_execz .LBB73_129
; %bb.75:
	s_load_dword s2, s[0:1], 0xc5c
	s_and_b32 s18, s33, 0xff
	v_mov_b32_e32 v1, v3
	s_mov_b64 s[0:1], 0
	s_mov_b32 s16, 0xffffff
	s_mov_b32 s17, 0xc0c0004
	s_waitcnt lgkmcnt(0)
	s_and_b32 s2, s2, 0xffff
	v_mov_b32_e32 v2, 2
	s_and_b32 s19, 0xffff, s18
	v_mov_b32_e32 v4, -1
	v_mov_b32_e32 v5, 1
	s_branch .LBB73_78
.LBB73_76:                              ;   in Loop: Header=BB73_78 Depth=1
	v_mov_b32_e32 v10, s8
.LBB73_77:                              ;   in Loop: Header=BB73_78 Depth=1
	s_or_b64 exec, exec, s[6:7]
	v_perm_b32 v6, v6, v8, s17
	v_perm_b32 v7, v9, v10, s17
	v_lshl_or_b32 v10, v7, 16, v6
	v_lshl_add_u64 v[6:7], v[0:1], 2, s[12:13]
	v_lshl_add_u64 v[0:1], v[0:1], 0, s[2:3]
	v_lshlrev_b64 v[8:9], 2, v[0:1]
	v_cmp_le_i64_e32 vcc, s[4:5], v[8:9]
	s_or_b64 s[0:1], vcc, s[0:1]
	global_store_dword v[6:7], v10, off
	s_andn2_b64 exec, exec, s[0:1]
	s_cbranch_execz .LBB73_129
.LBB73_78:                              ; =>This Loop Header: Depth=1
                                        ;     Child Loop BB73_81 Depth 2
                                        ;     Child Loop BB73_94 Depth 2
	;; [unrolled: 1-line block ×4, first 2 shown]
	v_lshl_add_u64 v[6:7], v[0:1], 2, s[10:11]
	global_load_dword v7, v[6:7], off
                                        ; implicit-def: $vgpr6
	s_waitcnt vmcnt(0)
	v_bfe_i32 v8, v7, 0, 8
	v_cmp_lt_i16_e32 vcc, -1, v8
	s_and_saveexec_b64 s[6:7], vcc
	s_xor_b64 s[6:7], exec, s[6:7]
	s_cbranch_execz .LBB73_84
; %bb.79:                               ;   in Loop: Header=BB73_78 Depth=1
	v_cmp_ne_u16_e32 vcc, 0, v8
	v_mov_b32_e32 v6, 1
	s_and_saveexec_b64 s[8:9], vcc
	s_cbranch_execz .LBB73_83
; %bb.80:                               ;   in Loop: Header=BB73_78 Depth=1
	v_mov_b32_e32 v6, 1
	s_mov_b64 s[14:15], 0
	s_mov_b32 s20, s33
.LBB73_81:                              ;   Parent Loop BB73_78 Depth=1
                                        ; =>  This Inner Loop Header: Depth=2
	v_and_b32_e32 v9, 1, v8
	v_mov_b32_e32 v10, s20
	v_cmp_eq_u32_e32 vcc, 1, v9
	v_cmp_lt_i16_sdwa s[22:23], sext(v8), v2 src0_sel:BYTE_0 src1_sel:DWORD
	s_mul_i32 s20, s20, s20
	v_cndmask_b32_e32 v9, 1, v10, vcc
	v_mul_lo_u16_e32 v6, v9, v6
	v_lshrrev_b16_e32 v9, 1, v8
	v_and_b32_e32 v9, 0x7f, v9
	s_or_b64 s[14:15], s[22:23], s[14:15]
	v_mov_b32_e32 v8, v9
	s_andn2_b64 exec, exec, s[14:15]
	s_cbranch_execnz .LBB73_81
; %bb.82:                               ;   in Loop: Header=BB73_78 Depth=1
	s_or_b64 exec, exec, s[14:15]
.LBB73_83:                              ;   in Loop: Header=BB73_78 Depth=1
	s_or_b64 exec, exec, s[8:9]
                                        ; implicit-def: $vgpr8
.LBB73_84:                              ;   in Loop: Header=BB73_78 Depth=1
	s_andn2_saveexec_b64 s[6:7], s[6:7]
	s_cbranch_execz .LBB73_91
; %bb.85:                               ;   in Loop: Header=BB73_78 Depth=1
	s_cmpk_gt_i32 s18, 0xfe
	s_mov_b64 s[8:9], -1
                                        ; implicit-def: $vgpr6
	s_cbranch_scc0 .LBB73_87
; %bb.86:                               ;   in Loop: Header=BB73_78 Depth=1
	v_and_b32_e32 v6, 1, v8
	v_cmp_eq_u16_e32 vcc, 0, v6
	s_mov_b64 s[8:9], 0
	s_nop 0
	v_cndmask_b32_e64 v6, -1, 1, vcc
.LBB73_87:                              ;   in Loop: Header=BB73_78 Depth=1
	s_andn2_b64 vcc, exec, s[8:9]
	s_cbranch_vccnz .LBB73_91
; %bb.88:                               ;   in Loop: Header=BB73_78 Depth=1
	s_cmp_lg_u32 s19, 1
	s_mov_b32 s8, 1
	s_cbranch_scc0 .LBB73_90
; %bb.89:                               ;   in Loop: Header=BB73_78 Depth=1
	s_mov_b32 s8, 0
.LBB73_90:                              ;   in Loop: Header=BB73_78 Depth=1
	v_mov_b32_e32 v6, s8
.LBB73_91:                              ;   in Loop: Header=BB73_78 Depth=1
	s_or_b64 exec, exec, s[6:7]
	v_lshrrev_b32_e32 v9, 8, v7
	v_cmp_gt_i16_sdwa s[6:7], sext(v9), v4 src0_sel:BYTE_0 src1_sel:DWORD
                                        ; implicit-def: $vgpr8
	s_and_saveexec_b64 s[8:9], s[6:7]
	s_xor_b64 s[6:7], exec, s[8:9]
	s_cbranch_execz .LBB73_97
; %bb.92:                               ;   in Loop: Header=BB73_78 Depth=1
	v_cmp_ne_u16_sdwa s[14:15], v9, v3 src0_sel:BYTE_0 src1_sel:DWORD
	v_mov_b32_e32 v8, 1
	s_and_saveexec_b64 s[8:9], s[14:15]
	s_cbranch_execz .LBB73_96
; %bb.93:                               ;   in Loop: Header=BB73_78 Depth=1
	v_mov_b32_e32 v8, 1
	s_mov_b64 s[14:15], 0
	s_mov_b32 s20, s33
.LBB73_94:                              ;   Parent Loop BB73_78 Depth=1
                                        ; =>  This Inner Loop Header: Depth=2
	v_and_b32_e32 v10, 1, v9
	v_mov_b32_e32 v11, s20
	v_cmp_eq_u32_e32 vcc, 1, v10
	v_cmp_lt_i16_sdwa s[22:23], sext(v9), v2 src0_sel:BYTE_0 src1_sel:DWORD
	s_mul_i32 s20, s20, s20
	v_cndmask_b32_e32 v10, 1, v11, vcc
	v_mul_lo_u16_e32 v8, v10, v8
	v_lshrrev_b16_e32 v10, 1, v9
	v_and_b32_e32 v10, 0x7f, v10
	s_or_b64 s[14:15], s[22:23], s[14:15]
	v_mov_b32_e32 v9, v10
	s_andn2_b64 exec, exec, s[14:15]
	s_cbranch_execnz .LBB73_94
; %bb.95:                               ;   in Loop: Header=BB73_78 Depth=1
	s_or_b64 exec, exec, s[14:15]
.LBB73_96:                              ;   in Loop: Header=BB73_78 Depth=1
	s_or_b64 exec, exec, s[8:9]
                                        ; implicit-def: $vgpr9
.LBB73_97:                              ;   in Loop: Header=BB73_78 Depth=1
	s_andn2_saveexec_b64 s[6:7], s[6:7]
	s_cbranch_execz .LBB73_104
; %bb.98:                               ;   in Loop: Header=BB73_78 Depth=1
	s_cmpk_gt_i32 s18, 0xfe
	s_mov_b64 s[8:9], -1
                                        ; implicit-def: $vgpr8
	s_cbranch_scc0 .LBB73_100
; %bb.99:                               ;   in Loop: Header=BB73_78 Depth=1
	v_and_b32_e32 v8, 1, v9
	v_cmp_eq_u16_e32 vcc, 0, v8
	s_mov_b64 s[8:9], 0
	s_nop 0
	v_cndmask_b32_e64 v8, -1, 1, vcc
.LBB73_100:                             ;   in Loop: Header=BB73_78 Depth=1
	s_andn2_b64 vcc, exec, s[8:9]
	s_cbranch_vccnz .LBB73_104
; %bb.101:                              ;   in Loop: Header=BB73_78 Depth=1
	s_cmp_lg_u32 s19, 1
	s_mov_b32 s8, 1
	s_cbranch_scc0 .LBB73_103
; %bb.102:                              ;   in Loop: Header=BB73_78 Depth=1
	s_mov_b32 s8, 0
.LBB73_103:                             ;   in Loop: Header=BB73_78 Depth=1
	v_mov_b32_e32 v8, s8
.LBB73_104:                             ;   in Loop: Header=BB73_78 Depth=1
	s_or_b64 exec, exec, s[6:7]
	v_lshrrev_b32_e32 v10, 16, v7
	v_cmp_gt_i16_sdwa s[6:7], sext(v10), v4 src0_sel:BYTE_0 src1_sel:DWORD
                                        ; implicit-def: $vgpr9
	s_and_saveexec_b64 s[8:9], s[6:7]
	s_xor_b64 s[6:7], exec, s[8:9]
	s_cbranch_execz .LBB73_110
; %bb.105:                              ;   in Loop: Header=BB73_78 Depth=1
	v_cmp_ne_u16_sdwa s[14:15], v10, v3 src0_sel:BYTE_0 src1_sel:DWORD
	v_mov_b32_e32 v9, 1
	s_and_saveexec_b64 s[8:9], s[14:15]
	s_cbranch_execz .LBB73_109
; %bb.106:                              ;   in Loop: Header=BB73_78 Depth=1
	v_mov_b32_e32 v9, 1
	s_mov_b64 s[14:15], 0
	s_mov_b32 s20, s33
.LBB73_107:                             ;   Parent Loop BB73_78 Depth=1
                                        ; =>  This Inner Loop Header: Depth=2
	v_and_b32_e32 v11, 1, v10
	v_mov_b32_e32 v12, s20
	v_cmp_eq_u32_e32 vcc, 1, v11
	v_cmp_lt_i16_sdwa s[22:23], sext(v10), v2 src0_sel:BYTE_0 src1_sel:DWORD
	s_mul_i32 s20, s20, s20
	v_cndmask_b32_e32 v11, 1, v12, vcc
	v_mul_lo_u16_e32 v9, v11, v9
	v_lshrrev_b16_e32 v11, 1, v10
	v_and_b32_e32 v11, 0x7f, v11
	s_or_b64 s[14:15], s[22:23], s[14:15]
	v_mov_b32_e32 v10, v11
	s_andn2_b64 exec, exec, s[14:15]
	s_cbranch_execnz .LBB73_107
; %bb.108:                              ;   in Loop: Header=BB73_78 Depth=1
	s_or_b64 exec, exec, s[14:15]
.LBB73_109:                             ;   in Loop: Header=BB73_78 Depth=1
	s_or_b64 exec, exec, s[8:9]
                                        ; implicit-def: $vgpr10
.LBB73_110:                             ;   in Loop: Header=BB73_78 Depth=1
	s_andn2_saveexec_b64 s[6:7], s[6:7]
	s_cbranch_execz .LBB73_117
; %bb.111:                              ;   in Loop: Header=BB73_78 Depth=1
	s_cmpk_gt_i32 s18, 0xfe
	s_mov_b64 s[8:9], -1
                                        ; implicit-def: $vgpr9
	s_cbranch_scc0 .LBB73_113
; %bb.112:                              ;   in Loop: Header=BB73_78 Depth=1
	v_and_b32_e32 v9, 1, v10
	v_cmp_eq_u16_e32 vcc, 0, v9
	s_mov_b64 s[8:9], 0
	s_nop 0
	v_cndmask_b32_e64 v9, -1, 1, vcc
.LBB73_113:                             ;   in Loop: Header=BB73_78 Depth=1
	s_andn2_b64 vcc, exec, s[8:9]
	s_cbranch_vccnz .LBB73_117
; %bb.114:                              ;   in Loop: Header=BB73_78 Depth=1
	s_cmp_lg_u32 s19, 1
	s_mov_b32 s8, 1
	s_cbranch_scc0 .LBB73_116
; %bb.115:                              ;   in Loop: Header=BB73_78 Depth=1
	s_mov_b32 s8, 0
.LBB73_116:                             ;   in Loop: Header=BB73_78 Depth=1
	v_mov_b32_e32 v9, s8
.LBB73_117:                             ;   in Loop: Header=BB73_78 Depth=1
	s_or_b64 exec, exec, s[6:7]
	v_cmp_lt_i32_e32 vcc, -1, v7
                                        ; implicit-def: $vgpr10
	s_and_saveexec_b64 s[6:7], vcc
	s_xor_b64 s[6:7], exec, s[6:7]
	s_cbranch_execz .LBB73_123
; %bb.118:                              ;   in Loop: Header=BB73_78 Depth=1
	v_cmp_lt_u32_e32 vcc, s16, v7
	v_mov_b32_e32 v10, 1
	s_and_saveexec_b64 s[8:9], vcc
	s_cbranch_execz .LBB73_122
; %bb.119:                              ;   in Loop: Header=BB73_78 Depth=1
	v_lshrrev_b32_e32 v7, 24, v7
	v_mov_b32_e32 v10, 1
	s_mov_b64 s[14:15], 0
	s_mov_b32 s20, s33
.LBB73_120:                             ;   Parent Loop BB73_78 Depth=1
                                        ; =>  This Inner Loop Header: Depth=2
	v_and_b32_e32 v11, 1, v7
	v_mov_b32_e32 v12, s20
	v_cmp_eq_u32_e32 vcc, 1, v11
	v_cmp_lt_i16_sdwa s[22:23], sext(v7), v2 src0_sel:BYTE_0 src1_sel:DWORD
	s_mul_i32 s20, s20, s20
	v_cndmask_b32_e32 v11, 1, v12, vcc
	v_mul_lo_u16_e32 v10, v11, v10
	v_lshrrev_b16_e32 v11, 1, v7
	v_and_b32_e32 v11, 0x7f, v11
	s_or_b64 s[14:15], s[22:23], s[14:15]
	v_mov_b32_e32 v7, v11
	s_andn2_b64 exec, exec, s[14:15]
	s_cbranch_execnz .LBB73_120
; %bb.121:                              ;   in Loop: Header=BB73_78 Depth=1
	s_or_b64 exec, exec, s[14:15]
.LBB73_122:                             ;   in Loop: Header=BB73_78 Depth=1
	s_or_b64 exec, exec, s[8:9]
                                        ; implicit-def: $vgpr7
.LBB73_123:                             ;   in Loop: Header=BB73_78 Depth=1
	s_andn2_saveexec_b64 s[6:7], s[6:7]
	s_cbranch_execz .LBB73_77
; %bb.124:                              ;   in Loop: Header=BB73_78 Depth=1
	s_cmpk_gt_i32 s18, 0xfe
	s_mov_b64 s[8:9], -1
                                        ; implicit-def: $vgpr10
	s_cbranch_scc0 .LBB73_126
; %bb.125:                              ;   in Loop: Header=BB73_78 Depth=1
	v_and_b32_sdwa v7, v7, v5 dst_sel:DWORD dst_unused:UNUSED_PAD src0_sel:BYTE_3 src1_sel:DWORD
	v_cmp_eq_u16_e32 vcc, 0, v7
	s_mov_b64 s[8:9], 0
	s_nop 0
	v_cndmask_b32_e64 v10, -1, 1, vcc
.LBB73_126:                             ;   in Loop: Header=BB73_78 Depth=1
	s_andn2_b64 vcc, exec, s[8:9]
	s_cbranch_vccnz .LBB73_77
; %bb.127:                              ;   in Loop: Header=BB73_78 Depth=1
	s_cmp_lg_u32 s19, 1
	s_mov_b32 s8, 1
	s_cbranch_scc0 .LBB73_76
; %bb.128:                              ;   in Loop: Header=BB73_78 Depth=1
	s_mov_b32 s8, 0
	s_branch .LBB73_76
.LBB73_129:
	s_endpgm
	.section	.rodata,"a",@progbits
	.p2align	6, 0x0
	.amdhsa_kernel _ZN2at6native12_GLOBAL__N_125multi_tensor_apply_kernelINS1_18TensorListMetadataILi2EEENS1_21BinaryOpScalarFunctorIaLi2ELi1ELi1EEEJNS1_21reverse_power_functorIaEEaEEEvT_T0_DpT1_
		.amdhsa_group_segment_fixed_size 0
		.amdhsa_private_segment_fixed_size 0
		.amdhsa_kernarg_size 3408
		.amdhsa_user_sgpr_count 2
		.amdhsa_user_sgpr_dispatch_ptr 0
		.amdhsa_user_sgpr_queue_ptr 0
		.amdhsa_user_sgpr_kernarg_segment_ptr 1
		.amdhsa_user_sgpr_dispatch_id 0
		.amdhsa_user_sgpr_kernarg_preload_length 0
		.amdhsa_user_sgpr_kernarg_preload_offset 0
		.amdhsa_user_sgpr_private_segment_size 0
		.amdhsa_uses_dynamic_stack 0
		.amdhsa_enable_private_segment 0
		.amdhsa_system_sgpr_workgroup_id_x 1
		.amdhsa_system_sgpr_workgroup_id_y 0
		.amdhsa_system_sgpr_workgroup_id_z 0
		.amdhsa_system_sgpr_workgroup_info 0
		.amdhsa_system_vgpr_workitem_id 0
		.amdhsa_next_free_vgpr 19
		.amdhsa_next_free_sgpr 42
		.amdhsa_accum_offset 20
		.amdhsa_reserve_vcc 1
		.amdhsa_float_round_mode_32 0
		.amdhsa_float_round_mode_16_64 0
		.amdhsa_float_denorm_mode_32 3
		.amdhsa_float_denorm_mode_16_64 3
		.amdhsa_dx10_clamp 1
		.amdhsa_ieee_mode 1
		.amdhsa_fp16_overflow 0
		.amdhsa_tg_split 0
		.amdhsa_exception_fp_ieee_invalid_op 0
		.amdhsa_exception_fp_denorm_src 0
		.amdhsa_exception_fp_ieee_div_zero 0
		.amdhsa_exception_fp_ieee_overflow 0
		.amdhsa_exception_fp_ieee_underflow 0
		.amdhsa_exception_fp_ieee_inexact 0
		.amdhsa_exception_int_div_zero 0
	.end_amdhsa_kernel
	.section	.text._ZN2at6native12_GLOBAL__N_125multi_tensor_apply_kernelINS1_18TensorListMetadataILi2EEENS1_21BinaryOpScalarFunctorIaLi2ELi1ELi1EEEJNS1_21reverse_power_functorIaEEaEEEvT_T0_DpT1_,"axG",@progbits,_ZN2at6native12_GLOBAL__N_125multi_tensor_apply_kernelINS1_18TensorListMetadataILi2EEENS1_21BinaryOpScalarFunctorIaLi2ELi1ELi1EEEJNS1_21reverse_power_functorIaEEaEEEvT_T0_DpT1_,comdat
.Lfunc_end73:
	.size	_ZN2at6native12_GLOBAL__N_125multi_tensor_apply_kernelINS1_18TensorListMetadataILi2EEENS1_21BinaryOpScalarFunctorIaLi2ELi1ELi1EEEJNS1_21reverse_power_functorIaEEaEEEvT_T0_DpT1_, .Lfunc_end73-_ZN2at6native12_GLOBAL__N_125multi_tensor_apply_kernelINS1_18TensorListMetadataILi2EEENS1_21BinaryOpScalarFunctorIaLi2ELi1ELi1EEEJNS1_21reverse_power_functorIaEEaEEEvT_T0_DpT1_
                                        ; -- End function
	.set _ZN2at6native12_GLOBAL__N_125multi_tensor_apply_kernelINS1_18TensorListMetadataILi2EEENS1_21BinaryOpScalarFunctorIaLi2ELi1ELi1EEEJNS1_21reverse_power_functorIaEEaEEEvT_T0_DpT1_.num_vgpr, 19
	.set _ZN2at6native12_GLOBAL__N_125multi_tensor_apply_kernelINS1_18TensorListMetadataILi2EEENS1_21BinaryOpScalarFunctorIaLi2ELi1ELi1EEEJNS1_21reverse_power_functorIaEEaEEEvT_T0_DpT1_.num_agpr, 0
	.set _ZN2at6native12_GLOBAL__N_125multi_tensor_apply_kernelINS1_18TensorListMetadataILi2EEENS1_21BinaryOpScalarFunctorIaLi2ELi1ELi1EEEJNS1_21reverse_power_functorIaEEaEEEvT_T0_DpT1_.numbered_sgpr, 42
	.set _ZN2at6native12_GLOBAL__N_125multi_tensor_apply_kernelINS1_18TensorListMetadataILi2EEENS1_21BinaryOpScalarFunctorIaLi2ELi1ELi1EEEJNS1_21reverse_power_functorIaEEaEEEvT_T0_DpT1_.num_named_barrier, 0
	.set _ZN2at6native12_GLOBAL__N_125multi_tensor_apply_kernelINS1_18TensorListMetadataILi2EEENS1_21BinaryOpScalarFunctorIaLi2ELi1ELi1EEEJNS1_21reverse_power_functorIaEEaEEEvT_T0_DpT1_.private_seg_size, 0
	.set _ZN2at6native12_GLOBAL__N_125multi_tensor_apply_kernelINS1_18TensorListMetadataILi2EEENS1_21BinaryOpScalarFunctorIaLi2ELi1ELi1EEEJNS1_21reverse_power_functorIaEEaEEEvT_T0_DpT1_.uses_vcc, 1
	.set _ZN2at6native12_GLOBAL__N_125multi_tensor_apply_kernelINS1_18TensorListMetadataILi2EEENS1_21BinaryOpScalarFunctorIaLi2ELi1ELi1EEEJNS1_21reverse_power_functorIaEEaEEEvT_T0_DpT1_.uses_flat_scratch, 0
	.set _ZN2at6native12_GLOBAL__N_125multi_tensor_apply_kernelINS1_18TensorListMetadataILi2EEENS1_21BinaryOpScalarFunctorIaLi2ELi1ELi1EEEJNS1_21reverse_power_functorIaEEaEEEvT_T0_DpT1_.has_dyn_sized_stack, 0
	.set _ZN2at6native12_GLOBAL__N_125multi_tensor_apply_kernelINS1_18TensorListMetadataILi2EEENS1_21BinaryOpScalarFunctorIaLi2ELi1ELi1EEEJNS1_21reverse_power_functorIaEEaEEEvT_T0_DpT1_.has_recursion, 0
	.set _ZN2at6native12_GLOBAL__N_125multi_tensor_apply_kernelINS1_18TensorListMetadataILi2EEENS1_21BinaryOpScalarFunctorIaLi2ELi1ELi1EEEJNS1_21reverse_power_functorIaEEaEEEvT_T0_DpT1_.has_indirect_call, 0
	.section	.AMDGPU.csdata,"",@progbits
; Kernel info:
; codeLenInByte = 2492
; TotalNumSgprs: 48
; NumVgprs: 19
; NumAgprs: 0
; TotalNumVgprs: 19
; ScratchSize: 0
; MemoryBound: 0
; FloatMode: 240
; IeeeMode: 1
; LDSByteSize: 0 bytes/workgroup (compile time only)
; SGPRBlocks: 5
; VGPRBlocks: 2
; NumSGPRsForWavesPerEU: 48
; NumVGPRsForWavesPerEU: 19
; AccumOffset: 20
; Occupancy: 8
; WaveLimiterHint : 0
; COMPUTE_PGM_RSRC2:SCRATCH_EN: 0
; COMPUTE_PGM_RSRC2:USER_SGPR: 2
; COMPUTE_PGM_RSRC2:TRAP_HANDLER: 0
; COMPUTE_PGM_RSRC2:TGID_X_EN: 1
; COMPUTE_PGM_RSRC2:TGID_Y_EN: 0
; COMPUTE_PGM_RSRC2:TGID_Z_EN: 0
; COMPUTE_PGM_RSRC2:TIDIG_COMP_CNT: 0
; COMPUTE_PGM_RSRC3_GFX90A:ACCUM_OFFSET: 4
; COMPUTE_PGM_RSRC3_GFX90A:TG_SPLIT: 0
	.section	.text._ZN2at6native12_GLOBAL__N_125multi_tensor_apply_kernelINS1_18TensorListMetadataILi2EEENS1_21BinaryOpScalarFunctorIiLi2ELi1ELi1EEEJNS1_21reverse_power_functorIiEEiEEEvT_T0_DpT1_,"axG",@progbits,_ZN2at6native12_GLOBAL__N_125multi_tensor_apply_kernelINS1_18TensorListMetadataILi2EEENS1_21BinaryOpScalarFunctorIiLi2ELi1ELi1EEEJNS1_21reverse_power_functorIiEEiEEEvT_T0_DpT1_,comdat
	.globl	_ZN2at6native12_GLOBAL__N_125multi_tensor_apply_kernelINS1_18TensorListMetadataILi2EEENS1_21BinaryOpScalarFunctorIiLi2ELi1ELi1EEEJNS1_21reverse_power_functorIiEEiEEEvT_T0_DpT1_ ; -- Begin function _ZN2at6native12_GLOBAL__N_125multi_tensor_apply_kernelINS1_18TensorListMetadataILi2EEENS1_21BinaryOpScalarFunctorIiLi2ELi1ELi1EEEJNS1_21reverse_power_functorIiEEiEEEvT_T0_DpT1_
	.p2align	8
	.type	_ZN2at6native12_GLOBAL__N_125multi_tensor_apply_kernelINS1_18TensorListMetadataILi2EEENS1_21BinaryOpScalarFunctorIiLi2ELi1ELi1EEEJNS1_21reverse_power_functorIiEEiEEEvT_T0_DpT1_,@function
_ZN2at6native12_GLOBAL__N_125multi_tensor_apply_kernelINS1_18TensorListMetadataILi2EEENS1_21BinaryOpScalarFunctorIiLi2ELi1ELi1EEEJNS1_21reverse_power_functorIiEEiEEEvT_T0_DpT1_: ; @_ZN2at6native12_GLOBAL__N_125multi_tensor_apply_kernelINS1_18TensorListMetadataILi2EEENS1_21BinaryOpScalarFunctorIiLi2ELi1ELi1EEEJNS1_21reverse_power_functorIiEEiEEEvT_T0_DpT1_
; %bb.0:
	v_mov_b32_e32 v1, s2
	global_load_ubyte v1, v1, s[0:1] offset:1536
	s_add_u32 s3, s0, s2
	s_mul_hi_u32 s4, s2, 3
	s_mul_i32 s2, s2, 3
	s_addc_u32 s5, s1, 0
	s_add_u32 s2, s3, s2
	s_addc_u32 s3, s5, s4
	s_load_dword s2, s[2:3], 0x740
	s_mov_b32 s5, 0
	s_mov_b32 s7, s5
	s_waitcnt lgkmcnt(0)
	s_ashr_i32 s3, s2, 31
	s_lshl_b64 s[14:15], s[2:3], 18
	s_waitcnt vmcnt(0)
	v_readfirstlane_b32 s4, v1
	s_lshl_b32 s4, s4, 3
	s_load_dwordx2 s[8:9], s[0:1], s4 offset:0x0
	s_load_dword s33, s[0:1], 0xc4c
	s_load_dwordx2 s[16:17], s[0:1], s4 offset:0x400
	s_load_dwordx2 s[12:13], s[0:1], s4 offset:0x200
	s_waitcnt lgkmcnt(0)
	s_add_u32 s10, s8, s14
	s_addc_u32 s11, s9, s15
	s_and_b32 s4, s10, 15
	s_add_u32 s12, s12, s14
	s_addc_u32 s13, s13, s15
	s_and_b32 s6, s12, 15
	s_lshl_b64 s[2:3], s[2:3], 16
	s_sub_u32 s14, s16, s2
	s_subb_u32 s15, s17, s3
	s_and_b32 s2, s16, 3
	s_mov_b32 s3, s5
	s_or_b64 s[2:3], s[6:7], s[2:3]
	s_or_b64 s[2:3], s[2:3], s[4:5]
	s_cmp_eq_u64 s[2:3], 0
	s_mov_b64 s[2:3], -1
	s_cbranch_scc1 .LBB74_81
; %bb.1:
	v_cmp_lt_i64_e64 s[2:3], s[14:15], 1
	s_and_b64 vcc, exec, s[2:3]
	s_cbranch_vccnz .LBB74_80
; %bb.2:
	s_load_dword s4, s[0:1], 0xc5c
	v_mov_b64_e32 v[2:3], 0x10000
	v_cmp_lt_i64_e32 vcc, s[14:15], v[2:3]
	s_and_b64 s[2:3], vcc, exec
	s_cselect_b32 s19, s15, 0
	s_cselect_b32 s18, s14, 0x10000
	s_waitcnt lgkmcnt(0)
	s_and_b32 s16, s4, 0xffff
	v_cmp_lt_u64_e32 vcc, s[14:15], v[2:3]
	s_mov_b32 s17, 0
	s_and_b64 s[2:3], vcc, exec
	v_mov_b32_e32 v1, 0
	s_cselect_b32 s21, s15, 0
	s_cselect_b32 s20, s14, 0x10000
	s_lshl_b32 s22, s16, 1
	s_mov_b32 s23, s17
	s_mul_i32 s24, s16, 3
	s_mov_b32 s25, s17
	s_lshl_b32 s38, s16, 2
	s_mov_b64 s[26:27], 0
	s_branch .LBB74_4
.LBB74_3:                               ;   in Loop: Header=BB74_4 Depth=1
	s_or_b64 exec, exec, s[2:3]
	s_add_u32 s26, s26, s38
	s_addc_u32 s27, s27, 0
	v_mov_b64_e32 v[2:3], s[18:19]
	v_cmp_ge_i64_e32 vcc, s[26:27], v[2:3]
	s_cbranch_vccnz .LBB74_80
.LBB74_4:                               ; =>This Loop Header: Depth=1
                                        ;     Child Loop BB74_15 Depth 2
                                        ;     Child Loop BB74_27 Depth 2
	;; [unrolled: 1-line block ×4, first 2 shown]
	v_lshl_add_u64 v[2:3], s[26:27], 0, v[0:1]
	v_cmp_gt_u64_e64 s[2:3], s[20:21], v[2:3]
	v_mov_b32_e32 v13, 0
	s_and_saveexec_b64 s[4:5], s[2:3]
	s_cbranch_execz .LBB74_6
; %bb.5:                                ;   in Loop: Header=BB74_4 Depth=1
	v_lshl_add_u64 v[4:5], v[2:3], 2, s[10:11]
	global_load_dword v13, v[4:5], off
.LBB74_6:                               ;   in Loop: Header=BB74_4 Depth=1
	s_or_b64 exec, exec, s[4:5]
	v_lshl_add_u64 v[4:5], v[2:3], 0, s[16:17]
	v_cmp_gt_u64_e64 s[4:5], s[20:21], v[4:5]
	v_mov_b32_e32 v12, 0
	v_mov_b32_e32 v14, 0
	s_and_saveexec_b64 s[6:7], s[4:5]
	s_cbranch_execz .LBB74_8
; %bb.7:                                ;   in Loop: Header=BB74_4 Depth=1
	v_lshl_add_u64 v[6:7], v[4:5], 2, s[10:11]
	global_load_dword v14, v[6:7], off
.LBB74_8:                               ;   in Loop: Header=BB74_4 Depth=1
	s_or_b64 exec, exec, s[6:7]
	v_lshl_add_u64 v[6:7], v[2:3], 0, s[22:23]
	v_cmp_gt_u64_e64 s[6:7], s[20:21], v[6:7]
	s_and_saveexec_b64 s[8:9], s[6:7]
	s_cbranch_execz .LBB74_10
; %bb.9:                                ;   in Loop: Header=BB74_4 Depth=1
	v_lshl_add_u64 v[8:9], v[6:7], 2, s[10:11]
	global_load_dword v12, v[8:9], off
.LBB74_10:                              ;   in Loop: Header=BB74_4 Depth=1
	s_or_b64 exec, exec, s[8:9]
	v_lshl_add_u64 v[8:9], v[2:3], 0, s[24:25]
	v_cmp_gt_u64_e64 s[8:9], s[20:21], v[8:9]
	v_mov_b32_e32 v10, 0
	s_and_saveexec_b64 s[28:29], s[8:9]
	s_cbranch_execz .LBB74_12
; %bb.11:                               ;   in Loop: Header=BB74_4 Depth=1
	v_lshl_add_u64 v[10:11], v[8:9], 2, s[10:11]
	global_load_dword v10, v[10:11], off
.LBB74_12:                              ;   in Loop: Header=BB74_4 Depth=1
	s_or_b64 exec, exec, s[28:29]
	s_waitcnt vmcnt(0)
	v_cmp_lt_i32_e32 vcc, -1, v13
                                        ; implicit-def: $vgpr11
	s_and_saveexec_b64 s[28:29], vcc
	s_xor_b64 s[28:29], exec, s[28:29]
	s_cbranch_execz .LBB74_18
; %bb.13:                               ;   in Loop: Header=BB74_4 Depth=1
	v_cmp_ne_u32_e32 vcc, 0, v13
	v_mov_b32_e32 v11, 1
	s_and_saveexec_b64 s[30:31], vcc
	s_cbranch_execz .LBB74_17
; %bb.14:                               ;   in Loop: Header=BB74_4 Depth=1
	v_mov_b32_e32 v11, 1
	s_mov_b64 s[34:35], 0
	s_mov_b32 s36, s33
.LBB74_15:                              ;   Parent Loop BB74_4 Depth=1
                                        ; =>  This Inner Loop Header: Depth=2
	v_and_b32_e32 v15, 1, v13
	v_mov_b32_e32 v16, s36
	v_cmp_eq_u32_e32 vcc, 1, v15
	s_mul_i32 s36, s36, s36
	s_nop 0
	v_cndmask_b32_e32 v15, 1, v16, vcc
	v_mul_lo_u32 v11, v15, v11
	v_lshrrev_b32_e32 v15, 1, v13
	v_cmp_gt_u32_e32 vcc, 2, v13
	s_or_b64 s[34:35], vcc, s[34:35]
	v_mov_b32_e32 v13, v15
	s_andn2_b64 exec, exec, s[34:35]
	s_cbranch_execnz .LBB74_15
; %bb.16:                               ;   in Loop: Header=BB74_4 Depth=1
	s_or_b64 exec, exec, s[34:35]
.LBB74_17:                              ;   in Loop: Header=BB74_4 Depth=1
	s_or_b64 exec, exec, s[30:31]
                                        ; implicit-def: $vgpr13
.LBB74_18:                              ;   in Loop: Header=BB74_4 Depth=1
	s_andn2_saveexec_b64 s[28:29], s[28:29]
	s_cbranch_execz .LBB74_24
; %bb.19:                               ;   in Loop: Header=BB74_4 Depth=1
	s_mov_b64 s[36:37], -1
	s_mov_b64 s[30:31], 0
	s_cmp_lt_i32 s33, 1
	s_mov_b64 s[34:35], 0
	s_cbranch_scc0 .LBB74_68
; %bb.20:                               ;   in Loop: Header=BB74_4 Depth=1
	s_andn2_b64 vcc, exec, s[36:37]
	s_cbranch_vccz .LBB74_69
.LBB74_21:                              ;   in Loop: Header=BB74_4 Depth=1
	s_andn2_b64 vcc, exec, s[34:35]
	s_mov_b32 s34, s33
	s_cbranch_vccz .LBB74_70
.LBB74_22:                              ;   in Loop: Header=BB74_4 Depth=1
	s_andn2_b64 vcc, exec, s[30:31]
	v_mov_b32_e32 v11, s34
	s_cbranch_vccnz .LBB74_24
.LBB74_23:                              ;   in Loop: Header=BB74_4 Depth=1
	v_and_b32_e32 v11, 1, v13
	v_cmp_eq_u32_e32 vcc, 0, v11
	s_nop 1
	v_cndmask_b32_e64 v11, -1, 1, vcc
.LBB74_24:                              ;   in Loop: Header=BB74_4 Depth=1
	s_or_b64 exec, exec, s[28:29]
	v_cmp_lt_i32_e32 vcc, -1, v14
                                        ; implicit-def: $vgpr13
	s_and_saveexec_b64 s[28:29], vcc
	s_xor_b64 s[28:29], exec, s[28:29]
	s_cbranch_execz .LBB74_30
; %bb.25:                               ;   in Loop: Header=BB74_4 Depth=1
	v_cmp_ne_u32_e32 vcc, 0, v14
	v_mov_b32_e32 v13, 1
	s_and_saveexec_b64 s[30:31], vcc
	s_cbranch_execz .LBB74_29
; %bb.26:                               ;   in Loop: Header=BB74_4 Depth=1
	v_mov_b32_e32 v13, 1
	s_mov_b64 s[34:35], 0
	s_mov_b32 s36, s33
.LBB74_27:                              ;   Parent Loop BB74_4 Depth=1
                                        ; =>  This Inner Loop Header: Depth=2
	v_and_b32_e32 v15, 1, v14
	v_mov_b32_e32 v16, s36
	v_cmp_eq_u32_e32 vcc, 1, v15
	s_mul_i32 s36, s36, s36
	s_nop 0
	v_cndmask_b32_e32 v15, 1, v16, vcc
	v_mul_lo_u32 v13, v15, v13
	v_lshrrev_b32_e32 v15, 1, v14
	v_cmp_gt_u32_e32 vcc, 2, v14
	s_or_b64 s[34:35], vcc, s[34:35]
	v_mov_b32_e32 v14, v15
	s_andn2_b64 exec, exec, s[34:35]
	s_cbranch_execnz .LBB74_27
; %bb.28:                               ;   in Loop: Header=BB74_4 Depth=1
	s_or_b64 exec, exec, s[34:35]
.LBB74_29:                              ;   in Loop: Header=BB74_4 Depth=1
	s_or_b64 exec, exec, s[30:31]
                                        ; implicit-def: $vgpr14
.LBB74_30:                              ;   in Loop: Header=BB74_4 Depth=1
	s_andn2_saveexec_b64 s[28:29], s[28:29]
	s_cbranch_execz .LBB74_36
; %bb.31:                               ;   in Loop: Header=BB74_4 Depth=1
	s_mov_b64 s[36:37], -1
	s_mov_b64 s[30:31], 0
	s_cmp_lt_i32 s33, 1
	s_mov_b64 s[34:35], 0
	s_cbranch_scc0 .LBB74_71
; %bb.32:                               ;   in Loop: Header=BB74_4 Depth=1
	s_andn2_b64 vcc, exec, s[36:37]
	s_cbranch_vccz .LBB74_72
.LBB74_33:                              ;   in Loop: Header=BB74_4 Depth=1
	s_andn2_b64 vcc, exec, s[34:35]
	s_mov_b32 s34, s33
	s_cbranch_vccz .LBB74_73
.LBB74_34:                              ;   in Loop: Header=BB74_4 Depth=1
	s_andn2_b64 vcc, exec, s[30:31]
	v_mov_b32_e32 v13, s34
	s_cbranch_vccnz .LBB74_36
.LBB74_35:                              ;   in Loop: Header=BB74_4 Depth=1
	v_and_b32_e32 v13, 1, v14
	v_cmp_eq_u32_e32 vcc, 0, v13
	s_nop 1
	v_cndmask_b32_e64 v13, -1, 1, vcc
.LBB74_36:                              ;   in Loop: Header=BB74_4 Depth=1
	s_or_b64 exec, exec, s[28:29]
	v_cmp_lt_i32_e32 vcc, -1, v12
                                        ; implicit-def: $vgpr14
	s_and_saveexec_b64 s[28:29], vcc
	s_xor_b64 s[28:29], exec, s[28:29]
	s_cbranch_execz .LBB74_42
; %bb.37:                               ;   in Loop: Header=BB74_4 Depth=1
	v_cmp_ne_u32_e32 vcc, 0, v12
	v_mov_b32_e32 v14, 1
	s_and_saveexec_b64 s[30:31], vcc
	s_cbranch_execz .LBB74_41
; %bb.38:                               ;   in Loop: Header=BB74_4 Depth=1
	v_mov_b32_e32 v14, 1
	s_mov_b64 s[34:35], 0
	s_mov_b32 s36, s33
.LBB74_39:                              ;   Parent Loop BB74_4 Depth=1
                                        ; =>  This Inner Loop Header: Depth=2
	v_and_b32_e32 v15, 1, v12
	v_mov_b32_e32 v16, s36
	v_cmp_eq_u32_e32 vcc, 1, v15
	s_mul_i32 s36, s36, s36
	s_nop 0
	v_cndmask_b32_e32 v15, 1, v16, vcc
	v_mul_lo_u32 v14, v15, v14
	v_lshrrev_b32_e32 v15, 1, v12
	v_cmp_gt_u32_e32 vcc, 2, v12
	s_or_b64 s[34:35], vcc, s[34:35]
	v_mov_b32_e32 v12, v15
	s_andn2_b64 exec, exec, s[34:35]
	s_cbranch_execnz .LBB74_39
; %bb.40:                               ;   in Loop: Header=BB74_4 Depth=1
	s_or_b64 exec, exec, s[34:35]
.LBB74_41:                              ;   in Loop: Header=BB74_4 Depth=1
	s_or_b64 exec, exec, s[30:31]
                                        ; implicit-def: $vgpr12
.LBB74_42:                              ;   in Loop: Header=BB74_4 Depth=1
	s_andn2_saveexec_b64 s[28:29], s[28:29]
	s_cbranch_execz .LBB74_48
; %bb.43:                               ;   in Loop: Header=BB74_4 Depth=1
	s_mov_b64 s[36:37], -1
	s_mov_b64 s[30:31], 0
	s_cmp_lt_i32 s33, 1
	s_mov_b64 s[34:35], 0
	s_cbranch_scc0 .LBB74_74
; %bb.44:                               ;   in Loop: Header=BB74_4 Depth=1
	s_andn2_b64 vcc, exec, s[36:37]
	s_cbranch_vccz .LBB74_75
.LBB74_45:                              ;   in Loop: Header=BB74_4 Depth=1
	s_andn2_b64 vcc, exec, s[34:35]
	s_mov_b32 s34, s33
	s_cbranch_vccz .LBB74_76
.LBB74_46:                              ;   in Loop: Header=BB74_4 Depth=1
	s_andn2_b64 vcc, exec, s[30:31]
	v_mov_b32_e32 v14, s34
	s_cbranch_vccnz .LBB74_48
.LBB74_47:                              ;   in Loop: Header=BB74_4 Depth=1
	v_and_b32_e32 v12, 1, v12
	v_cmp_eq_u32_e32 vcc, 0, v12
	s_nop 1
	v_cndmask_b32_e64 v14, -1, 1, vcc
.LBB74_48:                              ;   in Loop: Header=BB74_4 Depth=1
	s_or_b64 exec, exec, s[28:29]
	v_cmp_lt_i32_e32 vcc, -1, v10
                                        ; implicit-def: $vgpr12
	s_and_saveexec_b64 s[28:29], vcc
	s_xor_b64 s[28:29], exec, s[28:29]
	s_cbranch_execz .LBB74_54
; %bb.49:                               ;   in Loop: Header=BB74_4 Depth=1
	v_cmp_ne_u32_e32 vcc, 0, v10
	v_mov_b32_e32 v12, 1
	s_and_saveexec_b64 s[30:31], vcc
	s_cbranch_execz .LBB74_53
; %bb.50:                               ;   in Loop: Header=BB74_4 Depth=1
	v_mov_b32_e32 v12, 1
	s_mov_b64 s[34:35], 0
	s_mov_b32 s36, s33
.LBB74_51:                              ;   Parent Loop BB74_4 Depth=1
                                        ; =>  This Inner Loop Header: Depth=2
	v_and_b32_e32 v15, 1, v10
	v_mov_b32_e32 v16, s36
	v_cmp_eq_u32_e32 vcc, 1, v15
	s_mul_i32 s36, s36, s36
	s_nop 0
	v_cndmask_b32_e32 v15, 1, v16, vcc
	v_mul_lo_u32 v12, v15, v12
	v_lshrrev_b32_e32 v15, 1, v10
	v_cmp_gt_u32_e32 vcc, 2, v10
	s_or_b64 s[34:35], vcc, s[34:35]
	v_mov_b32_e32 v10, v15
	s_andn2_b64 exec, exec, s[34:35]
	s_cbranch_execnz .LBB74_51
; %bb.52:                               ;   in Loop: Header=BB74_4 Depth=1
	s_or_b64 exec, exec, s[34:35]
.LBB74_53:                              ;   in Loop: Header=BB74_4 Depth=1
	s_or_b64 exec, exec, s[30:31]
                                        ; implicit-def: $vgpr10
.LBB74_54:                              ;   in Loop: Header=BB74_4 Depth=1
	s_andn2_saveexec_b64 s[28:29], s[28:29]
	s_cbranch_execz .LBB74_60
; %bb.55:                               ;   in Loop: Header=BB74_4 Depth=1
	s_mov_b64 s[36:37], -1
	s_mov_b64 s[30:31], 0
	s_cmp_lt_i32 s33, 1
	s_mov_b64 s[34:35], 0
	s_cbranch_scc0 .LBB74_77
; %bb.56:                               ;   in Loop: Header=BB74_4 Depth=1
	s_andn2_b64 vcc, exec, s[36:37]
	s_cbranch_vccz .LBB74_78
.LBB74_57:                              ;   in Loop: Header=BB74_4 Depth=1
	s_andn2_b64 vcc, exec, s[34:35]
	s_mov_b32 s34, s33
	s_cbranch_vccz .LBB74_79
.LBB74_58:                              ;   in Loop: Header=BB74_4 Depth=1
	s_andn2_b64 vcc, exec, s[30:31]
	v_mov_b32_e32 v12, s34
	s_cbranch_vccnz .LBB74_60
.LBB74_59:                              ;   in Loop: Header=BB74_4 Depth=1
	v_and_b32_e32 v10, 1, v10
	v_cmp_eq_u32_e32 vcc, 0, v10
	s_nop 1
	v_cndmask_b32_e64 v12, -1, 1, vcc
.LBB74_60:                              ;   in Loop: Header=BB74_4 Depth=1
	s_or_b64 exec, exec, s[28:29]
	s_and_saveexec_b64 s[28:29], s[2:3]
	s_xor_b64 s[2:3], exec, s[28:29]
	s_cbranch_execnz .LBB74_64
; %bb.61:                               ;   in Loop: Header=BB74_4 Depth=1
	s_or_b64 exec, exec, s[2:3]
	s_and_saveexec_b64 s[2:3], s[4:5]
	s_cbranch_execnz .LBB74_65
.LBB74_62:                              ;   in Loop: Header=BB74_4 Depth=1
	s_or_b64 exec, exec, s[2:3]
	s_and_saveexec_b64 s[2:3], s[6:7]
	s_cbranch_execnz .LBB74_66
.LBB74_63:                              ;   in Loop: Header=BB74_4 Depth=1
	s_or_b64 exec, exec, s[2:3]
	s_and_saveexec_b64 s[2:3], s[8:9]
	s_cbranch_execz .LBB74_3
	s_branch .LBB74_67
.LBB74_64:                              ;   in Loop: Header=BB74_4 Depth=1
	v_lshl_add_u64 v[2:3], v[2:3], 2, s[12:13]
	global_store_dword v[2:3], v11, off
	s_or_b64 exec, exec, s[2:3]
	s_and_saveexec_b64 s[2:3], s[4:5]
	s_cbranch_execz .LBB74_62
.LBB74_65:                              ;   in Loop: Header=BB74_4 Depth=1
	v_lshl_add_u64 v[2:3], v[4:5], 2, s[12:13]
	global_store_dword v[2:3], v13, off
	s_or_b64 exec, exec, s[2:3]
	s_and_saveexec_b64 s[2:3], s[6:7]
	s_cbranch_execz .LBB74_63
.LBB74_66:                              ;   in Loop: Header=BB74_4 Depth=1
	v_lshl_add_u64 v[2:3], v[6:7], 2, s[12:13]
	global_store_dword v[2:3], v14, off
	s_or_b64 exec, exec, s[2:3]
	s_and_saveexec_b64 s[2:3], s[8:9]
	s_cbranch_execz .LBB74_3
.LBB74_67:                              ;   in Loop: Header=BB74_4 Depth=1
	v_lshl_add_u64 v[2:3], v[8:9], 2, s[12:13]
	global_store_dword v[2:3], v12, off
	s_branch .LBB74_3
.LBB74_68:                              ;   in Loop: Header=BB74_4 Depth=1
	s_cmp_lg_u32 s33, 1
	s_cselect_b64 s[34:35], -1, 0
	s_cbranch_execnz .LBB74_21
.LBB74_69:                              ;   in Loop: Header=BB74_4 Depth=1
	s_cmp_lg_u32 s33, -1
	s_mov_b64 s[30:31], -1
	s_cselect_b64 s[34:35], -1, 0
	s_andn2_b64 vcc, exec, s[34:35]
	s_mov_b32 s34, s33
	s_cbranch_vccnz .LBB74_22
.LBB74_70:                              ;   in Loop: Header=BB74_4 Depth=1
	s_mov_b32 s34, 0
	v_mov_b32_e32 v11, s34
	s_cbranch_execz .LBB74_23
	s_branch .LBB74_24
.LBB74_71:                              ;   in Loop: Header=BB74_4 Depth=1
	s_cmp_lg_u32 s33, 1
	s_cselect_b64 s[34:35], -1, 0
	s_cbranch_execnz .LBB74_33
.LBB74_72:                              ;   in Loop: Header=BB74_4 Depth=1
	s_cmp_lg_u32 s33, -1
	s_mov_b64 s[30:31], -1
	s_cselect_b64 s[34:35], -1, 0
	s_andn2_b64 vcc, exec, s[34:35]
	s_mov_b32 s34, s33
	s_cbranch_vccnz .LBB74_34
.LBB74_73:                              ;   in Loop: Header=BB74_4 Depth=1
	s_mov_b32 s34, 0
	v_mov_b32_e32 v13, s34
	s_cbranch_execz .LBB74_35
	s_branch .LBB74_36
.LBB74_74:                              ;   in Loop: Header=BB74_4 Depth=1
	s_cmp_lg_u32 s33, 1
	s_cselect_b64 s[34:35], -1, 0
	s_cbranch_execnz .LBB74_45
.LBB74_75:                              ;   in Loop: Header=BB74_4 Depth=1
	s_cmp_lg_u32 s33, -1
	s_mov_b64 s[30:31], -1
	s_cselect_b64 s[34:35], -1, 0
	s_andn2_b64 vcc, exec, s[34:35]
	s_mov_b32 s34, s33
	s_cbranch_vccnz .LBB74_46
.LBB74_76:                              ;   in Loop: Header=BB74_4 Depth=1
	s_mov_b32 s34, 0
	v_mov_b32_e32 v14, s34
	s_cbranch_execz .LBB74_47
	s_branch .LBB74_48
.LBB74_77:                              ;   in Loop: Header=BB74_4 Depth=1
	s_cmp_lg_u32 s33, 1
	s_cselect_b64 s[34:35], -1, 0
	s_cbranch_execnz .LBB74_57
.LBB74_78:                              ;   in Loop: Header=BB74_4 Depth=1
	s_cmp_lg_u32 s33, -1
	s_mov_b64 s[30:31], -1
	s_cselect_b64 s[34:35], -1, 0
	s_andn2_b64 vcc, exec, s[34:35]
	s_mov_b32 s34, s33
	s_cbranch_vccnz .LBB74_58
.LBB74_79:                              ;   in Loop: Header=BB74_4 Depth=1
	s_mov_b32 s34, 0
	v_mov_b32_e32 v12, s34
	s_cbranch_execz .LBB74_59
	s_branch .LBB74_60
.LBB74_80:
	s_mov_b64 s[2:3], 0
.LBB74_81:
	s_andn2_b64 vcc, exec, s[2:3]
	s_cbranch_vccnz .LBB74_145
; %bb.82:
	v_mov_b64_e32 v[4:5], 0x10000
	v_cmp_lt_i64_e32 vcc, s[14:15], v[4:5]
	s_and_b64 s[4:5], vcc, exec
	v_mov_b32_e32 v3, 0
	s_cselect_b32 s5, s15, 0
	s_cselect_b32 s4, s14, 0x10000
	v_lshlrev_b32_e32 v2, 2, v0
	s_mov_b32 s3, 0
	v_cmp_gt_i64_e32 vcc, s[4:5], v[2:3]
	s_and_saveexec_b64 s[6:7], vcc
	s_cbranch_execz .LBB74_145
; %bb.83:
	s_load_dword s0, s[0:1], 0xc5c
	v_mov_b32_e32 v1, v3
	s_waitcnt lgkmcnt(0)
	s_and_b32 s2, s0, 0xffff
	s_mov_b64 s[0:1], 0
	s_branch .LBB74_85
.LBB74_84:                              ;   in Loop: Header=BB74_85 Depth=1
	s_or_b64 exec, exec, s[6:7]
	v_lshl_add_u64 v[2:3], v[0:1], 4, s[12:13]
	v_lshl_add_u64 v[0:1], v[0:1], 0, s[2:3]
	v_lshlrev_b64 v[4:5], 2, v[0:1]
	v_cmp_le_i64_e32 vcc, s[4:5], v[4:5]
	s_or_b64 s[0:1], vcc, s[0:1]
	global_store_dwordx4 v[2:3], v[6:9], off
	s_andn2_b64 exec, exec, s[0:1]
	s_cbranch_execz .LBB74_145
.LBB74_85:                              ; =>This Loop Header: Depth=1
                                        ;     Child Loop BB74_88 Depth 2
                                        ;     Child Loop BB74_100 Depth 2
	;; [unrolled: 1-line block ×4, first 2 shown]
	v_lshl_add_u64 v[2:3], v[0:1], 4, s[10:11]
	global_load_dwordx4 v[2:5], v[2:3], off
                                        ; implicit-def: $vgpr6
	s_waitcnt vmcnt(0)
	v_cmp_lt_i32_e32 vcc, -1, v2
	s_and_saveexec_b64 s[6:7], vcc
	s_xor_b64 s[6:7], exec, s[6:7]
	s_cbranch_execz .LBB74_91
; %bb.86:                               ;   in Loop: Header=BB74_85 Depth=1
	v_cmp_ne_u32_e32 vcc, 0, v2
	v_mov_b32_e32 v6, 1
	s_and_saveexec_b64 s[8:9], vcc
	s_cbranch_execz .LBB74_90
; %bb.87:                               ;   in Loop: Header=BB74_85 Depth=1
	v_mov_b32_e32 v6, 1
	s_mov_b64 s[14:15], 0
	v_mov_b32_e32 v7, v2
	s_mov_b32 s16, s33
.LBB74_88:                              ;   Parent Loop BB74_85 Depth=1
                                        ; =>  This Inner Loop Header: Depth=2
	v_and_b32_e32 v8, 1, v7
	v_mov_b32_e32 v9, s16
	v_cmp_eq_u32_e32 vcc, 1, v8
	s_mul_i32 s16, s16, s16
	s_nop 0
	v_cndmask_b32_e32 v8, 1, v9, vcc
	v_mul_lo_u32 v6, v8, v6
	v_lshrrev_b32_e32 v8, 1, v7
	v_cmp_gt_u32_e32 vcc, 2, v7
	s_or_b64 s[14:15], vcc, s[14:15]
	v_mov_b32_e32 v7, v8
	s_andn2_b64 exec, exec, s[14:15]
	s_cbranch_execnz .LBB74_88
; %bb.89:                               ;   in Loop: Header=BB74_85 Depth=1
	s_or_b64 exec, exec, s[14:15]
.LBB74_90:                              ;   in Loop: Header=BB74_85 Depth=1
	s_or_b64 exec, exec, s[8:9]
.LBB74_91:                              ;   in Loop: Header=BB74_85 Depth=1
	s_andn2_saveexec_b64 s[6:7], s[6:7]
	s_cbranch_execz .LBB74_97
; %bb.92:                               ;   in Loop: Header=BB74_85 Depth=1
	s_mov_b64 s[16:17], -1
	s_mov_b64 s[8:9], 0
	s_cmp_lt_i32 s33, 1
	s_mov_b64 s[14:15], 0
	s_cbranch_scc0 .LBB74_132
; %bb.93:                               ;   in Loop: Header=BB74_85 Depth=1
	s_andn2_b64 vcc, exec, s[16:17]
	s_cbranch_vccz .LBB74_133
.LBB74_94:                              ;   in Loop: Header=BB74_85 Depth=1
	s_andn2_b64 vcc, exec, s[14:15]
	s_mov_b32 s14, s33
	s_cbranch_vccz .LBB74_134
.LBB74_95:                              ;   in Loop: Header=BB74_85 Depth=1
	s_andn2_b64 vcc, exec, s[8:9]
	v_mov_b32_e32 v6, s14
	s_cbranch_vccnz .LBB74_97
.LBB74_96:                              ;   in Loop: Header=BB74_85 Depth=1
	v_and_b32_e32 v2, 1, v2
	v_cmp_eq_u32_e32 vcc, 0, v2
	s_nop 1
	v_cndmask_b32_e64 v6, -1, 1, vcc
.LBB74_97:                              ;   in Loop: Header=BB74_85 Depth=1
	s_or_b64 exec, exec, s[6:7]
	v_cmp_lt_i32_e32 vcc, -1, v3
	s_and_saveexec_b64 s[6:7], vcc
	s_xor_b64 s[6:7], exec, s[6:7]
	s_cbranch_execz .LBB74_103
; %bb.98:                               ;   in Loop: Header=BB74_85 Depth=1
	v_cmp_ne_u32_e32 vcc, 0, v3
	v_mov_b32_e32 v7, 1
	s_and_saveexec_b64 s[8:9], vcc
	s_cbranch_execz .LBB74_102
; %bb.99:                               ;   in Loop: Header=BB74_85 Depth=1
	v_mov_b32_e32 v7, 1
	s_mov_b64 s[14:15], 0
	v_mov_b32_e32 v2, v3
	s_mov_b32 s16, s33
.LBB74_100:                             ;   Parent Loop BB74_85 Depth=1
                                        ; =>  This Inner Loop Header: Depth=2
	v_and_b32_e32 v8, 1, v2
	v_mov_b32_e32 v9, s16
	v_cmp_eq_u32_e32 vcc, 1, v8
	s_mul_i32 s16, s16, s16
	s_nop 0
	v_cndmask_b32_e32 v8, 1, v9, vcc
	v_mul_lo_u32 v7, v8, v7
	v_lshrrev_b32_e32 v8, 1, v2
	v_cmp_gt_u32_e32 vcc, 2, v2
	s_or_b64 s[14:15], vcc, s[14:15]
	v_mov_b32_e32 v2, v8
	s_andn2_b64 exec, exec, s[14:15]
	s_cbranch_execnz .LBB74_100
; %bb.101:                              ;   in Loop: Header=BB74_85 Depth=1
	s_or_b64 exec, exec, s[14:15]
.LBB74_102:                             ;   in Loop: Header=BB74_85 Depth=1
	s_or_b64 exec, exec, s[8:9]
.LBB74_103:                             ;   in Loop: Header=BB74_85 Depth=1
	s_andn2_saveexec_b64 s[6:7], s[6:7]
	s_cbranch_execz .LBB74_109
; %bb.104:                              ;   in Loop: Header=BB74_85 Depth=1
	s_mov_b64 s[16:17], -1
	s_mov_b64 s[8:9], 0
	s_cmp_lt_i32 s33, 1
	s_mov_b64 s[14:15], 0
	s_cbranch_scc0 .LBB74_135
; %bb.105:                              ;   in Loop: Header=BB74_85 Depth=1
	s_andn2_b64 vcc, exec, s[16:17]
	s_cbranch_vccz .LBB74_136
.LBB74_106:                             ;   in Loop: Header=BB74_85 Depth=1
	s_andn2_b64 vcc, exec, s[14:15]
	s_mov_b32 s14, s33
	s_cbranch_vccz .LBB74_137
.LBB74_107:                             ;   in Loop: Header=BB74_85 Depth=1
	s_andn2_b64 vcc, exec, s[8:9]
	v_mov_b32_e32 v7, s14
	s_cbranch_vccnz .LBB74_109
.LBB74_108:                             ;   in Loop: Header=BB74_85 Depth=1
	v_and_b32_e32 v2, 1, v3
	v_cmp_eq_u32_e32 vcc, 0, v2
	s_nop 1
	v_cndmask_b32_e64 v7, -1, 1, vcc
.LBB74_109:                             ;   in Loop: Header=BB74_85 Depth=1
	s_or_b64 exec, exec, s[6:7]
	v_cmp_lt_i32_e32 vcc, -1, v4
	s_and_saveexec_b64 s[6:7], vcc
	s_xor_b64 s[6:7], exec, s[6:7]
	s_cbranch_execz .LBB74_115
; %bb.110:                              ;   in Loop: Header=BB74_85 Depth=1
	v_cmp_ne_u32_e32 vcc, 0, v4
	v_mov_b32_e32 v8, 1
	s_and_saveexec_b64 s[8:9], vcc
	s_cbranch_execz .LBB74_114
; %bb.111:                              ;   in Loop: Header=BB74_85 Depth=1
	v_mov_b32_e32 v8, 1
	s_mov_b64 s[14:15], 0
	v_mov_b32_e32 v2, v4
	s_mov_b32 s16, s33
.LBB74_112:                             ;   Parent Loop BB74_85 Depth=1
                                        ; =>  This Inner Loop Header: Depth=2
	v_and_b32_e32 v3, 1, v2
	v_mov_b32_e32 v9, s16
	v_cmp_eq_u32_e32 vcc, 1, v3
	s_mul_i32 s16, s16, s16
	s_nop 0
	v_cndmask_b32_e32 v3, 1, v9, vcc
	v_mul_lo_u32 v8, v3, v8
	v_lshrrev_b32_e32 v3, 1, v2
	v_cmp_gt_u32_e32 vcc, 2, v2
	s_or_b64 s[14:15], vcc, s[14:15]
	v_mov_b32_e32 v2, v3
	s_andn2_b64 exec, exec, s[14:15]
	s_cbranch_execnz .LBB74_112
; %bb.113:                              ;   in Loop: Header=BB74_85 Depth=1
	s_or_b64 exec, exec, s[14:15]
.LBB74_114:                             ;   in Loop: Header=BB74_85 Depth=1
	s_or_b64 exec, exec, s[8:9]
.LBB74_115:                             ;   in Loop: Header=BB74_85 Depth=1
	s_andn2_saveexec_b64 s[6:7], s[6:7]
	s_cbranch_execz .LBB74_121
; %bb.116:                              ;   in Loop: Header=BB74_85 Depth=1
	s_mov_b64 s[16:17], -1
	s_mov_b64 s[8:9], 0
	s_cmp_lt_i32 s33, 1
	s_mov_b64 s[14:15], 0
	s_cbranch_scc0 .LBB74_138
; %bb.117:                              ;   in Loop: Header=BB74_85 Depth=1
	s_andn2_b64 vcc, exec, s[16:17]
	s_cbranch_vccz .LBB74_139
.LBB74_118:                             ;   in Loop: Header=BB74_85 Depth=1
	s_andn2_b64 vcc, exec, s[14:15]
	s_mov_b32 s14, s33
	s_cbranch_vccz .LBB74_140
.LBB74_119:                             ;   in Loop: Header=BB74_85 Depth=1
	s_andn2_b64 vcc, exec, s[8:9]
	v_mov_b32_e32 v8, s14
	s_cbranch_vccnz .LBB74_121
.LBB74_120:                             ;   in Loop: Header=BB74_85 Depth=1
	v_and_b32_e32 v2, 1, v4
	v_cmp_eq_u32_e32 vcc, 0, v2
	s_nop 1
	v_cndmask_b32_e64 v8, -1, 1, vcc
.LBB74_121:                             ;   in Loop: Header=BB74_85 Depth=1
	s_or_b64 exec, exec, s[6:7]
	v_cmp_lt_i32_e32 vcc, -1, v5
	s_and_saveexec_b64 s[6:7], vcc
	s_xor_b64 s[6:7], exec, s[6:7]
	s_cbranch_execz .LBB74_127
; %bb.122:                              ;   in Loop: Header=BB74_85 Depth=1
	v_cmp_ne_u32_e32 vcc, 0, v5
	v_mov_b32_e32 v9, 1
	s_and_saveexec_b64 s[8:9], vcc
	s_cbranch_execz .LBB74_126
; %bb.123:                              ;   in Loop: Header=BB74_85 Depth=1
	v_mov_b32_e32 v9, 1
	s_mov_b64 s[14:15], 0
	s_mov_b32 s16, s33
.LBB74_124:                             ;   Parent Loop BB74_85 Depth=1
                                        ; =>  This Inner Loop Header: Depth=2
	v_and_b32_e32 v2, 1, v5
	v_mov_b32_e32 v3, s16
	v_cmp_eq_u32_e32 vcc, 1, v2
	s_mul_i32 s16, s16, s16
	s_nop 0
	v_cndmask_b32_e32 v2, 1, v3, vcc
	v_mul_lo_u32 v9, v2, v9
	v_lshrrev_b32_e32 v2, 1, v5
	v_cmp_gt_u32_e32 vcc, 2, v5
	s_or_b64 s[14:15], vcc, s[14:15]
	v_mov_b32_e32 v5, v2
	s_andn2_b64 exec, exec, s[14:15]
	s_cbranch_execnz .LBB74_124
; %bb.125:                              ;   in Loop: Header=BB74_85 Depth=1
	s_or_b64 exec, exec, s[14:15]
.LBB74_126:                             ;   in Loop: Header=BB74_85 Depth=1
	s_or_b64 exec, exec, s[8:9]
                                        ; implicit-def: $vgpr2_vgpr3_vgpr4_vgpr5
.LBB74_127:                             ;   in Loop: Header=BB74_85 Depth=1
	s_andn2_saveexec_b64 s[6:7], s[6:7]
	s_cbranch_execz .LBB74_84
; %bb.128:                              ;   in Loop: Header=BB74_85 Depth=1
	s_mov_b64 s[16:17], -1
	s_mov_b64 s[8:9], 0
	s_cmp_lt_i32 s33, 1
	s_mov_b64 s[14:15], 0
	s_cbranch_scc0 .LBB74_141
; %bb.129:                              ;   in Loop: Header=BB74_85 Depth=1
	s_andn2_b64 vcc, exec, s[16:17]
	s_cbranch_vccz .LBB74_142
.LBB74_130:                             ;   in Loop: Header=BB74_85 Depth=1
	s_andn2_b64 vcc, exec, s[14:15]
	s_mov_b32 s14, s33
	s_cbranch_vccz .LBB74_143
.LBB74_131:                             ;   in Loop: Header=BB74_85 Depth=1
	s_andn2_b64 vcc, exec, s[8:9]
	v_mov_b32_e32 v9, s14
	s_cbranch_vccnz .LBB74_84
	s_branch .LBB74_144
.LBB74_132:                             ;   in Loop: Header=BB74_85 Depth=1
	s_cmp_lg_u32 s33, 1
	s_cselect_b64 s[14:15], -1, 0
	s_cbranch_execnz .LBB74_94
.LBB74_133:                             ;   in Loop: Header=BB74_85 Depth=1
	s_cmp_lg_u32 s33, -1
	s_mov_b64 s[8:9], -1
	s_cselect_b64 s[14:15], -1, 0
	s_andn2_b64 vcc, exec, s[14:15]
	s_mov_b32 s14, s33
	s_cbranch_vccnz .LBB74_95
.LBB74_134:                             ;   in Loop: Header=BB74_85 Depth=1
	s_mov_b32 s14, 0
	v_mov_b32_e32 v6, s14
	s_cbranch_execz .LBB74_96
	s_branch .LBB74_97
.LBB74_135:                             ;   in Loop: Header=BB74_85 Depth=1
	s_cmp_lg_u32 s33, 1
	s_cselect_b64 s[14:15], -1, 0
	s_cbranch_execnz .LBB74_106
.LBB74_136:                             ;   in Loop: Header=BB74_85 Depth=1
	s_cmp_lg_u32 s33, -1
	s_mov_b64 s[8:9], -1
	s_cselect_b64 s[14:15], -1, 0
	s_andn2_b64 vcc, exec, s[14:15]
	s_mov_b32 s14, s33
	s_cbranch_vccnz .LBB74_107
.LBB74_137:                             ;   in Loop: Header=BB74_85 Depth=1
	s_mov_b32 s14, 0
	v_mov_b32_e32 v7, s14
	s_cbranch_execz .LBB74_108
	s_branch .LBB74_109
.LBB74_138:                             ;   in Loop: Header=BB74_85 Depth=1
	s_cmp_lg_u32 s33, 1
	s_cselect_b64 s[14:15], -1, 0
	s_cbranch_execnz .LBB74_118
.LBB74_139:                             ;   in Loop: Header=BB74_85 Depth=1
	s_cmp_lg_u32 s33, -1
	s_mov_b64 s[8:9], -1
	s_cselect_b64 s[14:15], -1, 0
	s_andn2_b64 vcc, exec, s[14:15]
	s_mov_b32 s14, s33
	s_cbranch_vccnz .LBB74_119
.LBB74_140:                             ;   in Loop: Header=BB74_85 Depth=1
	s_mov_b32 s14, 0
	v_mov_b32_e32 v8, s14
	s_cbranch_execz .LBB74_120
	s_branch .LBB74_121
.LBB74_141:                             ;   in Loop: Header=BB74_85 Depth=1
	s_cmp_lg_u32 s33, 1
	s_cselect_b64 s[14:15], -1, 0
	s_cbranch_execnz .LBB74_130
.LBB74_142:                             ;   in Loop: Header=BB74_85 Depth=1
	s_cmp_lg_u32 s33, -1
	s_mov_b64 s[8:9], -1
	s_cselect_b64 s[14:15], -1, 0
	s_andn2_b64 vcc, exec, s[14:15]
	s_mov_b32 s14, s33
	s_cbranch_vccnz .LBB74_131
.LBB74_143:                             ;   in Loop: Header=BB74_85 Depth=1
	s_mov_b32 s14, 0
	v_mov_b32_e32 v9, s14
	s_cbranch_execnz .LBB74_84
.LBB74_144:                             ;   in Loop: Header=BB74_85 Depth=1
	v_and_b32_e32 v2, 1, v5
	v_cmp_eq_u32_e32 vcc, 0, v2
	s_nop 1
	v_cndmask_b32_e64 v9, -1, 1, vcc
	s_branch .LBB74_84
.LBB74_145:
	s_endpgm
	.section	.rodata,"a",@progbits
	.p2align	6, 0x0
	.amdhsa_kernel _ZN2at6native12_GLOBAL__N_125multi_tensor_apply_kernelINS1_18TensorListMetadataILi2EEENS1_21BinaryOpScalarFunctorIiLi2ELi1ELi1EEEJNS1_21reverse_power_functorIiEEiEEEvT_T0_DpT1_
		.amdhsa_group_segment_fixed_size 0
		.amdhsa_private_segment_fixed_size 0
		.amdhsa_kernarg_size 3408
		.amdhsa_user_sgpr_count 2
		.amdhsa_user_sgpr_dispatch_ptr 0
		.amdhsa_user_sgpr_queue_ptr 0
		.amdhsa_user_sgpr_kernarg_segment_ptr 1
		.amdhsa_user_sgpr_dispatch_id 0
		.amdhsa_user_sgpr_kernarg_preload_length 0
		.amdhsa_user_sgpr_kernarg_preload_offset 0
		.amdhsa_user_sgpr_private_segment_size 0
		.amdhsa_uses_dynamic_stack 0
		.amdhsa_enable_private_segment 0
		.amdhsa_system_sgpr_workgroup_id_x 1
		.amdhsa_system_sgpr_workgroup_id_y 0
		.amdhsa_system_sgpr_workgroup_id_z 0
		.amdhsa_system_sgpr_workgroup_info 0
		.amdhsa_system_vgpr_workitem_id 0
		.amdhsa_next_free_vgpr 17
		.amdhsa_next_free_sgpr 39
		.amdhsa_accum_offset 20
		.amdhsa_reserve_vcc 1
		.amdhsa_float_round_mode_32 0
		.amdhsa_float_round_mode_16_64 0
		.amdhsa_float_denorm_mode_32 3
		.amdhsa_float_denorm_mode_16_64 3
		.amdhsa_dx10_clamp 1
		.amdhsa_ieee_mode 1
		.amdhsa_fp16_overflow 0
		.amdhsa_tg_split 0
		.amdhsa_exception_fp_ieee_invalid_op 0
		.amdhsa_exception_fp_denorm_src 0
		.amdhsa_exception_fp_ieee_div_zero 0
		.amdhsa_exception_fp_ieee_overflow 0
		.amdhsa_exception_fp_ieee_underflow 0
		.amdhsa_exception_fp_ieee_inexact 0
		.amdhsa_exception_int_div_zero 0
	.end_amdhsa_kernel
	.section	.text._ZN2at6native12_GLOBAL__N_125multi_tensor_apply_kernelINS1_18TensorListMetadataILi2EEENS1_21BinaryOpScalarFunctorIiLi2ELi1ELi1EEEJNS1_21reverse_power_functorIiEEiEEEvT_T0_DpT1_,"axG",@progbits,_ZN2at6native12_GLOBAL__N_125multi_tensor_apply_kernelINS1_18TensorListMetadataILi2EEENS1_21BinaryOpScalarFunctorIiLi2ELi1ELi1EEEJNS1_21reverse_power_functorIiEEiEEEvT_T0_DpT1_,comdat
.Lfunc_end74:
	.size	_ZN2at6native12_GLOBAL__N_125multi_tensor_apply_kernelINS1_18TensorListMetadataILi2EEENS1_21BinaryOpScalarFunctorIiLi2ELi1ELi1EEEJNS1_21reverse_power_functorIiEEiEEEvT_T0_DpT1_, .Lfunc_end74-_ZN2at6native12_GLOBAL__N_125multi_tensor_apply_kernelINS1_18TensorListMetadataILi2EEENS1_21BinaryOpScalarFunctorIiLi2ELi1ELi1EEEJNS1_21reverse_power_functorIiEEiEEEvT_T0_DpT1_
                                        ; -- End function
	.set _ZN2at6native12_GLOBAL__N_125multi_tensor_apply_kernelINS1_18TensorListMetadataILi2EEENS1_21BinaryOpScalarFunctorIiLi2ELi1ELi1EEEJNS1_21reverse_power_functorIiEEiEEEvT_T0_DpT1_.num_vgpr, 17
	.set _ZN2at6native12_GLOBAL__N_125multi_tensor_apply_kernelINS1_18TensorListMetadataILi2EEENS1_21BinaryOpScalarFunctorIiLi2ELi1ELi1EEEJNS1_21reverse_power_functorIiEEiEEEvT_T0_DpT1_.num_agpr, 0
	.set _ZN2at6native12_GLOBAL__N_125multi_tensor_apply_kernelINS1_18TensorListMetadataILi2EEENS1_21BinaryOpScalarFunctorIiLi2ELi1ELi1EEEJNS1_21reverse_power_functorIiEEiEEEvT_T0_DpT1_.numbered_sgpr, 39
	.set _ZN2at6native12_GLOBAL__N_125multi_tensor_apply_kernelINS1_18TensorListMetadataILi2EEENS1_21BinaryOpScalarFunctorIiLi2ELi1ELi1EEEJNS1_21reverse_power_functorIiEEiEEEvT_T0_DpT1_.num_named_barrier, 0
	.set _ZN2at6native12_GLOBAL__N_125multi_tensor_apply_kernelINS1_18TensorListMetadataILi2EEENS1_21BinaryOpScalarFunctorIiLi2ELi1ELi1EEEJNS1_21reverse_power_functorIiEEiEEEvT_T0_DpT1_.private_seg_size, 0
	.set _ZN2at6native12_GLOBAL__N_125multi_tensor_apply_kernelINS1_18TensorListMetadataILi2EEENS1_21BinaryOpScalarFunctorIiLi2ELi1ELi1EEEJNS1_21reverse_power_functorIiEEiEEEvT_T0_DpT1_.uses_vcc, 1
	.set _ZN2at6native12_GLOBAL__N_125multi_tensor_apply_kernelINS1_18TensorListMetadataILi2EEENS1_21BinaryOpScalarFunctorIiLi2ELi1ELi1EEEJNS1_21reverse_power_functorIiEEiEEEvT_T0_DpT1_.uses_flat_scratch, 0
	.set _ZN2at6native12_GLOBAL__N_125multi_tensor_apply_kernelINS1_18TensorListMetadataILi2EEENS1_21BinaryOpScalarFunctorIiLi2ELi1ELi1EEEJNS1_21reverse_power_functorIiEEiEEEvT_T0_DpT1_.has_dyn_sized_stack, 0
	.set _ZN2at6native12_GLOBAL__N_125multi_tensor_apply_kernelINS1_18TensorListMetadataILi2EEENS1_21BinaryOpScalarFunctorIiLi2ELi1ELi1EEEJNS1_21reverse_power_functorIiEEiEEEvT_T0_DpT1_.has_recursion, 0
	.set _ZN2at6native12_GLOBAL__N_125multi_tensor_apply_kernelINS1_18TensorListMetadataILi2EEENS1_21BinaryOpScalarFunctorIiLi2ELi1ELi1EEEJNS1_21reverse_power_functorIiEEiEEEvT_T0_DpT1_.has_indirect_call, 0
	.section	.AMDGPU.csdata,"",@progbits
; Kernel info:
; codeLenInByte = 2808
; TotalNumSgprs: 45
; NumVgprs: 17
; NumAgprs: 0
; TotalNumVgprs: 17
; ScratchSize: 0
; MemoryBound: 0
; FloatMode: 240
; IeeeMode: 1
; LDSByteSize: 0 bytes/workgroup (compile time only)
; SGPRBlocks: 5
; VGPRBlocks: 2
; NumSGPRsForWavesPerEU: 45
; NumVGPRsForWavesPerEU: 17
; AccumOffset: 20
; Occupancy: 8
; WaveLimiterHint : 0
; COMPUTE_PGM_RSRC2:SCRATCH_EN: 0
; COMPUTE_PGM_RSRC2:USER_SGPR: 2
; COMPUTE_PGM_RSRC2:TRAP_HANDLER: 0
; COMPUTE_PGM_RSRC2:TGID_X_EN: 1
; COMPUTE_PGM_RSRC2:TGID_Y_EN: 0
; COMPUTE_PGM_RSRC2:TGID_Z_EN: 0
; COMPUTE_PGM_RSRC2:TIDIG_COMP_CNT: 0
; COMPUTE_PGM_RSRC3_GFX90A:ACCUM_OFFSET: 4
; COMPUTE_PGM_RSRC3_GFX90A:TG_SPLIT: 0
	.section	.text._ZN2at6native12_GLOBAL__N_125multi_tensor_apply_kernelINS1_18TensorListMetadataILi2EEENS1_21BinaryOpScalarFunctorIlLi2ELi1ELi1EEEJNS1_21reverse_power_functorIlEElEEEvT_T0_DpT1_,"axG",@progbits,_ZN2at6native12_GLOBAL__N_125multi_tensor_apply_kernelINS1_18TensorListMetadataILi2EEENS1_21BinaryOpScalarFunctorIlLi2ELi1ELi1EEEJNS1_21reverse_power_functorIlEElEEEvT_T0_DpT1_,comdat
	.globl	_ZN2at6native12_GLOBAL__N_125multi_tensor_apply_kernelINS1_18TensorListMetadataILi2EEENS1_21BinaryOpScalarFunctorIlLi2ELi1ELi1EEEJNS1_21reverse_power_functorIlEElEEEvT_T0_DpT1_ ; -- Begin function _ZN2at6native12_GLOBAL__N_125multi_tensor_apply_kernelINS1_18TensorListMetadataILi2EEENS1_21BinaryOpScalarFunctorIlLi2ELi1ELi1EEEJNS1_21reverse_power_functorIlEElEEEvT_T0_DpT1_
	.p2align	8
	.type	_ZN2at6native12_GLOBAL__N_125multi_tensor_apply_kernelINS1_18TensorListMetadataILi2EEENS1_21BinaryOpScalarFunctorIlLi2ELi1ELi1EEEJNS1_21reverse_power_functorIlEElEEEvT_T0_DpT1_,@function
_ZN2at6native12_GLOBAL__N_125multi_tensor_apply_kernelINS1_18TensorListMetadataILi2EEENS1_21BinaryOpScalarFunctorIlLi2ELi1ELi1EEEJNS1_21reverse_power_functorIlEElEEEvT_T0_DpT1_: ; @_ZN2at6native12_GLOBAL__N_125multi_tensor_apply_kernelINS1_18TensorListMetadataILi2EEENS1_21BinaryOpScalarFunctorIlLi2ELi1ELi1EEEJNS1_21reverse_power_functorIlEElEEEvT_T0_DpT1_
; %bb.0:
	v_mov_b32_e32 v1, s2
	global_load_ubyte v1, v1, s[0:1] offset:1536
	s_add_u32 s3, s0, s2
	s_mul_hi_u32 s4, s2, 3
	s_mul_i32 s2, s2, 3
	s_addc_u32 s5, s1, 0
	s_add_u32 s2, s3, s2
	s_addc_u32 s3, s5, s4
	s_load_dword s2, s[2:3], 0x740
	s_mov_b32 s5, 0
	s_mov_b32 s7, s5
	s_waitcnt lgkmcnt(0)
	s_ashr_i32 s3, s2, 31
	s_lshl_b64 s[18:19], s[2:3], 19
	s_waitcnt vmcnt(0)
	v_readfirstlane_b32 s4, v1
	s_lshl_b32 s4, s4, 3
	s_load_dwordx2 s[8:9], s[0:1], s4 offset:0x0
	s_load_dwordx2 s[12:13], s[0:1], 0xc50
	s_load_dwordx2 s[10:11], s[0:1], s4 offset:0x400
	s_load_dwordx2 s[16:17], s[0:1], s4 offset:0x200
	s_waitcnt lgkmcnt(0)
	s_add_u32 s14, s8, s18
	s_addc_u32 s15, s9, s19
	s_and_b32 s4, s14, 31
	s_add_u32 s16, s16, s18
	s_addc_u32 s17, s17, s19
	s_and_b32 s6, s16, 31
	s_lshl_b64 s[2:3], s[2:3], 16
	s_sub_u32 s18, s10, s2
	s_subb_u32 s19, s11, s3
	s_and_b32 s2, s10, 3
	s_mov_b32 s3, s5
	s_or_b64 s[2:3], s[6:7], s[2:3]
	s_or_b64 s[2:3], s[2:3], s[4:5]
	s_cmp_eq_u64 s[2:3], 0
	s_mov_b64 s[2:3], -1
	s_cbranch_scc1 .LBB75_81
; %bb.1:
	v_cmp_lt_i64_e64 s[2:3], s[18:19], 1
	s_and_b64 vcc, exec, s[2:3]
	s_cbranch_vccnz .LBB75_80
; %bb.2:
	v_mov_b64_e32 v[4:5], 0x10000
	v_cmp_lt_i64_e32 vcc, s[18:19], v[4:5]
	s_and_b64 s[2:3], vcc, exec
	s_load_dword s2, s[0:1], 0xc64
	s_cselect_b32 s23, s19, 0
	s_cselect_b32 s22, s18, 0x10000
	v_cmp_lt_u64_e32 vcc, s[18:19], v[4:5]
	s_mov_b32 s21, 0
	s_waitcnt lgkmcnt(0)
	s_and_b32 s20, s2, 0xffff
	v_mov_b32_e32 v3, 0
	s_and_b64 s[2:3], vcc, exec
	v_mov_b32_e32 v1, v3
	s_cselect_b32 s25, s19, 0
	s_cselect_b32 s24, s18, 0x10000
	s_lshl_b32 s26, s20, 1
	s_mov_b32 s27, s21
	s_mul_i32 s28, s20, 3
	s_mov_b32 s29, s21
	s_lshl_b32 s33, s20, 2
	s_mov_b64 s[30:31], 0
	v_cmp_lt_i64_e64 s[34:35], s[12:13], 1
	s_branch .LBB75_4
.LBB75_3:                               ;   in Loop: Header=BB75_4 Depth=1
	s_or_b64 exec, exec, s[2:3]
	s_add_u32 s30, s30, s33
	s_addc_u32 s31, s31, 0
	v_mov_b64_e32 v[4:5], s[22:23]
	v_cmp_ge_i64_e32 vcc, s[30:31], v[4:5]
	s_cbranch_vccnz .LBB75_80
.LBB75_4:                               ; =>This Loop Header: Depth=1
                                        ;     Child Loop BB75_15 Depth 2
                                        ;     Child Loop BB75_27 Depth 2
	;; [unrolled: 1-line block ×4, first 2 shown]
	v_lshl_add_u64 v[4:5], s[30:31], 0, v[0:1]
	v_cmp_gt_u64_e64 s[2:3], s[24:25], v[4:5]
	v_mov_b64_e32 v[20:21], 0
	v_mov_b64_e32 v[18:19], 0
	s_and_saveexec_b64 s[4:5], s[2:3]
	s_cbranch_execz .LBB75_6
; %bb.5:                                ;   in Loop: Header=BB75_4 Depth=1
	v_lshl_add_u64 v[6:7], v[4:5], 3, s[14:15]
	global_load_dwordx2 v[18:19], v[6:7], off
.LBB75_6:                               ;   in Loop: Header=BB75_4 Depth=1
	s_or_b64 exec, exec, s[4:5]
	v_lshl_add_u64 v[6:7], v[4:5], 0, s[20:21]
	v_cmp_gt_u64_e64 s[4:5], s[24:25], v[6:7]
	s_and_saveexec_b64 s[6:7], s[4:5]
	s_cbranch_execz .LBB75_8
; %bb.7:                                ;   in Loop: Header=BB75_4 Depth=1
	v_lshl_add_u64 v[8:9], v[6:7], 3, s[14:15]
	global_load_dwordx2 v[20:21], v[8:9], off
.LBB75_8:                               ;   in Loop: Header=BB75_4 Depth=1
	s_or_b64 exec, exec, s[6:7]
	v_lshl_add_u64 v[8:9], v[4:5], 0, s[26:27]
	v_cmp_gt_u64_e64 s[6:7], s[24:25], v[8:9]
	v_mov_b64_e32 v[12:13], 0
	v_mov_b64_e32 v[16:17], 0
	s_and_saveexec_b64 s[8:9], s[6:7]
	s_cbranch_execz .LBB75_10
; %bb.9:                                ;   in Loop: Header=BB75_4 Depth=1
	v_lshl_add_u64 v[10:11], v[8:9], 3, s[14:15]
	global_load_dwordx2 v[16:17], v[10:11], off
.LBB75_10:                              ;   in Loop: Header=BB75_4 Depth=1
	s_or_b64 exec, exec, s[8:9]
	v_lshl_add_u64 v[10:11], v[4:5], 0, s[28:29]
	v_cmp_gt_u64_e64 s[8:9], s[24:25], v[10:11]
	s_and_saveexec_b64 s[10:11], s[8:9]
	s_cbranch_execz .LBB75_12
; %bb.11:                               ;   in Loop: Header=BB75_4 Depth=1
	v_lshl_add_u64 v[12:13], v[10:11], 3, s[14:15]
	global_load_dwordx2 v[12:13], v[12:13], off
.LBB75_12:                              ;   in Loop: Header=BB75_4 Depth=1
	s_or_b64 exec, exec, s[10:11]
	s_waitcnt vmcnt(0)
	v_cmp_lt_i64_e32 vcc, -1, v[18:19]
                                        ; implicit-def: $vgpr14_vgpr15
	s_and_saveexec_b64 s[10:11], vcc
	s_xor_b64 s[36:37], exec, s[10:11]
	s_cbranch_execz .LBB75_18
; %bb.13:                               ;   in Loop: Header=BB75_4 Depth=1
	v_cmp_ne_u64_e32 vcc, 0, v[18:19]
	v_mov_b64_e32 v[14:15], 1
	s_and_saveexec_b64 s[38:39], vcc
	s_cbranch_execz .LBB75_17
; %bb.14:                               ;   in Loop: Header=BB75_4 Depth=1
	v_mov_b64_e32 v[14:15], 1
	s_mov_b64 s[40:41], 0
	s_mov_b64 s[42:43], s[12:13]
.LBB75_15:                              ;   Parent Loop BB75_4 Depth=1
                                        ; =>  This Inner Loop Header: Depth=2
	v_and_b32_e32 v2, 1, v18
	v_mov_b32_e32 v24, s42
	v_mov_b32_e32 v25, s43
	v_lshrrev_b64 v[22:23], 1, v[18:19]
	s_mul_i32 s43, s42, s43
	s_mul_hi_u32 s44, s42, s42
	v_cmp_eq_u32_e64 s[10:11], 1, v2
	v_cmp_gt_u64_e32 vcc, 2, v[18:19]
	s_add_i32 s44, s44, s43
	v_cndmask_b32_e64 v2, 1, v24, s[10:11]
	v_mov_b64_e32 v[18:19], v[22:23]
	v_cndmask_b32_e64 v22, 0, v25, s[10:11]
	v_mul_lo_u32 v23, v2, v15
	s_add_i32 s43, s44, s43
	v_mul_lo_u32 v22, v22, v14
	v_mad_u64_u32 v[14:15], s[10:11], v2, v14, 0
	s_mul_i32 s42, s42, s42
	s_or_b64 s[40:41], vcc, s[40:41]
	v_add3_u32 v15, v15, v23, v22
	s_andn2_b64 exec, exec, s[40:41]
	s_cbranch_execnz .LBB75_15
; %bb.16:                               ;   in Loop: Header=BB75_4 Depth=1
	s_or_b64 exec, exec, s[40:41]
.LBB75_17:                              ;   in Loop: Header=BB75_4 Depth=1
	s_or_b64 exec, exec, s[38:39]
                                        ; implicit-def: $vgpr18_vgpr19
.LBB75_18:                              ;   in Loop: Header=BB75_4 Depth=1
	s_andn2_saveexec_b64 s[10:11], s[36:37]
	s_cbranch_execz .LBB75_24
; %bb.19:                               ;   in Loop: Header=BB75_4 Depth=1
	s_mov_b64 s[40:41], -1
	s_mov_b64 s[36:37], 0
	s_and_b64 vcc, exec, s[34:35]
	s_mov_b64 s[38:39], 0
	s_cbranch_vccz .LBB75_68
; %bb.20:                               ;   in Loop: Header=BB75_4 Depth=1
	s_andn2_b64 vcc, exec, s[40:41]
	s_cbranch_vccz .LBB75_69
.LBB75_21:                              ;   in Loop: Header=BB75_4 Depth=1
	s_andn2_b64 vcc, exec, s[38:39]
	s_mov_b64 s[38:39], s[12:13]
	s_cbranch_vccz .LBB75_70
.LBB75_22:                              ;   in Loop: Header=BB75_4 Depth=1
	s_andn2_b64 vcc, exec, s[36:37]
	v_mov_b64_e32 v[14:15], s[38:39]
	s_cbranch_vccnz .LBB75_24
.LBB75_23:                              ;   in Loop: Header=BB75_4 Depth=1
	v_and_b32_e32 v2, 1, v18
	v_cmp_eq_u64_e32 vcc, 0, v[2:3]
	s_nop 1
	v_cndmask_b32_e64 v15, -1, 0, vcc
	v_cndmask_b32_e64 v14, -1, 1, vcc
.LBB75_24:                              ;   in Loop: Header=BB75_4 Depth=1
	s_or_b64 exec, exec, s[10:11]
	v_cmp_lt_i64_e32 vcc, -1, v[20:21]
                                        ; implicit-def: $vgpr18_vgpr19
	s_and_saveexec_b64 s[10:11], vcc
	s_xor_b64 s[36:37], exec, s[10:11]
	s_cbranch_execz .LBB75_30
; %bb.25:                               ;   in Loop: Header=BB75_4 Depth=1
	v_cmp_ne_u64_e32 vcc, 0, v[20:21]
	v_mov_b64_e32 v[18:19], 1
	s_and_saveexec_b64 s[38:39], vcc
	s_cbranch_execz .LBB75_29
; %bb.26:                               ;   in Loop: Header=BB75_4 Depth=1
	v_mov_b64_e32 v[18:19], 1
	s_mov_b64 s[40:41], 0
	s_mov_b64 s[42:43], s[12:13]
.LBB75_27:                              ;   Parent Loop BB75_4 Depth=1
                                        ; =>  This Inner Loop Header: Depth=2
	v_and_b32_e32 v2, 1, v20
	v_mov_b32_e32 v24, s42
	v_mov_b32_e32 v25, s43
	v_lshrrev_b64 v[22:23], 1, v[20:21]
	s_mul_i32 s43, s42, s43
	s_mul_hi_u32 s44, s42, s42
	v_cmp_eq_u32_e64 s[10:11], 1, v2
	v_cmp_gt_u64_e32 vcc, 2, v[20:21]
	s_add_i32 s44, s44, s43
	v_cndmask_b32_e64 v2, 1, v24, s[10:11]
	v_mov_b64_e32 v[20:21], v[22:23]
	v_cndmask_b32_e64 v22, 0, v25, s[10:11]
	v_mul_lo_u32 v23, v2, v19
	s_add_i32 s43, s44, s43
	v_mul_lo_u32 v22, v22, v18
	v_mad_u64_u32 v[18:19], s[10:11], v2, v18, 0
	s_mul_i32 s42, s42, s42
	s_or_b64 s[40:41], vcc, s[40:41]
	v_add3_u32 v19, v19, v23, v22
	s_andn2_b64 exec, exec, s[40:41]
	s_cbranch_execnz .LBB75_27
; %bb.28:                               ;   in Loop: Header=BB75_4 Depth=1
	s_or_b64 exec, exec, s[40:41]
.LBB75_29:                              ;   in Loop: Header=BB75_4 Depth=1
	s_or_b64 exec, exec, s[38:39]
                                        ; implicit-def: $vgpr20_vgpr21
.LBB75_30:                              ;   in Loop: Header=BB75_4 Depth=1
	s_andn2_saveexec_b64 s[10:11], s[36:37]
	s_cbranch_execz .LBB75_36
; %bb.31:                               ;   in Loop: Header=BB75_4 Depth=1
	s_mov_b64 s[40:41], -1
	s_mov_b64 s[36:37], 0
	s_and_b64 vcc, exec, s[34:35]
	s_mov_b64 s[38:39], 0
	s_cbranch_vccz .LBB75_71
; %bb.32:                               ;   in Loop: Header=BB75_4 Depth=1
	s_andn2_b64 vcc, exec, s[40:41]
	s_cbranch_vccz .LBB75_72
.LBB75_33:                              ;   in Loop: Header=BB75_4 Depth=1
	s_andn2_b64 vcc, exec, s[38:39]
	s_mov_b64 s[38:39], s[12:13]
	s_cbranch_vccz .LBB75_73
.LBB75_34:                              ;   in Loop: Header=BB75_4 Depth=1
	s_andn2_b64 vcc, exec, s[36:37]
	v_mov_b64_e32 v[18:19], s[38:39]
	s_cbranch_vccnz .LBB75_36
.LBB75_35:                              ;   in Loop: Header=BB75_4 Depth=1
	v_and_b32_e32 v2, 1, v20
	v_cmp_eq_u64_e32 vcc, 0, v[2:3]
	s_nop 1
	v_cndmask_b32_e64 v19, -1, 0, vcc
	v_cndmask_b32_e64 v18, -1, 1, vcc
.LBB75_36:                              ;   in Loop: Header=BB75_4 Depth=1
	s_or_b64 exec, exec, s[10:11]
	v_cmp_lt_i64_e32 vcc, -1, v[16:17]
                                        ; implicit-def: $vgpr20_vgpr21
	s_and_saveexec_b64 s[10:11], vcc
	s_xor_b64 s[36:37], exec, s[10:11]
	s_cbranch_execz .LBB75_42
; %bb.37:                               ;   in Loop: Header=BB75_4 Depth=1
	v_cmp_ne_u64_e32 vcc, 0, v[16:17]
	v_mov_b64_e32 v[20:21], 1
	s_and_saveexec_b64 s[38:39], vcc
	s_cbranch_execz .LBB75_41
; %bb.38:                               ;   in Loop: Header=BB75_4 Depth=1
	v_mov_b64_e32 v[20:21], 1
	s_mov_b64 s[40:41], 0
	s_mov_b64 s[42:43], s[12:13]
.LBB75_39:                              ;   Parent Loop BB75_4 Depth=1
                                        ; =>  This Inner Loop Header: Depth=2
	v_and_b32_e32 v2, 1, v16
	v_mov_b32_e32 v24, s42
	v_mov_b32_e32 v25, s43
	v_lshrrev_b64 v[22:23], 1, v[16:17]
	s_mul_i32 s43, s42, s43
	s_mul_hi_u32 s44, s42, s42
	v_cmp_eq_u32_e64 s[10:11], 1, v2
	v_cmp_gt_u64_e32 vcc, 2, v[16:17]
	s_add_i32 s44, s44, s43
	v_cndmask_b32_e64 v2, 1, v24, s[10:11]
	v_mov_b64_e32 v[16:17], v[22:23]
	v_cndmask_b32_e64 v22, 0, v25, s[10:11]
	v_mul_lo_u32 v23, v2, v21
	s_add_i32 s43, s44, s43
	v_mul_lo_u32 v22, v22, v20
	v_mad_u64_u32 v[20:21], s[10:11], v2, v20, 0
	s_mul_i32 s42, s42, s42
	s_or_b64 s[40:41], vcc, s[40:41]
	v_add3_u32 v21, v21, v23, v22
	s_andn2_b64 exec, exec, s[40:41]
	s_cbranch_execnz .LBB75_39
; %bb.40:                               ;   in Loop: Header=BB75_4 Depth=1
	s_or_b64 exec, exec, s[40:41]
.LBB75_41:                              ;   in Loop: Header=BB75_4 Depth=1
	s_or_b64 exec, exec, s[38:39]
                                        ; implicit-def: $vgpr16_vgpr17
.LBB75_42:                              ;   in Loop: Header=BB75_4 Depth=1
	s_andn2_saveexec_b64 s[10:11], s[36:37]
	s_cbranch_execz .LBB75_48
; %bb.43:                               ;   in Loop: Header=BB75_4 Depth=1
	s_mov_b64 s[40:41], -1
	s_mov_b64 s[36:37], 0
	s_and_b64 vcc, exec, s[34:35]
	s_mov_b64 s[38:39], 0
	s_cbranch_vccz .LBB75_74
; %bb.44:                               ;   in Loop: Header=BB75_4 Depth=1
	s_andn2_b64 vcc, exec, s[40:41]
	s_cbranch_vccz .LBB75_75
.LBB75_45:                              ;   in Loop: Header=BB75_4 Depth=1
	s_andn2_b64 vcc, exec, s[38:39]
	s_mov_b64 s[38:39], s[12:13]
	s_cbranch_vccz .LBB75_76
.LBB75_46:                              ;   in Loop: Header=BB75_4 Depth=1
	s_andn2_b64 vcc, exec, s[36:37]
	v_mov_b64_e32 v[20:21], s[38:39]
	s_cbranch_vccnz .LBB75_48
.LBB75_47:                              ;   in Loop: Header=BB75_4 Depth=1
	v_and_b32_e32 v2, 1, v16
	v_cmp_eq_u64_e32 vcc, 0, v[2:3]
	s_nop 1
	v_cndmask_b32_e64 v21, -1, 0, vcc
	v_cndmask_b32_e64 v20, -1, 1, vcc
.LBB75_48:                              ;   in Loop: Header=BB75_4 Depth=1
	s_or_b64 exec, exec, s[10:11]
	v_cmp_lt_i64_e32 vcc, -1, v[12:13]
                                        ; implicit-def: $vgpr16_vgpr17
	s_and_saveexec_b64 s[10:11], vcc
	s_xor_b64 s[36:37], exec, s[10:11]
	s_cbranch_execz .LBB75_54
; %bb.49:                               ;   in Loop: Header=BB75_4 Depth=1
	v_cmp_ne_u64_e32 vcc, 0, v[12:13]
	v_mov_b64_e32 v[16:17], 1
	s_and_saveexec_b64 s[38:39], vcc
	s_cbranch_execz .LBB75_53
; %bb.50:                               ;   in Loop: Header=BB75_4 Depth=1
	v_mov_b64_e32 v[16:17], 1
	s_mov_b64 s[40:41], 0
	s_mov_b64 s[42:43], s[12:13]
.LBB75_51:                              ;   Parent Loop BB75_4 Depth=1
                                        ; =>  This Inner Loop Header: Depth=2
	v_and_b32_e32 v2, 1, v12
	v_mov_b32_e32 v24, s42
	v_mov_b32_e32 v25, s43
	v_lshrrev_b64 v[22:23], 1, v[12:13]
	s_mul_i32 s43, s42, s43
	s_mul_hi_u32 s44, s42, s42
	v_cmp_eq_u32_e64 s[10:11], 1, v2
	v_cmp_gt_u64_e32 vcc, 2, v[12:13]
	s_add_i32 s44, s44, s43
	v_cndmask_b32_e64 v2, 1, v24, s[10:11]
	v_mov_b64_e32 v[12:13], v[22:23]
	v_cndmask_b32_e64 v22, 0, v25, s[10:11]
	v_mul_lo_u32 v23, v2, v17
	s_add_i32 s43, s44, s43
	v_mul_lo_u32 v22, v22, v16
	v_mad_u64_u32 v[16:17], s[10:11], v2, v16, 0
	s_mul_i32 s42, s42, s42
	s_or_b64 s[40:41], vcc, s[40:41]
	v_add3_u32 v17, v17, v23, v22
	s_andn2_b64 exec, exec, s[40:41]
	s_cbranch_execnz .LBB75_51
; %bb.52:                               ;   in Loop: Header=BB75_4 Depth=1
	s_or_b64 exec, exec, s[40:41]
.LBB75_53:                              ;   in Loop: Header=BB75_4 Depth=1
	s_or_b64 exec, exec, s[38:39]
                                        ; implicit-def: $vgpr12_vgpr13
.LBB75_54:                              ;   in Loop: Header=BB75_4 Depth=1
	s_andn2_saveexec_b64 s[10:11], s[36:37]
	s_cbranch_execz .LBB75_60
; %bb.55:                               ;   in Loop: Header=BB75_4 Depth=1
	s_mov_b64 s[40:41], -1
	s_mov_b64 s[36:37], 0
	s_and_b64 vcc, exec, s[34:35]
	s_mov_b64 s[38:39], 0
	s_cbranch_vccz .LBB75_77
; %bb.56:                               ;   in Loop: Header=BB75_4 Depth=1
	s_andn2_b64 vcc, exec, s[40:41]
	s_cbranch_vccz .LBB75_78
.LBB75_57:                              ;   in Loop: Header=BB75_4 Depth=1
	s_andn2_b64 vcc, exec, s[38:39]
	s_mov_b64 s[38:39], s[12:13]
	s_cbranch_vccz .LBB75_79
.LBB75_58:                              ;   in Loop: Header=BB75_4 Depth=1
	s_andn2_b64 vcc, exec, s[36:37]
	v_mov_b64_e32 v[16:17], s[38:39]
	s_cbranch_vccnz .LBB75_60
.LBB75_59:                              ;   in Loop: Header=BB75_4 Depth=1
	v_and_b32_e32 v2, 1, v12
	v_cmp_eq_u64_e32 vcc, 0, v[2:3]
	s_nop 1
	v_cndmask_b32_e64 v17, -1, 0, vcc
	v_cndmask_b32_e64 v16, -1, 1, vcc
.LBB75_60:                              ;   in Loop: Header=BB75_4 Depth=1
	s_or_b64 exec, exec, s[10:11]
	s_and_saveexec_b64 s[10:11], s[2:3]
	s_xor_b64 s[2:3], exec, s[10:11]
	s_cbranch_execnz .LBB75_64
; %bb.61:                               ;   in Loop: Header=BB75_4 Depth=1
	s_or_b64 exec, exec, s[2:3]
	s_and_saveexec_b64 s[2:3], s[4:5]
	s_cbranch_execnz .LBB75_65
.LBB75_62:                              ;   in Loop: Header=BB75_4 Depth=1
	s_or_b64 exec, exec, s[2:3]
	s_and_saveexec_b64 s[2:3], s[6:7]
	s_cbranch_execnz .LBB75_66
.LBB75_63:                              ;   in Loop: Header=BB75_4 Depth=1
	s_or_b64 exec, exec, s[2:3]
	s_and_saveexec_b64 s[2:3], s[8:9]
	s_cbranch_execz .LBB75_3
	s_branch .LBB75_67
.LBB75_64:                              ;   in Loop: Header=BB75_4 Depth=1
	v_lshl_add_u64 v[4:5], v[4:5], 3, s[16:17]
	global_store_dwordx2 v[4:5], v[14:15], off
	s_or_b64 exec, exec, s[2:3]
	s_and_saveexec_b64 s[2:3], s[4:5]
	s_cbranch_execz .LBB75_62
.LBB75_65:                              ;   in Loop: Header=BB75_4 Depth=1
	v_lshl_add_u64 v[4:5], v[6:7], 3, s[16:17]
	global_store_dwordx2 v[4:5], v[18:19], off
	s_or_b64 exec, exec, s[2:3]
	s_and_saveexec_b64 s[2:3], s[6:7]
	s_cbranch_execz .LBB75_63
.LBB75_66:                              ;   in Loop: Header=BB75_4 Depth=1
	v_lshl_add_u64 v[4:5], v[8:9], 3, s[16:17]
	global_store_dwordx2 v[4:5], v[20:21], off
	s_or_b64 exec, exec, s[2:3]
	s_and_saveexec_b64 s[2:3], s[8:9]
	s_cbranch_execz .LBB75_3
.LBB75_67:                              ;   in Loop: Header=BB75_4 Depth=1
	v_lshl_add_u64 v[4:5], v[10:11], 3, s[16:17]
	global_store_dwordx2 v[4:5], v[16:17], off
	s_branch .LBB75_3
.LBB75_68:                              ;   in Loop: Header=BB75_4 Depth=1
	s_cmp_lg_u64 s[12:13], 1
	s_cselect_b64 s[38:39], -1, 0
	s_cbranch_execnz .LBB75_21
.LBB75_69:                              ;   in Loop: Header=BB75_4 Depth=1
	s_cmp_lg_u64 s[12:13], -1
	s_mov_b64 s[36:37], -1
	s_cselect_b64 s[38:39], -1, 0
	s_andn2_b64 vcc, exec, s[38:39]
	s_mov_b64 s[38:39], s[12:13]
	s_cbranch_vccnz .LBB75_22
.LBB75_70:                              ;   in Loop: Header=BB75_4 Depth=1
	s_mov_b64 s[38:39], 0
	v_mov_b64_e32 v[14:15], s[38:39]
	s_cbranch_execz .LBB75_23
	s_branch .LBB75_24
.LBB75_71:                              ;   in Loop: Header=BB75_4 Depth=1
	s_cmp_lg_u64 s[12:13], 1
	s_cselect_b64 s[38:39], -1, 0
	s_cbranch_execnz .LBB75_33
.LBB75_72:                              ;   in Loop: Header=BB75_4 Depth=1
	s_cmp_lg_u64 s[12:13], -1
	s_mov_b64 s[36:37], -1
	s_cselect_b64 s[38:39], -1, 0
	s_andn2_b64 vcc, exec, s[38:39]
	s_mov_b64 s[38:39], s[12:13]
	s_cbranch_vccnz .LBB75_34
.LBB75_73:                              ;   in Loop: Header=BB75_4 Depth=1
	s_mov_b64 s[38:39], 0
	v_mov_b64_e32 v[18:19], s[38:39]
	s_cbranch_execz .LBB75_35
	s_branch .LBB75_36
.LBB75_74:                              ;   in Loop: Header=BB75_4 Depth=1
	s_cmp_lg_u64 s[12:13], 1
	s_cselect_b64 s[38:39], -1, 0
	s_cbranch_execnz .LBB75_45
.LBB75_75:                              ;   in Loop: Header=BB75_4 Depth=1
	s_cmp_lg_u64 s[12:13], -1
	s_mov_b64 s[36:37], -1
	s_cselect_b64 s[38:39], -1, 0
	s_andn2_b64 vcc, exec, s[38:39]
	s_mov_b64 s[38:39], s[12:13]
	s_cbranch_vccnz .LBB75_46
.LBB75_76:                              ;   in Loop: Header=BB75_4 Depth=1
	s_mov_b64 s[38:39], 0
	v_mov_b64_e32 v[20:21], s[38:39]
	s_cbranch_execz .LBB75_47
	s_branch .LBB75_48
.LBB75_77:                              ;   in Loop: Header=BB75_4 Depth=1
	s_cmp_lg_u64 s[12:13], 1
	s_cselect_b64 s[38:39], -1, 0
	s_cbranch_execnz .LBB75_57
.LBB75_78:                              ;   in Loop: Header=BB75_4 Depth=1
	s_cmp_lg_u64 s[12:13], -1
	s_mov_b64 s[36:37], -1
	s_cselect_b64 s[38:39], -1, 0
	s_andn2_b64 vcc, exec, s[38:39]
	s_mov_b64 s[38:39], s[12:13]
	s_cbranch_vccnz .LBB75_58
.LBB75_79:                              ;   in Loop: Header=BB75_4 Depth=1
	s_mov_b64 s[38:39], 0
	v_mov_b64_e32 v[16:17], s[38:39]
	s_cbranch_execz .LBB75_59
	s_branch .LBB75_60
.LBB75_80:
	s_mov_b64 s[2:3], 0
.LBB75_81:
	s_andn2_b64 vcc, exec, s[2:3]
	s_cbranch_vccnz .LBB75_145
; %bb.82:
	v_mov_b64_e32 v[2:3], 0x10000
	v_cmp_lt_i64_e32 vcc, s[18:19], v[2:3]
	s_and_b64 s[4:5], vcc, exec
	v_mov_b32_e32 v15, 0
	s_cselect_b32 s5, s19, 0
	s_cselect_b32 s4, s18, 0x10000
	v_lshlrev_b32_e32 v14, 2, v0
	s_mov_b32 s3, 0
	v_cmp_gt_i64_e32 vcc, s[4:5], v[14:15]
	s_and_saveexec_b64 s[6:7], vcc
	s_cbranch_execz .LBB75_145
; %bb.83:
	s_load_dword s0, s[0:1], 0xc64
	v_mov_b32_e32 v1, v15
	s_mov_b64 s[6:7], 0
	v_cmp_lt_i64_e64 s[8:9], s[12:13], 1
	s_waitcnt lgkmcnt(0)
	s_and_b32 s2, s0, 0xffff
	s_branch .LBB75_85
.LBB75_84:                              ;   in Loop: Header=BB75_85 Depth=1
	s_or_b64 exec, exec, s[0:1]
	v_lshl_add_u64 v[0:1], v[0:1], 0, s[2:3]
	v_lshlrev_b64 v[4:5], 2, v[0:1]
	v_cmp_le_i64_e32 vcc, s[4:5], v[4:5]
	v_lshl_add_u64 v[2:3], s[16:17], 0, v[16:17]
	s_or_b64 s[6:7], vcc, s[6:7]
	global_store_dwordx4 v[2:3], v[6:9], off
	global_store_dwordx4 v[2:3], v[10:13], off offset:16
	s_andn2_b64 exec, exec, s[6:7]
	s_cbranch_execz .LBB75_145
.LBB75_85:                              ; =>This Loop Header: Depth=1
                                        ;     Child Loop BB75_88 Depth 2
                                        ;     Child Loop BB75_100 Depth 2
	;; [unrolled: 1-line block ×4, first 2 shown]
	v_lshlrev_b64 v[16:17], 5, v[0:1]
	v_lshl_add_u64 v[6:7], s[14:15], 0, v[16:17]
	global_load_dwordx4 v[8:11], v[6:7], off
	global_load_dwordx4 v[2:5], v[6:7], off offset:16
                                        ; implicit-def: $vgpr6_vgpr7
	s_waitcnt vmcnt(1)
	v_cmp_lt_i64_e32 vcc, -1, v[8:9]
	s_and_saveexec_b64 s[0:1], vcc
	s_xor_b64 s[10:11], exec, s[0:1]
	s_cbranch_execz .LBB75_91
; %bb.86:                               ;   in Loop: Header=BB75_85 Depth=1
	v_cmp_ne_u64_e32 vcc, 0, v[8:9]
	v_mov_b64_e32 v[6:7], 1
	s_and_saveexec_b64 s[18:19], vcc
	s_cbranch_execz .LBB75_90
; %bb.87:                               ;   in Loop: Header=BB75_85 Depth=1
	v_mov_b64_e32 v[6:7], 1
	s_mov_b64 s[20:21], 0
	s_mov_b64 s[22:23], s[12:13]
.LBB75_88:                              ;   Parent Loop BB75_85 Depth=1
                                        ; =>  This Inner Loop Header: Depth=2
	v_and_b32_e32 v14, 1, v8
	v_mov_b32_e32 v18, s22
	v_mov_b32_e32 v19, s23
	v_lshrrev_b64 v[12:13], 1, v[8:9]
	s_mul_i32 s23, s22, s23
	s_mul_hi_u32 s24, s22, s22
	v_cmp_eq_u32_e64 s[0:1], 1, v14
	v_cmp_gt_u64_e32 vcc, 2, v[8:9]
	s_add_i32 s24, s24, s23
	v_cndmask_b32_e64 v14, 1, v18, s[0:1]
	v_mov_b64_e32 v[8:9], v[12:13]
	v_cndmask_b32_e64 v12, 0, v19, s[0:1]
	v_mul_lo_u32 v13, v14, v7
	s_add_i32 s23, s24, s23
	v_mul_lo_u32 v12, v12, v6
	v_mad_u64_u32 v[6:7], s[0:1], v14, v6, 0
	s_mul_i32 s22, s22, s22
	s_or_b64 s[20:21], vcc, s[20:21]
	v_add3_u32 v7, v7, v13, v12
	s_andn2_b64 exec, exec, s[20:21]
	s_cbranch_execnz .LBB75_88
; %bb.89:                               ;   in Loop: Header=BB75_85 Depth=1
	s_or_b64 exec, exec, s[20:21]
.LBB75_90:                              ;   in Loop: Header=BB75_85 Depth=1
	s_or_b64 exec, exec, s[18:19]
.LBB75_91:                              ;   in Loop: Header=BB75_85 Depth=1
	s_andn2_saveexec_b64 s[0:1], s[10:11]
	s_cbranch_execz .LBB75_97
; %bb.92:                               ;   in Loop: Header=BB75_85 Depth=1
	s_mov_b64 s[20:21], -1
	s_mov_b64 s[10:11], 0
	s_and_b64 vcc, exec, s[8:9]
	s_mov_b64 s[18:19], 0
	s_cbranch_vccz .LBB75_132
; %bb.93:                               ;   in Loop: Header=BB75_85 Depth=1
	s_andn2_b64 vcc, exec, s[20:21]
	s_cbranch_vccz .LBB75_133
.LBB75_94:                              ;   in Loop: Header=BB75_85 Depth=1
	s_andn2_b64 vcc, exec, s[18:19]
	s_mov_b64 s[18:19], s[12:13]
	s_cbranch_vccz .LBB75_134
.LBB75_95:                              ;   in Loop: Header=BB75_85 Depth=1
	s_andn2_b64 vcc, exec, s[10:11]
	v_mov_b64_e32 v[6:7], s[18:19]
	s_cbranch_vccnz .LBB75_97
.LBB75_96:                              ;   in Loop: Header=BB75_85 Depth=1
	v_and_b32_e32 v14, 1, v8
	v_cmp_eq_u64_e32 vcc, 0, v[14:15]
	s_nop 1
	v_cndmask_b32_e64 v7, -1, 0, vcc
	v_cndmask_b32_e64 v6, -1, 1, vcc
.LBB75_97:                              ;   in Loop: Header=BB75_85 Depth=1
	s_or_b64 exec, exec, s[0:1]
	v_cmp_lt_i64_e32 vcc, -1, v[10:11]
	s_and_saveexec_b64 s[0:1], vcc
	s_xor_b64 s[10:11], exec, s[0:1]
	s_cbranch_execz .LBB75_103
; %bb.98:                               ;   in Loop: Header=BB75_85 Depth=1
	v_cmp_ne_u64_e32 vcc, 0, v[10:11]
	v_mov_b64_e32 v[8:9], 1
	s_and_saveexec_b64 s[18:19], vcc
	s_cbranch_execz .LBB75_102
; %bb.99:                               ;   in Loop: Header=BB75_85 Depth=1
	v_mov_b64_e32 v[8:9], 1
	s_mov_b64 s[20:21], 0
	s_mov_b64 s[22:23], s[12:13]
.LBB75_100:                             ;   Parent Loop BB75_85 Depth=1
                                        ; =>  This Inner Loop Header: Depth=2
	v_and_b32_e32 v14, 1, v10
	v_mov_b32_e32 v18, s22
	v_mov_b32_e32 v19, s23
	v_lshrrev_b64 v[12:13], 1, v[10:11]
	s_mul_i32 s23, s22, s23
	s_mul_hi_u32 s24, s22, s22
	v_cmp_eq_u32_e64 s[0:1], 1, v14
	v_cmp_gt_u64_e32 vcc, 2, v[10:11]
	s_add_i32 s24, s24, s23
	v_cndmask_b32_e64 v14, 1, v18, s[0:1]
	v_mov_b64_e32 v[10:11], v[12:13]
	v_cndmask_b32_e64 v12, 0, v19, s[0:1]
	v_mul_lo_u32 v13, v14, v9
	s_add_i32 s23, s24, s23
	v_mul_lo_u32 v12, v12, v8
	v_mad_u64_u32 v[8:9], s[0:1], v14, v8, 0
	s_mul_i32 s22, s22, s22
	s_or_b64 s[20:21], vcc, s[20:21]
	v_add3_u32 v9, v9, v13, v12
	s_andn2_b64 exec, exec, s[20:21]
	s_cbranch_execnz .LBB75_100
; %bb.101:                              ;   in Loop: Header=BB75_85 Depth=1
	s_or_b64 exec, exec, s[20:21]
.LBB75_102:                             ;   in Loop: Header=BB75_85 Depth=1
	s_or_b64 exec, exec, s[18:19]
                                        ; implicit-def: $vgpr10_vgpr11
.LBB75_103:                             ;   in Loop: Header=BB75_85 Depth=1
	s_andn2_saveexec_b64 s[0:1], s[10:11]
	s_cbranch_execz .LBB75_109
; %bb.104:                              ;   in Loop: Header=BB75_85 Depth=1
	s_mov_b64 s[20:21], -1
	s_mov_b64 s[10:11], 0
	s_and_b64 vcc, exec, s[8:9]
	s_mov_b64 s[18:19], 0
	s_cbranch_vccz .LBB75_135
; %bb.105:                              ;   in Loop: Header=BB75_85 Depth=1
	s_andn2_b64 vcc, exec, s[20:21]
	s_cbranch_vccz .LBB75_136
.LBB75_106:                             ;   in Loop: Header=BB75_85 Depth=1
	s_andn2_b64 vcc, exec, s[18:19]
	s_mov_b64 s[18:19], s[12:13]
	s_cbranch_vccz .LBB75_137
.LBB75_107:                             ;   in Loop: Header=BB75_85 Depth=1
	s_andn2_b64 vcc, exec, s[10:11]
	v_mov_b64_e32 v[8:9], s[18:19]
	s_cbranch_vccnz .LBB75_109
.LBB75_108:                             ;   in Loop: Header=BB75_85 Depth=1
	v_and_b32_e32 v14, 1, v10
	v_cmp_eq_u64_e32 vcc, 0, v[14:15]
	s_nop 1
	v_cndmask_b32_e64 v9, -1, 0, vcc
	v_cndmask_b32_e64 v8, -1, 1, vcc
.LBB75_109:                             ;   in Loop: Header=BB75_85 Depth=1
	s_or_b64 exec, exec, s[0:1]
	s_waitcnt vmcnt(0)
	v_cmp_lt_i64_e32 vcc, -1, v[2:3]
                                        ; implicit-def: $vgpr10_vgpr11
	s_and_saveexec_b64 s[0:1], vcc
	s_xor_b64 s[10:11], exec, s[0:1]
	s_cbranch_execz .LBB75_115
; %bb.110:                              ;   in Loop: Header=BB75_85 Depth=1
	v_cmp_ne_u64_e32 vcc, 0, v[2:3]
	v_mov_b64_e32 v[10:11], 1
	s_and_saveexec_b64 s[18:19], vcc
	s_cbranch_execz .LBB75_114
; %bb.111:                              ;   in Loop: Header=BB75_85 Depth=1
	v_mov_b64_e32 v[10:11], 1
	s_mov_b64 s[20:21], 0
	s_mov_b64 s[22:23], s[12:13]
.LBB75_112:                             ;   Parent Loop BB75_85 Depth=1
                                        ; =>  This Inner Loop Header: Depth=2
	v_and_b32_e32 v14, 1, v2
	v_mov_b32_e32 v18, s22
	v_mov_b32_e32 v19, s23
	v_lshrrev_b64 v[12:13], 1, v[2:3]
	s_mul_i32 s23, s22, s23
	s_mul_hi_u32 s24, s22, s22
	v_cmp_eq_u32_e64 s[0:1], 1, v14
	v_cmp_gt_u64_e32 vcc, 2, v[2:3]
	s_add_i32 s24, s24, s23
	v_cndmask_b32_e64 v14, 1, v18, s[0:1]
	v_mov_b64_e32 v[2:3], v[12:13]
	v_cndmask_b32_e64 v12, 0, v19, s[0:1]
	v_mul_lo_u32 v13, v14, v11
	s_add_i32 s23, s24, s23
	v_mul_lo_u32 v12, v12, v10
	v_mad_u64_u32 v[10:11], s[0:1], v14, v10, 0
	s_mul_i32 s22, s22, s22
	s_or_b64 s[20:21], vcc, s[20:21]
	v_add3_u32 v11, v11, v13, v12
	s_andn2_b64 exec, exec, s[20:21]
	s_cbranch_execnz .LBB75_112
; %bb.113:                              ;   in Loop: Header=BB75_85 Depth=1
	s_or_b64 exec, exec, s[20:21]
.LBB75_114:                             ;   in Loop: Header=BB75_85 Depth=1
	s_or_b64 exec, exec, s[18:19]
.LBB75_115:                             ;   in Loop: Header=BB75_85 Depth=1
	s_andn2_saveexec_b64 s[0:1], s[10:11]
	s_cbranch_execz .LBB75_121
; %bb.116:                              ;   in Loop: Header=BB75_85 Depth=1
	s_mov_b64 s[20:21], -1
	s_mov_b64 s[10:11], 0
	s_and_b64 vcc, exec, s[8:9]
	s_mov_b64 s[18:19], 0
	s_cbranch_vccz .LBB75_138
; %bb.117:                              ;   in Loop: Header=BB75_85 Depth=1
	s_andn2_b64 vcc, exec, s[20:21]
	s_cbranch_vccz .LBB75_139
.LBB75_118:                             ;   in Loop: Header=BB75_85 Depth=1
	s_andn2_b64 vcc, exec, s[18:19]
	s_mov_b64 s[18:19], s[12:13]
	s_cbranch_vccz .LBB75_140
.LBB75_119:                             ;   in Loop: Header=BB75_85 Depth=1
	s_andn2_b64 vcc, exec, s[10:11]
	v_mov_b64_e32 v[10:11], s[18:19]
	s_cbranch_vccnz .LBB75_121
.LBB75_120:                             ;   in Loop: Header=BB75_85 Depth=1
	v_and_b32_e32 v14, 1, v2
	v_cmp_eq_u64_e32 vcc, 0, v[14:15]
	s_nop 1
	v_cndmask_b32_e64 v11, -1, 0, vcc
	v_cndmask_b32_e64 v10, -1, 1, vcc
.LBB75_121:                             ;   in Loop: Header=BB75_85 Depth=1
	s_or_b64 exec, exec, s[0:1]
	v_cmp_lt_i64_e32 vcc, -1, v[4:5]
	s_and_saveexec_b64 s[0:1], vcc
	s_xor_b64 s[10:11], exec, s[0:1]
	s_cbranch_execz .LBB75_127
; %bb.122:                              ;   in Loop: Header=BB75_85 Depth=1
	v_cmp_ne_u64_e32 vcc, 0, v[4:5]
	v_mov_b64_e32 v[12:13], 1
	s_and_saveexec_b64 s[18:19], vcc
	s_cbranch_execz .LBB75_126
; %bb.123:                              ;   in Loop: Header=BB75_85 Depth=1
	v_mov_b64_e32 v[12:13], 1
	s_mov_b64 s[20:21], 0
	s_mov_b64 s[22:23], s[12:13]
.LBB75_124:                             ;   Parent Loop BB75_85 Depth=1
                                        ; =>  This Inner Loop Header: Depth=2
	v_and_b32_e32 v14, 1, v4
	v_mov_b32_e32 v18, s22
	v_mov_b32_e32 v19, s23
	v_lshrrev_b64 v[2:3], 1, v[4:5]
	s_mul_i32 s23, s22, s23
	s_mul_hi_u32 s24, s22, s22
	v_cmp_eq_u32_e64 s[0:1], 1, v14
	v_cmp_gt_u64_e32 vcc, 2, v[4:5]
	s_add_i32 s24, s24, s23
	v_cndmask_b32_e64 v14, 1, v18, s[0:1]
	v_mov_b64_e32 v[4:5], v[2:3]
	v_cndmask_b32_e64 v2, 0, v19, s[0:1]
	v_mul_lo_u32 v3, v14, v13
	s_add_i32 s23, s24, s23
	v_mul_lo_u32 v2, v2, v12
	v_mad_u64_u32 v[12:13], s[0:1], v14, v12, 0
	s_mul_i32 s22, s22, s22
	s_or_b64 s[20:21], vcc, s[20:21]
	v_add3_u32 v13, v13, v3, v2
	s_andn2_b64 exec, exec, s[20:21]
	s_cbranch_execnz .LBB75_124
; %bb.125:                              ;   in Loop: Header=BB75_85 Depth=1
	s_or_b64 exec, exec, s[20:21]
.LBB75_126:                             ;   in Loop: Header=BB75_85 Depth=1
	s_or_b64 exec, exec, s[18:19]
                                        ; implicit-def: $vgpr4_vgpr5
.LBB75_127:                             ;   in Loop: Header=BB75_85 Depth=1
	s_andn2_saveexec_b64 s[0:1], s[10:11]
	s_cbranch_execz .LBB75_84
; %bb.128:                              ;   in Loop: Header=BB75_85 Depth=1
	s_mov_b64 s[20:21], -1
	s_mov_b64 s[10:11], 0
	s_and_b64 vcc, exec, s[8:9]
	s_mov_b64 s[18:19], 0
	s_cbranch_vccz .LBB75_141
; %bb.129:                              ;   in Loop: Header=BB75_85 Depth=1
	s_andn2_b64 vcc, exec, s[20:21]
	s_cbranch_vccz .LBB75_142
.LBB75_130:                             ;   in Loop: Header=BB75_85 Depth=1
	s_andn2_b64 vcc, exec, s[18:19]
	s_mov_b64 s[18:19], s[12:13]
	s_cbranch_vccz .LBB75_143
.LBB75_131:                             ;   in Loop: Header=BB75_85 Depth=1
	s_andn2_b64 vcc, exec, s[10:11]
	v_mov_b64_e32 v[12:13], s[18:19]
	s_cbranch_vccnz .LBB75_84
	s_branch .LBB75_144
.LBB75_132:                             ;   in Loop: Header=BB75_85 Depth=1
	s_cmp_lg_u64 s[12:13], 1
	s_cselect_b64 s[18:19], -1, 0
	s_cbranch_execnz .LBB75_94
.LBB75_133:                             ;   in Loop: Header=BB75_85 Depth=1
	s_cmp_lg_u64 s[12:13], -1
	s_mov_b64 s[10:11], -1
	s_cselect_b64 s[18:19], -1, 0
	s_andn2_b64 vcc, exec, s[18:19]
	s_mov_b64 s[18:19], s[12:13]
	s_cbranch_vccnz .LBB75_95
.LBB75_134:                             ;   in Loop: Header=BB75_85 Depth=1
	s_mov_b64 s[18:19], 0
	v_mov_b64_e32 v[6:7], s[18:19]
	s_cbranch_execz .LBB75_96
	s_branch .LBB75_97
.LBB75_135:                             ;   in Loop: Header=BB75_85 Depth=1
	s_cmp_lg_u64 s[12:13], 1
	s_cselect_b64 s[18:19], -1, 0
	s_cbranch_execnz .LBB75_106
.LBB75_136:                             ;   in Loop: Header=BB75_85 Depth=1
	s_cmp_lg_u64 s[12:13], -1
	s_mov_b64 s[10:11], -1
	s_cselect_b64 s[18:19], -1, 0
	s_andn2_b64 vcc, exec, s[18:19]
	s_mov_b64 s[18:19], s[12:13]
	s_cbranch_vccnz .LBB75_107
.LBB75_137:                             ;   in Loop: Header=BB75_85 Depth=1
	s_mov_b64 s[18:19], 0
	v_mov_b64_e32 v[8:9], s[18:19]
	s_cbranch_execz .LBB75_108
	s_branch .LBB75_109
.LBB75_138:                             ;   in Loop: Header=BB75_85 Depth=1
	s_cmp_lg_u64 s[12:13], 1
	s_cselect_b64 s[18:19], -1, 0
	s_cbranch_execnz .LBB75_118
.LBB75_139:                             ;   in Loop: Header=BB75_85 Depth=1
	s_cmp_lg_u64 s[12:13], -1
	s_mov_b64 s[10:11], -1
	s_cselect_b64 s[18:19], -1, 0
	s_andn2_b64 vcc, exec, s[18:19]
	s_mov_b64 s[18:19], s[12:13]
	s_cbranch_vccnz .LBB75_119
.LBB75_140:                             ;   in Loop: Header=BB75_85 Depth=1
	s_mov_b64 s[18:19], 0
	v_mov_b64_e32 v[10:11], s[18:19]
	s_cbranch_execz .LBB75_120
	s_branch .LBB75_121
.LBB75_141:                             ;   in Loop: Header=BB75_85 Depth=1
	s_cmp_lg_u64 s[12:13], 1
	s_cselect_b64 s[18:19], -1, 0
	s_cbranch_execnz .LBB75_130
.LBB75_142:                             ;   in Loop: Header=BB75_85 Depth=1
	s_cmp_lg_u64 s[12:13], -1
	s_mov_b64 s[10:11], -1
	s_cselect_b64 s[18:19], -1, 0
	s_andn2_b64 vcc, exec, s[18:19]
	s_mov_b64 s[18:19], s[12:13]
	s_cbranch_vccnz .LBB75_131
.LBB75_143:                             ;   in Loop: Header=BB75_85 Depth=1
	s_mov_b64 s[18:19], 0
	v_mov_b64_e32 v[12:13], s[18:19]
	s_cbranch_execnz .LBB75_84
.LBB75_144:                             ;   in Loop: Header=BB75_85 Depth=1
	v_and_b32_e32 v14, 1, v4
	v_cmp_eq_u64_e32 vcc, 0, v[14:15]
	s_nop 1
	v_cndmask_b32_e64 v13, -1, 0, vcc
	v_cndmask_b32_e64 v12, -1, 1, vcc
	s_branch .LBB75_84
.LBB75_145:
	s_endpgm
	.section	.rodata,"a",@progbits
	.p2align	6, 0x0
	.amdhsa_kernel _ZN2at6native12_GLOBAL__N_125multi_tensor_apply_kernelINS1_18TensorListMetadataILi2EEENS1_21BinaryOpScalarFunctorIlLi2ELi1ELi1EEEJNS1_21reverse_power_functorIlEElEEEvT_T0_DpT1_
		.amdhsa_group_segment_fixed_size 0
		.amdhsa_private_segment_fixed_size 0
		.amdhsa_kernarg_size 3416
		.amdhsa_user_sgpr_count 2
		.amdhsa_user_sgpr_dispatch_ptr 0
		.amdhsa_user_sgpr_queue_ptr 0
		.amdhsa_user_sgpr_kernarg_segment_ptr 1
		.amdhsa_user_sgpr_dispatch_id 0
		.amdhsa_user_sgpr_kernarg_preload_length 0
		.amdhsa_user_sgpr_kernarg_preload_offset 0
		.amdhsa_user_sgpr_private_segment_size 0
		.amdhsa_uses_dynamic_stack 0
		.amdhsa_enable_private_segment 0
		.amdhsa_system_sgpr_workgroup_id_x 1
		.amdhsa_system_sgpr_workgroup_id_y 0
		.amdhsa_system_sgpr_workgroup_id_z 0
		.amdhsa_system_sgpr_workgroup_info 0
		.amdhsa_system_vgpr_workitem_id 0
		.amdhsa_next_free_vgpr 26
		.amdhsa_next_free_sgpr 45
		.amdhsa_accum_offset 28
		.amdhsa_reserve_vcc 1
		.amdhsa_float_round_mode_32 0
		.amdhsa_float_round_mode_16_64 0
		.amdhsa_float_denorm_mode_32 3
		.amdhsa_float_denorm_mode_16_64 3
		.amdhsa_dx10_clamp 1
		.amdhsa_ieee_mode 1
		.amdhsa_fp16_overflow 0
		.amdhsa_tg_split 0
		.amdhsa_exception_fp_ieee_invalid_op 0
		.amdhsa_exception_fp_denorm_src 0
		.amdhsa_exception_fp_ieee_div_zero 0
		.amdhsa_exception_fp_ieee_overflow 0
		.amdhsa_exception_fp_ieee_underflow 0
		.amdhsa_exception_fp_ieee_inexact 0
		.amdhsa_exception_int_div_zero 0
	.end_amdhsa_kernel
	.section	.text._ZN2at6native12_GLOBAL__N_125multi_tensor_apply_kernelINS1_18TensorListMetadataILi2EEENS1_21BinaryOpScalarFunctorIlLi2ELi1ELi1EEEJNS1_21reverse_power_functorIlEElEEEvT_T0_DpT1_,"axG",@progbits,_ZN2at6native12_GLOBAL__N_125multi_tensor_apply_kernelINS1_18TensorListMetadataILi2EEENS1_21BinaryOpScalarFunctorIlLi2ELi1ELi1EEEJNS1_21reverse_power_functorIlEElEEEvT_T0_DpT1_,comdat
.Lfunc_end75:
	.size	_ZN2at6native12_GLOBAL__N_125multi_tensor_apply_kernelINS1_18TensorListMetadataILi2EEENS1_21BinaryOpScalarFunctorIlLi2ELi1ELi1EEEJNS1_21reverse_power_functorIlEElEEEvT_T0_DpT1_, .Lfunc_end75-_ZN2at6native12_GLOBAL__N_125multi_tensor_apply_kernelINS1_18TensorListMetadataILi2EEENS1_21BinaryOpScalarFunctorIlLi2ELi1ELi1EEEJNS1_21reverse_power_functorIlEElEEEvT_T0_DpT1_
                                        ; -- End function
	.set _ZN2at6native12_GLOBAL__N_125multi_tensor_apply_kernelINS1_18TensorListMetadataILi2EEENS1_21BinaryOpScalarFunctorIlLi2ELi1ELi1EEEJNS1_21reverse_power_functorIlEElEEEvT_T0_DpT1_.num_vgpr, 26
	.set _ZN2at6native12_GLOBAL__N_125multi_tensor_apply_kernelINS1_18TensorListMetadataILi2EEENS1_21BinaryOpScalarFunctorIlLi2ELi1ELi1EEEJNS1_21reverse_power_functorIlEElEEEvT_T0_DpT1_.num_agpr, 0
	.set _ZN2at6native12_GLOBAL__N_125multi_tensor_apply_kernelINS1_18TensorListMetadataILi2EEENS1_21BinaryOpScalarFunctorIlLi2ELi1ELi1EEEJNS1_21reverse_power_functorIlEElEEEvT_T0_DpT1_.numbered_sgpr, 45
	.set _ZN2at6native12_GLOBAL__N_125multi_tensor_apply_kernelINS1_18TensorListMetadataILi2EEENS1_21BinaryOpScalarFunctorIlLi2ELi1ELi1EEEJNS1_21reverse_power_functorIlEElEEEvT_T0_DpT1_.num_named_barrier, 0
	.set _ZN2at6native12_GLOBAL__N_125multi_tensor_apply_kernelINS1_18TensorListMetadataILi2EEENS1_21BinaryOpScalarFunctorIlLi2ELi1ELi1EEEJNS1_21reverse_power_functorIlEElEEEvT_T0_DpT1_.private_seg_size, 0
	.set _ZN2at6native12_GLOBAL__N_125multi_tensor_apply_kernelINS1_18TensorListMetadataILi2EEENS1_21BinaryOpScalarFunctorIlLi2ELi1ELi1EEEJNS1_21reverse_power_functorIlEElEEEvT_T0_DpT1_.uses_vcc, 1
	.set _ZN2at6native12_GLOBAL__N_125multi_tensor_apply_kernelINS1_18TensorListMetadataILi2EEENS1_21BinaryOpScalarFunctorIlLi2ELi1ELi1EEEJNS1_21reverse_power_functorIlEElEEEvT_T0_DpT1_.uses_flat_scratch, 0
	.set _ZN2at6native12_GLOBAL__N_125multi_tensor_apply_kernelINS1_18TensorListMetadataILi2EEENS1_21BinaryOpScalarFunctorIlLi2ELi1ELi1EEEJNS1_21reverse_power_functorIlEElEEEvT_T0_DpT1_.has_dyn_sized_stack, 0
	.set _ZN2at6native12_GLOBAL__N_125multi_tensor_apply_kernelINS1_18TensorListMetadataILi2EEENS1_21BinaryOpScalarFunctorIlLi2ELi1ELi1EEEJNS1_21reverse_power_functorIlEElEEEvT_T0_DpT1_.has_recursion, 0
	.set _ZN2at6native12_GLOBAL__N_125multi_tensor_apply_kernelINS1_18TensorListMetadataILi2EEENS1_21BinaryOpScalarFunctorIlLi2ELi1ELi1EEEJNS1_21reverse_power_functorIlEElEEEvT_T0_DpT1_.has_indirect_call, 0
	.section	.AMDGPU.csdata,"",@progbits
; Kernel info:
; codeLenInByte = 3388
; TotalNumSgprs: 51
; NumVgprs: 26
; NumAgprs: 0
; TotalNumVgprs: 26
; ScratchSize: 0
; MemoryBound: 1
; FloatMode: 240
; IeeeMode: 1
; LDSByteSize: 0 bytes/workgroup (compile time only)
; SGPRBlocks: 6
; VGPRBlocks: 3
; NumSGPRsForWavesPerEU: 51
; NumVGPRsForWavesPerEU: 26
; AccumOffset: 28
; Occupancy: 8
; WaveLimiterHint : 0
; COMPUTE_PGM_RSRC2:SCRATCH_EN: 0
; COMPUTE_PGM_RSRC2:USER_SGPR: 2
; COMPUTE_PGM_RSRC2:TRAP_HANDLER: 0
; COMPUTE_PGM_RSRC2:TGID_X_EN: 1
; COMPUTE_PGM_RSRC2:TGID_Y_EN: 0
; COMPUTE_PGM_RSRC2:TGID_Z_EN: 0
; COMPUTE_PGM_RSRC2:TIDIG_COMP_CNT: 0
; COMPUTE_PGM_RSRC3_GFX90A:ACCUM_OFFSET: 6
; COMPUTE_PGM_RSRC3_GFX90A:TG_SPLIT: 0
	.section	.text._ZN2at6native12_GLOBAL__N_125multi_tensor_apply_kernelINS1_18TensorListMetadataILi2EEENS1_21BinaryOpScalarFunctorIsLi2ELi1ELi1EEEJNS1_21reverse_power_functorIsEEsEEEvT_T0_DpT1_,"axG",@progbits,_ZN2at6native12_GLOBAL__N_125multi_tensor_apply_kernelINS1_18TensorListMetadataILi2EEENS1_21BinaryOpScalarFunctorIsLi2ELi1ELi1EEEJNS1_21reverse_power_functorIsEEsEEEvT_T0_DpT1_,comdat
	.globl	_ZN2at6native12_GLOBAL__N_125multi_tensor_apply_kernelINS1_18TensorListMetadataILi2EEENS1_21BinaryOpScalarFunctorIsLi2ELi1ELi1EEEJNS1_21reverse_power_functorIsEEsEEEvT_T0_DpT1_ ; -- Begin function _ZN2at6native12_GLOBAL__N_125multi_tensor_apply_kernelINS1_18TensorListMetadataILi2EEENS1_21BinaryOpScalarFunctorIsLi2ELi1ELi1EEEJNS1_21reverse_power_functorIsEEsEEEvT_T0_DpT1_
	.p2align	8
	.type	_ZN2at6native12_GLOBAL__N_125multi_tensor_apply_kernelINS1_18TensorListMetadataILi2EEENS1_21BinaryOpScalarFunctorIsLi2ELi1ELi1EEEJNS1_21reverse_power_functorIsEEsEEEvT_T0_DpT1_,@function
_ZN2at6native12_GLOBAL__N_125multi_tensor_apply_kernelINS1_18TensorListMetadataILi2EEENS1_21BinaryOpScalarFunctorIsLi2ELi1ELi1EEEJNS1_21reverse_power_functorIsEEsEEEvT_T0_DpT1_: ; @_ZN2at6native12_GLOBAL__N_125multi_tensor_apply_kernelINS1_18TensorListMetadataILi2EEENS1_21BinaryOpScalarFunctorIsLi2ELi1ELi1EEEJNS1_21reverse_power_functorIsEEsEEEvT_T0_DpT1_
; %bb.0:
	v_mov_b32_e32 v1, s2
	global_load_ubyte v1, v1, s[0:1] offset:1536
	s_load_dword s4, s[0:1], 0xc48
	s_mul_hi_u32 s6, s2, 3
	s_mul_i32 s8, s2, 3
	s_mov_b32 s3, 0
	s_mov_b32 s5, s3
	s_waitcnt lgkmcnt(0)
	s_lshr_b32 s33, s4, 16
	s_add_u32 s2, s0, s2
	s_addc_u32 s4, s1, 0
	s_add_u32 s8, s2, s8
	s_addc_u32 s9, s4, s6
	s_load_dword s8, s[8:9], 0x740
	s_mov_b32 s7, s3
	s_sext_i32_i16 s38, s33
	s_waitcnt lgkmcnt(0)
	s_ashr_i32 s9, s8, 31
	s_lshl_b64 s[16:17], s[8:9], 17
	s_waitcnt vmcnt(0)
	v_readfirstlane_b32 s2, v1
	s_lshl_b32 s2, s2, 3
	s_load_dwordx2 s[10:11], s[0:1], s2 offset:0x0
	s_load_dwordx2 s[18:19], s[0:1], s2 offset:0x400
	;; [unrolled: 1-line block ×3, first 2 shown]
	s_waitcnt lgkmcnt(0)
	s_add_u32 s12, s10, s16
	s_addc_u32 s13, s11, s17
	s_and_b32 s2, s12, 7
	s_add_u32 s14, s14, s16
	s_addc_u32 s15, s15, s17
	s_and_b32 s4, s14, 7
	s_lshl_b64 s[8:9], s[8:9], 16
	s_sub_u32 s16, s18, s8
	s_subb_u32 s17, s19, s9
	s_and_b32 s6, s18, 3
	s_or_b64 s[4:5], s[4:5], s[6:7]
	s_or_b64 s[2:3], s[4:5], s[2:3]
	s_cmp_eq_u64 s[2:3], 0
	s_mov_b64 s[2:3], -1
	s_cbranch_scc1 .LBB76_81
; %bb.1:
	v_cmp_lt_i64_e64 s[2:3], s[16:17], 1
	s_and_b64 vcc, exec, s[2:3]
	s_cbranch_vccnz .LBB76_80
; %bb.2:
	v_mov_b64_e32 v[2:3], 0x10000
	v_cmp_lt_i64_e32 vcc, s[16:17], v[2:3]
	s_and_b64 s[2:3], vcc, exec
	s_load_dword s2, s[0:1], 0xc5c
	s_cselect_b32 s21, s17, 0
	s_cselect_b32 s20, s16, 0x10000
	v_cmp_lt_u64_e32 vcc, s[16:17], v[2:3]
	s_mov_b32 s19, 0
	s_waitcnt lgkmcnt(0)
	s_and_b32 s18, s2, 0xffff
	s_and_b64 s[2:3], vcc, exec
	v_mov_b32_e32 v1, 0
	s_mov_b32 s39, 0xffff
	s_cselect_b32 s23, s17, 0
	s_cselect_b32 s22, s16, 0x10000
	s_lshl_b32 s24, s18, 1
	s_mov_b32 s25, s19
	s_mul_i32 s26, s18, 3
	s_mov_b32 s27, s19
	s_lshl_b32 s40, s18, 2
	s_pack_ll_b32_b16 s41, 1, s33
	s_mov_b64 s[28:29], 0
	s_and_b32 s42, 0xffff, s33
	v_mov_b32_e32 v10, 1
	s_branch .LBB76_4
.LBB76_3:                               ;   in Loop: Header=BB76_4 Depth=1
	s_or_b64 exec, exec, s[2:3]
	s_add_u32 s28, s28, s40
	s_addc_u32 s29, s29, 0
	v_mov_b64_e32 v[2:3], s[20:21]
	v_cmp_ge_i64_e32 vcc, s[28:29], v[2:3]
	s_cbranch_vccnz .LBB76_80
.LBB76_4:                               ; =>This Loop Header: Depth=1
                                        ;     Child Loop BB76_15 Depth 2
                                        ;     Child Loop BB76_27 Depth 2
	;; [unrolled: 1-line block ×4, first 2 shown]
	v_lshl_add_u64 v[2:3], s[28:29], 0, v[0:1]
	v_cmp_gt_u64_e64 s[2:3], s[22:23], v[2:3]
	v_mov_b32_e32 v14, 0
	s_and_saveexec_b64 s[4:5], s[2:3]
	s_cbranch_execz .LBB76_6
; %bb.5:                                ;   in Loop: Header=BB76_4 Depth=1
	v_lshl_add_u64 v[4:5], v[2:3], 1, s[12:13]
	global_load_ushort v14, v[4:5], off
.LBB76_6:                               ;   in Loop: Header=BB76_4 Depth=1
	s_or_b64 exec, exec, s[4:5]
	v_lshl_add_u64 v[4:5], v[2:3], 0, s[18:19]
	v_cmp_gt_u64_e64 s[4:5], s[22:23], v[4:5]
	v_mov_b32_e32 v13, 0
	v_mov_b32_e32 v15, 0
	s_and_saveexec_b64 s[6:7], s[4:5]
	s_cbranch_execz .LBB76_8
; %bb.7:                                ;   in Loop: Header=BB76_4 Depth=1
	v_lshl_add_u64 v[6:7], v[4:5], 1, s[12:13]
	global_load_ushort v15, v[6:7], off
.LBB76_8:                               ;   in Loop: Header=BB76_4 Depth=1
	s_or_b64 exec, exec, s[6:7]
	v_lshl_add_u64 v[6:7], v[2:3], 0, s[24:25]
	v_cmp_gt_u64_e64 s[6:7], s[22:23], v[6:7]
	s_and_saveexec_b64 s[8:9], s[6:7]
	s_cbranch_execz .LBB76_10
; %bb.9:                                ;   in Loop: Header=BB76_4 Depth=1
	v_lshl_add_u64 v[8:9], v[6:7], 1, s[12:13]
	global_load_ushort v13, v[8:9], off
.LBB76_10:                              ;   in Loop: Header=BB76_4 Depth=1
	s_or_b64 exec, exec, s[8:9]
	v_lshl_add_u64 v[8:9], v[2:3], 0, s[26:27]
	v_cmp_gt_u64_e64 s[8:9], s[22:23], v[8:9]
	v_mov_b32_e32 v11, 0
	s_and_saveexec_b64 s[10:11], s[8:9]
	s_cbranch_execz .LBB76_12
; %bb.11:                               ;   in Loop: Header=BB76_4 Depth=1
	v_lshl_add_u64 v[16:17], v[8:9], 1, s[12:13]
	global_load_ushort v11, v[16:17], off
.LBB76_12:                              ;   in Loop: Header=BB76_4 Depth=1
	s_or_b64 exec, exec, s[10:11]
	s_waitcnt vmcnt(0)
	v_cmp_lt_i16_e32 vcc, -1, v14
                                        ; implicit-def: $vgpr12
	s_and_saveexec_b64 s[10:11], vcc
	s_xor_b64 s[30:31], exec, s[10:11]
	s_cbranch_execz .LBB76_18
; %bb.13:                               ;   in Loop: Header=BB76_4 Depth=1
	v_cmp_ne_u16_e32 vcc, 0, v14
	v_mov_b32_e32 v12, 1
	s_and_saveexec_b64 s[34:35], vcc
	s_cbranch_execz .LBB76_17
; %bb.14:                               ;   in Loop: Header=BB76_4 Depth=1
	s_mov_b64 s[36:37], 0
	v_mov_b32_e32 v12, s41
.LBB76_15:                              ;   Parent Loop BB76_4 Depth=1
                                        ; =>  This Inner Loop Header: Depth=2
	v_and_b32_e32 v16, 1, v14
	v_cmp_gt_i16_e32 vcc, 2, v14
	v_cmp_eq_u32_e64 s[10:11], 1, v16
	s_or_b64 s[36:37], vcc, s[36:37]
	s_mov_b64 vcc, s[10:11]
	v_cndmask_b32_sdwa v16, v10, v12, vcc dst_sel:DWORD dst_unused:UNUSED_PAD src0_sel:DWORD src1_sel:WORD_1
	v_lshrrev_b16_e32 v17, 1, v14
	v_bfi_b32 v16, s39, v16, v12
	v_mov_b32_e32 v14, v17
	v_pk_mul_lo_u16 v12, v16, v12
	s_andn2_b64 exec, exec, s[36:37]
	s_cbranch_execnz .LBB76_15
; %bb.16:                               ;   in Loop: Header=BB76_4 Depth=1
	s_or_b64 exec, exec, s[36:37]
.LBB76_17:                              ;   in Loop: Header=BB76_4 Depth=1
	s_or_b64 exec, exec, s[34:35]
                                        ; implicit-def: $vgpr14
.LBB76_18:                              ;   in Loop: Header=BB76_4 Depth=1
	s_andn2_saveexec_b64 s[10:11], s[30:31]
	s_cbranch_execz .LBB76_24
; %bb.19:                               ;   in Loop: Header=BB76_4 Depth=1
	s_mov_b64 s[36:37], -1
	s_mov_b64 s[30:31], 0
	s_cmp_lt_i32 s38, 1
	s_mov_b64 s[34:35], 0
	s_cbranch_scc0 .LBB76_68
; %bb.20:                               ;   in Loop: Header=BB76_4 Depth=1
	s_andn2_b64 vcc, exec, s[36:37]
	s_cbranch_vccz .LBB76_69
.LBB76_21:                              ;   in Loop: Header=BB76_4 Depth=1
	s_andn2_b64 vcc, exec, s[34:35]
	s_mov_b32 s34, s33
	s_cbranch_vccz .LBB76_70
.LBB76_22:                              ;   in Loop: Header=BB76_4 Depth=1
	s_andn2_b64 vcc, exec, s[30:31]
	v_mov_b32_e32 v12, s34
	s_cbranch_vccnz .LBB76_24
.LBB76_23:                              ;   in Loop: Header=BB76_4 Depth=1
	v_and_b32_e32 v12, 1, v14
	v_cmp_eq_u16_e32 vcc, 0, v12
	s_nop 1
	v_cndmask_b32_e64 v12, -1, 1, vcc
.LBB76_24:                              ;   in Loop: Header=BB76_4 Depth=1
	s_or_b64 exec, exec, s[10:11]
	v_cmp_lt_i16_e32 vcc, -1, v15
                                        ; implicit-def: $vgpr14
	s_and_saveexec_b64 s[10:11], vcc
	s_xor_b64 s[30:31], exec, s[10:11]
	s_cbranch_execz .LBB76_30
; %bb.25:                               ;   in Loop: Header=BB76_4 Depth=1
	v_cmp_ne_u16_e32 vcc, 0, v15
	v_mov_b32_e32 v14, 1
	s_and_saveexec_b64 s[34:35], vcc
	s_cbranch_execz .LBB76_29
; %bb.26:                               ;   in Loop: Header=BB76_4 Depth=1
	s_mov_b64 s[36:37], 0
	v_mov_b32_e32 v14, s41
.LBB76_27:                              ;   Parent Loop BB76_4 Depth=1
                                        ; =>  This Inner Loop Header: Depth=2
	v_and_b32_e32 v16, 1, v15
	v_cmp_gt_i16_e32 vcc, 2, v15
	v_cmp_eq_u32_e64 s[10:11], 1, v16
	s_or_b64 s[36:37], vcc, s[36:37]
	s_mov_b64 vcc, s[10:11]
	v_cndmask_b32_sdwa v16, v10, v14, vcc dst_sel:DWORD dst_unused:UNUSED_PAD src0_sel:DWORD src1_sel:WORD_1
	v_lshrrev_b16_e32 v17, 1, v15
	v_bfi_b32 v16, s39, v16, v14
	v_mov_b32_e32 v15, v17
	v_pk_mul_lo_u16 v14, v16, v14
	s_andn2_b64 exec, exec, s[36:37]
	s_cbranch_execnz .LBB76_27
; %bb.28:                               ;   in Loop: Header=BB76_4 Depth=1
	s_or_b64 exec, exec, s[36:37]
.LBB76_29:                              ;   in Loop: Header=BB76_4 Depth=1
	s_or_b64 exec, exec, s[34:35]
                                        ; implicit-def: $vgpr15
.LBB76_30:                              ;   in Loop: Header=BB76_4 Depth=1
	s_andn2_saveexec_b64 s[10:11], s[30:31]
	s_cbranch_execz .LBB76_36
; %bb.31:                               ;   in Loop: Header=BB76_4 Depth=1
	s_mov_b64 s[36:37], -1
	s_mov_b64 s[30:31], 0
	s_cmp_lt_i32 s38, 1
	s_mov_b64 s[34:35], 0
	s_cbranch_scc0 .LBB76_71
; %bb.32:                               ;   in Loop: Header=BB76_4 Depth=1
	s_andn2_b64 vcc, exec, s[36:37]
	s_cbranch_vccz .LBB76_72
.LBB76_33:                              ;   in Loop: Header=BB76_4 Depth=1
	s_andn2_b64 vcc, exec, s[34:35]
	s_mov_b32 s34, s33
	s_cbranch_vccz .LBB76_73
.LBB76_34:                              ;   in Loop: Header=BB76_4 Depth=1
	s_andn2_b64 vcc, exec, s[30:31]
	v_mov_b32_e32 v14, s34
	s_cbranch_vccnz .LBB76_36
.LBB76_35:                              ;   in Loop: Header=BB76_4 Depth=1
	v_and_b32_e32 v14, 1, v15
	v_cmp_eq_u16_e32 vcc, 0, v14
	s_nop 1
	v_cndmask_b32_e64 v14, -1, 1, vcc
.LBB76_36:                              ;   in Loop: Header=BB76_4 Depth=1
	s_or_b64 exec, exec, s[10:11]
	v_cmp_lt_i16_e32 vcc, -1, v13
                                        ; implicit-def: $vgpr15
	s_and_saveexec_b64 s[10:11], vcc
	s_xor_b64 s[30:31], exec, s[10:11]
	s_cbranch_execz .LBB76_42
; %bb.37:                               ;   in Loop: Header=BB76_4 Depth=1
	v_cmp_ne_u16_e32 vcc, 0, v13
	v_mov_b32_e32 v15, 1
	s_and_saveexec_b64 s[34:35], vcc
	s_cbranch_execz .LBB76_41
; %bb.38:                               ;   in Loop: Header=BB76_4 Depth=1
	s_mov_b64 s[36:37], 0
	v_mov_b32_e32 v15, s41
.LBB76_39:                              ;   Parent Loop BB76_4 Depth=1
                                        ; =>  This Inner Loop Header: Depth=2
	v_and_b32_e32 v16, 1, v13
	v_cmp_gt_i16_e32 vcc, 2, v13
	v_cmp_eq_u32_e64 s[10:11], 1, v16
	s_or_b64 s[36:37], vcc, s[36:37]
	s_mov_b64 vcc, s[10:11]
	v_cndmask_b32_sdwa v16, v10, v15, vcc dst_sel:DWORD dst_unused:UNUSED_PAD src0_sel:DWORD src1_sel:WORD_1
	v_lshrrev_b16_e32 v17, 1, v13
	v_bfi_b32 v16, s39, v16, v15
	v_mov_b32_e32 v13, v17
	v_pk_mul_lo_u16 v15, v16, v15
	s_andn2_b64 exec, exec, s[36:37]
	s_cbranch_execnz .LBB76_39
; %bb.40:                               ;   in Loop: Header=BB76_4 Depth=1
	s_or_b64 exec, exec, s[36:37]
.LBB76_41:                              ;   in Loop: Header=BB76_4 Depth=1
	s_or_b64 exec, exec, s[34:35]
                                        ; implicit-def: $vgpr13
.LBB76_42:                              ;   in Loop: Header=BB76_4 Depth=1
	s_andn2_saveexec_b64 s[10:11], s[30:31]
	s_cbranch_execz .LBB76_48
; %bb.43:                               ;   in Loop: Header=BB76_4 Depth=1
	s_mov_b64 s[36:37], -1
	s_mov_b64 s[30:31], 0
	s_cmp_lt_i32 s38, 1
	s_mov_b64 s[34:35], 0
	s_cbranch_scc0 .LBB76_74
; %bb.44:                               ;   in Loop: Header=BB76_4 Depth=1
	s_andn2_b64 vcc, exec, s[36:37]
	s_cbranch_vccz .LBB76_75
.LBB76_45:                              ;   in Loop: Header=BB76_4 Depth=1
	s_andn2_b64 vcc, exec, s[34:35]
	s_mov_b32 s34, s33
	s_cbranch_vccz .LBB76_76
.LBB76_46:                              ;   in Loop: Header=BB76_4 Depth=1
	s_andn2_b64 vcc, exec, s[30:31]
	v_mov_b32_e32 v15, s34
	s_cbranch_vccnz .LBB76_48
.LBB76_47:                              ;   in Loop: Header=BB76_4 Depth=1
	v_and_b32_e32 v13, 1, v13
	v_cmp_eq_u16_e32 vcc, 0, v13
	s_nop 1
	v_cndmask_b32_e64 v15, -1, 1, vcc
.LBB76_48:                              ;   in Loop: Header=BB76_4 Depth=1
	s_or_b64 exec, exec, s[10:11]
	v_cmp_lt_i16_e32 vcc, -1, v11
                                        ; implicit-def: $vgpr13
	s_and_saveexec_b64 s[10:11], vcc
	s_xor_b64 s[30:31], exec, s[10:11]
	s_cbranch_execz .LBB76_54
; %bb.49:                               ;   in Loop: Header=BB76_4 Depth=1
	v_cmp_ne_u16_e32 vcc, 0, v11
	v_mov_b32_e32 v13, 1
	s_and_saveexec_b64 s[34:35], vcc
	s_cbranch_execz .LBB76_53
; %bb.50:                               ;   in Loop: Header=BB76_4 Depth=1
	s_mov_b64 s[36:37], 0
	v_mov_b32_e32 v13, s41
.LBB76_51:                              ;   Parent Loop BB76_4 Depth=1
                                        ; =>  This Inner Loop Header: Depth=2
	v_and_b32_e32 v16, 1, v11
	v_cmp_gt_i16_e32 vcc, 2, v11
	v_cmp_eq_u32_e64 s[10:11], 1, v16
	s_or_b64 s[36:37], vcc, s[36:37]
	s_mov_b64 vcc, s[10:11]
	v_cndmask_b32_sdwa v16, v10, v13, vcc dst_sel:DWORD dst_unused:UNUSED_PAD src0_sel:DWORD src1_sel:WORD_1
	v_lshrrev_b16_e32 v17, 1, v11
	v_bfi_b32 v16, s39, v16, v13
	v_mov_b32_e32 v11, v17
	v_pk_mul_lo_u16 v13, v16, v13
	s_andn2_b64 exec, exec, s[36:37]
	s_cbranch_execnz .LBB76_51
; %bb.52:                               ;   in Loop: Header=BB76_4 Depth=1
	s_or_b64 exec, exec, s[36:37]
.LBB76_53:                              ;   in Loop: Header=BB76_4 Depth=1
	s_or_b64 exec, exec, s[34:35]
                                        ; implicit-def: $vgpr11
.LBB76_54:                              ;   in Loop: Header=BB76_4 Depth=1
	s_andn2_saveexec_b64 s[10:11], s[30:31]
	s_cbranch_execz .LBB76_60
; %bb.55:                               ;   in Loop: Header=BB76_4 Depth=1
	s_mov_b64 s[36:37], -1
	s_mov_b64 s[30:31], 0
	s_cmp_lt_i32 s38, 1
	s_mov_b64 s[34:35], 0
	s_cbranch_scc0 .LBB76_77
; %bb.56:                               ;   in Loop: Header=BB76_4 Depth=1
	s_andn2_b64 vcc, exec, s[36:37]
	s_cbranch_vccz .LBB76_78
.LBB76_57:                              ;   in Loop: Header=BB76_4 Depth=1
	s_andn2_b64 vcc, exec, s[34:35]
	s_mov_b32 s34, s33
	s_cbranch_vccz .LBB76_79
.LBB76_58:                              ;   in Loop: Header=BB76_4 Depth=1
	s_andn2_b64 vcc, exec, s[30:31]
	v_mov_b32_e32 v13, s34
	s_cbranch_vccnz .LBB76_60
.LBB76_59:                              ;   in Loop: Header=BB76_4 Depth=1
	v_and_b32_e32 v11, 1, v11
	v_cmp_eq_u16_e32 vcc, 0, v11
	s_nop 1
	v_cndmask_b32_e64 v13, -1, 1, vcc
.LBB76_60:                              ;   in Loop: Header=BB76_4 Depth=1
	s_or_b64 exec, exec, s[10:11]
	s_and_saveexec_b64 s[10:11], s[2:3]
	s_xor_b64 s[2:3], exec, s[10:11]
	s_cbranch_execnz .LBB76_64
; %bb.61:                               ;   in Loop: Header=BB76_4 Depth=1
	s_or_b64 exec, exec, s[2:3]
	s_and_saveexec_b64 s[2:3], s[4:5]
	s_cbranch_execnz .LBB76_65
.LBB76_62:                              ;   in Loop: Header=BB76_4 Depth=1
	s_or_b64 exec, exec, s[2:3]
	s_and_saveexec_b64 s[2:3], s[6:7]
	s_cbranch_execnz .LBB76_66
.LBB76_63:                              ;   in Loop: Header=BB76_4 Depth=1
	s_or_b64 exec, exec, s[2:3]
	s_and_saveexec_b64 s[2:3], s[8:9]
	s_cbranch_execz .LBB76_3
	s_branch .LBB76_67
.LBB76_64:                              ;   in Loop: Header=BB76_4 Depth=1
	v_lshl_add_u64 v[2:3], v[2:3], 1, s[14:15]
	global_store_short v[2:3], v12, off
	s_or_b64 exec, exec, s[2:3]
	s_and_saveexec_b64 s[2:3], s[4:5]
	s_cbranch_execz .LBB76_62
.LBB76_65:                              ;   in Loop: Header=BB76_4 Depth=1
	v_lshl_add_u64 v[2:3], v[4:5], 1, s[14:15]
	global_store_short v[2:3], v14, off
	s_or_b64 exec, exec, s[2:3]
	s_and_saveexec_b64 s[2:3], s[6:7]
	s_cbranch_execz .LBB76_63
.LBB76_66:                              ;   in Loop: Header=BB76_4 Depth=1
	v_lshl_add_u64 v[2:3], v[6:7], 1, s[14:15]
	global_store_short v[2:3], v15, off
	s_or_b64 exec, exec, s[2:3]
	s_and_saveexec_b64 s[2:3], s[8:9]
	s_cbranch_execz .LBB76_3
.LBB76_67:                              ;   in Loop: Header=BB76_4 Depth=1
	v_lshl_add_u64 v[2:3], v[8:9], 1, s[14:15]
	global_store_short v[2:3], v13, off
	s_branch .LBB76_3
.LBB76_68:                              ;   in Loop: Header=BB76_4 Depth=1
	s_cmp_lg_u32 s42, 1
	s_cselect_b64 s[34:35], -1, 0
	s_cbranch_execnz .LBB76_21
.LBB76_69:                              ;   in Loop: Header=BB76_4 Depth=1
	s_cmpk_lg_u32 s42, 0xffff
	s_mov_b64 s[30:31], -1
	s_cselect_b64 s[34:35], -1, 0
	s_andn2_b64 vcc, exec, s[34:35]
	s_mov_b32 s34, s33
	s_cbranch_vccnz .LBB76_22
.LBB76_70:                              ;   in Loop: Header=BB76_4 Depth=1
	s_mov_b32 s34, 0
	v_mov_b32_e32 v12, s34
	s_cbranch_execz .LBB76_23
	s_branch .LBB76_24
.LBB76_71:                              ;   in Loop: Header=BB76_4 Depth=1
	s_cmp_lg_u32 s42, 1
	s_cselect_b64 s[34:35], -1, 0
	s_cbranch_execnz .LBB76_33
.LBB76_72:                              ;   in Loop: Header=BB76_4 Depth=1
	s_cmpk_lg_u32 s42, 0xffff
	s_mov_b64 s[30:31], -1
	s_cselect_b64 s[34:35], -1, 0
	s_andn2_b64 vcc, exec, s[34:35]
	s_mov_b32 s34, s33
	s_cbranch_vccnz .LBB76_34
.LBB76_73:                              ;   in Loop: Header=BB76_4 Depth=1
	s_mov_b32 s34, 0
	v_mov_b32_e32 v14, s34
	s_cbranch_execz .LBB76_35
	s_branch .LBB76_36
.LBB76_74:                              ;   in Loop: Header=BB76_4 Depth=1
	s_cmp_lg_u32 s42, 1
	s_cselect_b64 s[34:35], -1, 0
	s_cbranch_execnz .LBB76_45
.LBB76_75:                              ;   in Loop: Header=BB76_4 Depth=1
	s_cmpk_lg_u32 s42, 0xffff
	s_mov_b64 s[30:31], -1
	s_cselect_b64 s[34:35], -1, 0
	s_andn2_b64 vcc, exec, s[34:35]
	s_mov_b32 s34, s33
	s_cbranch_vccnz .LBB76_46
.LBB76_76:                              ;   in Loop: Header=BB76_4 Depth=1
	s_mov_b32 s34, 0
	v_mov_b32_e32 v15, s34
	s_cbranch_execz .LBB76_47
	s_branch .LBB76_48
.LBB76_77:                              ;   in Loop: Header=BB76_4 Depth=1
	s_cmp_lg_u32 s42, 1
	s_cselect_b64 s[34:35], -1, 0
	s_cbranch_execnz .LBB76_57
.LBB76_78:                              ;   in Loop: Header=BB76_4 Depth=1
	s_cmpk_lg_u32 s42, 0xffff
	s_mov_b64 s[30:31], -1
	s_cselect_b64 s[34:35], -1, 0
	s_andn2_b64 vcc, exec, s[34:35]
	s_mov_b32 s34, s33
	s_cbranch_vccnz .LBB76_58
.LBB76_79:                              ;   in Loop: Header=BB76_4 Depth=1
	s_mov_b32 s34, 0
	v_mov_b32_e32 v13, s34
	s_cbranch_execz .LBB76_59
	s_branch .LBB76_60
.LBB76_80:
	s_mov_b64 s[2:3], 0
.LBB76_81:
	s_andn2_b64 vcc, exec, s[2:3]
	s_cbranch_vccnz .LBB76_145
; %bb.82:
	v_mov_b64_e32 v[4:5], 0x10000
	v_cmp_lt_i64_e32 vcc, s[16:17], v[4:5]
	s_and_b64 s[4:5], vcc, exec
	v_mov_b32_e32 v3, 0
	s_cselect_b32 s5, s17, 0
	s_cselect_b32 s4, s16, 0x10000
	v_lshlrev_b32_e32 v2, 2, v0
	s_mov_b32 s3, 0
	v_cmp_gt_i64_e32 vcc, s[4:5], v[2:3]
	s_and_saveexec_b64 s[6:7], vcc
	s_cbranch_execz .LBB76_145
; %bb.83:
	s_load_dword s2, s[0:1], 0xc5c
	s_mov_b32 s0, -1
	v_mov_b32_e32 v1, v3
	s_mov_b32 s1, 0xffff
	s_mov_b64 s[6:7], 0
	s_waitcnt lgkmcnt(0)
	s_and_b32 s2, s2, 0xffff
	s_and_b32 s20, 0xffff, s33
	s_mov_b32 s21, 0x5040100
	s_branch .LBB76_85
.LBB76_84:                              ;   in Loop: Header=BB76_85 Depth=1
	s_or_b64 exec, exec, s[8:9]
	v_perm_b32 v2, v5, v4, s21
	v_lshl_add_u64 v[4:5], v[0:1], 3, s[14:15]
	v_lshl_add_u64 v[0:1], v[0:1], 0, s[2:3]
	v_perm_b32 v3, v8, v6, s21
	v_lshlrev_b64 v[6:7], 2, v[0:1]
	v_cmp_le_i64_e32 vcc, s[4:5], v[6:7]
	s_or_b64 s[6:7], vcc, s[6:7]
	global_store_dwordx2 v[4:5], v[2:3], off
	s_andn2_b64 exec, exec, s[6:7]
	s_cbranch_execz .LBB76_145
.LBB76_85:                              ; =>This Loop Header: Depth=1
                                        ;     Child Loop BB76_88 Depth 2
                                        ;     Child Loop BB76_100 Depth 2
	;; [unrolled: 1-line block ×4, first 2 shown]
	v_lshl_add_u64 v[2:3], v[0:1], 3, s[12:13]
	global_load_dwordx2 v[2:3], v[2:3], off
                                        ; implicit-def: $vgpr4
	s_waitcnt vmcnt(0)
	v_cmp_lt_i16_e32 vcc, -1, v2
	s_and_saveexec_b64 s[8:9], vcc
	s_xor_b64 s[8:9], exec, s[8:9]
	s_cbranch_execz .LBB76_91
; %bb.86:                               ;   in Loop: Header=BB76_85 Depth=1
	v_cmp_ne_u16_e32 vcc, 0, v2
	v_mov_b32_e32 v4, 1
	s_and_saveexec_b64 s[10:11], vcc
	s_cbranch_execz .LBB76_90
; %bb.87:                               ;   in Loop: Header=BB76_85 Depth=1
	v_mov_b32_e32 v4, 1
	s_mov_b64 s[16:17], 0
	v_mov_b32_e32 v5, v2
	s_mov_b32 s18, s33
.LBB76_88:                              ;   Parent Loop BB76_85 Depth=1
                                        ; =>  This Inner Loop Header: Depth=2
	v_and_b32_e32 v6, 1, v5
	v_mov_b32_e32 v7, s18
	v_cmp_eq_u32_e32 vcc, 1, v6
	s_mul_i32 s18, s18, s18
	s_nop 0
	v_cndmask_b32_e32 v6, 1, v7, vcc
	v_mul_lo_u16_e32 v4, v6, v4
	v_lshrrev_b16_e32 v6, 1, v5
	v_cmp_gt_i16_e32 vcc, 2, v5
	s_or_b64 s[16:17], vcc, s[16:17]
	v_mov_b32_e32 v5, v6
	s_andn2_b64 exec, exec, s[16:17]
	s_cbranch_execnz .LBB76_88
; %bb.89:                               ;   in Loop: Header=BB76_85 Depth=1
	s_or_b64 exec, exec, s[16:17]
.LBB76_90:                              ;   in Loop: Header=BB76_85 Depth=1
	s_or_b64 exec, exec, s[10:11]
.LBB76_91:                              ;   in Loop: Header=BB76_85 Depth=1
	s_andn2_saveexec_b64 s[8:9], s[8:9]
	s_cbranch_execz .LBB76_97
; %bb.92:                               ;   in Loop: Header=BB76_85 Depth=1
	s_mov_b64 s[18:19], -1
	s_mov_b64 s[10:11], 0
	s_cmp_lt_i32 s38, 1
	s_mov_b64 s[16:17], 0
	s_cbranch_scc0 .LBB76_132
; %bb.93:                               ;   in Loop: Header=BB76_85 Depth=1
	s_andn2_b64 vcc, exec, s[18:19]
	s_cbranch_vccz .LBB76_133
.LBB76_94:                              ;   in Loop: Header=BB76_85 Depth=1
	s_andn2_b64 vcc, exec, s[16:17]
	s_mov_b32 s16, s33
	s_cbranch_vccz .LBB76_134
.LBB76_95:                              ;   in Loop: Header=BB76_85 Depth=1
	s_andn2_b64 vcc, exec, s[10:11]
	v_mov_b32_e32 v4, s16
	s_cbranch_vccnz .LBB76_97
.LBB76_96:                              ;   in Loop: Header=BB76_85 Depth=1
	v_and_b32_e32 v4, 1, v2
	v_cmp_eq_u16_e32 vcc, 0, v4
	s_nop 1
	v_cndmask_b32_e64 v4, -1, 1, vcc
.LBB76_97:                              ;   in Loop: Header=BB76_85 Depth=1
	s_or_b64 exec, exec, s[8:9]
	v_lshrrev_b32_e32 v6, 16, v2
	v_cmp_lt_i16_e32 vcc, -1, v6
                                        ; implicit-def: $vgpr5
	s_and_saveexec_b64 s[8:9], vcc
	s_xor_b64 s[8:9], exec, s[8:9]
	s_cbranch_execz .LBB76_103
; %bb.98:                               ;   in Loop: Header=BB76_85 Depth=1
	v_cmp_ne_u16_e32 vcc, 0, v6
	v_mov_b32_e32 v5, 1
	s_and_saveexec_b64 s[10:11], vcc
	s_cbranch_execz .LBB76_102
; %bb.99:                               ;   in Loop: Header=BB76_85 Depth=1
	v_mov_b32_e32 v5, 1
	s_mov_b64 s[16:17], 0
	s_mov_b32 s18, s33
.LBB76_100:                             ;   Parent Loop BB76_85 Depth=1
                                        ; =>  This Inner Loop Header: Depth=2
	v_and_b32_e32 v7, 1, v6
	v_mov_b32_e32 v8, s18
	v_cmp_eq_u32_e32 vcc, 1, v7
	s_mul_i32 s18, s18, s18
	s_nop 0
	v_cndmask_b32_e32 v7, 1, v8, vcc
	v_mul_lo_u16_e32 v5, v7, v5
	v_lshrrev_b16_e32 v7, 1, v6
	v_cmp_gt_i16_e32 vcc, 2, v6
	s_or_b64 s[16:17], vcc, s[16:17]
	v_mov_b32_e32 v6, v7
	s_andn2_b64 exec, exec, s[16:17]
	s_cbranch_execnz .LBB76_100
; %bb.101:                              ;   in Loop: Header=BB76_85 Depth=1
	s_or_b64 exec, exec, s[16:17]
.LBB76_102:                             ;   in Loop: Header=BB76_85 Depth=1
	s_or_b64 exec, exec, s[10:11]
                                        ; implicit-def: $vgpr6
.LBB76_103:                             ;   in Loop: Header=BB76_85 Depth=1
	s_andn2_saveexec_b64 s[8:9], s[8:9]
	s_cbranch_execz .LBB76_109
; %bb.104:                              ;   in Loop: Header=BB76_85 Depth=1
	s_mov_b64 s[18:19], -1
	s_mov_b64 s[10:11], 0
	s_cmp_lt_i32 s38, 1
	s_mov_b64 s[16:17], 0
	s_cbranch_scc0 .LBB76_135
; %bb.105:                              ;   in Loop: Header=BB76_85 Depth=1
	s_andn2_b64 vcc, exec, s[18:19]
	s_cbranch_vccz .LBB76_136
.LBB76_106:                             ;   in Loop: Header=BB76_85 Depth=1
	s_andn2_b64 vcc, exec, s[16:17]
	s_mov_b32 s16, s33
	s_cbranch_vccz .LBB76_137
.LBB76_107:                             ;   in Loop: Header=BB76_85 Depth=1
	s_andn2_b64 vcc, exec, s[10:11]
	v_mov_b32_e32 v5, s16
	s_cbranch_vccnz .LBB76_109
.LBB76_108:                             ;   in Loop: Header=BB76_85 Depth=1
	v_and_b32_e32 v5, 1, v6
	v_cmp_eq_u16_e32 vcc, 0, v5
	s_nop 1
	v_cndmask_b32_e64 v5, -1, 1, vcc
.LBB76_109:                             ;   in Loop: Header=BB76_85 Depth=1
	s_or_b64 exec, exec, s[8:9]
	v_cmp_lt_i16_e32 vcc, -1, v3
                                        ; implicit-def: $vgpr6
	s_and_saveexec_b64 s[8:9], vcc
	s_xor_b64 s[8:9], exec, s[8:9]
	s_cbranch_execz .LBB76_115
; %bb.110:                              ;   in Loop: Header=BB76_85 Depth=1
	v_cmp_ne_u16_e32 vcc, 0, v3
	v_mov_b32_e32 v6, 1
	s_and_saveexec_b64 s[10:11], vcc
	s_cbranch_execz .LBB76_114
; %bb.111:                              ;   in Loop: Header=BB76_85 Depth=1
	v_mov_b32_e32 v6, 1
	s_mov_b64 s[16:17], 0
	v_mov_b32_e32 v7, v3
	s_mov_b32 s18, s33
.LBB76_112:                             ;   Parent Loop BB76_85 Depth=1
                                        ; =>  This Inner Loop Header: Depth=2
	v_and_b32_e32 v8, 1, v7
	v_mov_b32_e32 v9, s18
	v_cmp_eq_u32_e32 vcc, 1, v8
	s_mul_i32 s18, s18, s18
	s_nop 0
	v_cndmask_b32_e32 v8, 1, v9, vcc
	v_mul_lo_u16_e32 v6, v8, v6
	v_lshrrev_b16_e32 v8, 1, v7
	v_cmp_gt_i16_e32 vcc, 2, v7
	s_or_b64 s[16:17], vcc, s[16:17]
	v_mov_b32_e32 v7, v8
	s_andn2_b64 exec, exec, s[16:17]
	s_cbranch_execnz .LBB76_112
; %bb.113:                              ;   in Loop: Header=BB76_85 Depth=1
	s_or_b64 exec, exec, s[16:17]
.LBB76_114:                             ;   in Loop: Header=BB76_85 Depth=1
	s_or_b64 exec, exec, s[10:11]
.LBB76_115:                             ;   in Loop: Header=BB76_85 Depth=1
	s_andn2_saveexec_b64 s[8:9], s[8:9]
	s_cbranch_execz .LBB76_121
; %bb.116:                              ;   in Loop: Header=BB76_85 Depth=1
	s_mov_b64 s[18:19], -1
	s_mov_b64 s[10:11], 0
	s_cmp_lt_i32 s38, 1
	s_mov_b64 s[16:17], 0
	s_cbranch_scc0 .LBB76_138
; %bb.117:                              ;   in Loop: Header=BB76_85 Depth=1
	s_andn2_b64 vcc, exec, s[18:19]
	s_cbranch_vccz .LBB76_139
.LBB76_118:                             ;   in Loop: Header=BB76_85 Depth=1
	s_andn2_b64 vcc, exec, s[16:17]
	s_mov_b32 s16, s33
	s_cbranch_vccz .LBB76_140
.LBB76_119:                             ;   in Loop: Header=BB76_85 Depth=1
	s_andn2_b64 vcc, exec, s[10:11]
	v_mov_b32_e32 v6, s16
	s_cbranch_vccnz .LBB76_121
.LBB76_120:                             ;   in Loop: Header=BB76_85 Depth=1
	v_and_b32_e32 v6, 1, v3
	v_cmp_eq_u16_e32 vcc, 0, v6
	s_nop 1
	v_cndmask_b32_e64 v6, -1, 1, vcc
.LBB76_121:                             ;   in Loop: Header=BB76_85 Depth=1
	s_or_b64 exec, exec, s[8:9]
	v_lshrrev_b32_e32 v7, 16, v3
	v_cmp_lt_i64_e32 vcc, -1, v[2:3]
                                        ; implicit-def: $vgpr8
	s_and_saveexec_b64 s[8:9], vcc
	s_xor_b64 s[8:9], exec, s[8:9]
	s_cbranch_execz .LBB76_127
; %bb.122:                              ;   in Loop: Header=BB76_85 Depth=1
	v_cmp_lt_u64_e32 vcc, s[0:1], v[2:3]
	v_mov_b32_e32 v8, 1
	s_and_saveexec_b64 s[10:11], vcc
	s_cbranch_execz .LBB76_126
; %bb.123:                              ;   in Loop: Header=BB76_85 Depth=1
	v_mov_b32_e32 v8, 1
	s_mov_b64 s[16:17], 0
	s_mov_b32 s18, s33
.LBB76_124:                             ;   Parent Loop BB76_85 Depth=1
                                        ; =>  This Inner Loop Header: Depth=2
	v_and_b32_e32 v2, 1, v7
	v_mov_b32_e32 v3, s18
	v_cmp_eq_u32_e32 vcc, 1, v2
	s_mul_i32 s18, s18, s18
	s_nop 0
	v_cndmask_b32_e32 v2, 1, v3, vcc
	v_mul_lo_u16_e32 v8, v2, v8
	v_lshrrev_b16_e32 v2, 1, v7
	v_cmp_gt_i16_e32 vcc, 2, v7
	s_or_b64 s[16:17], vcc, s[16:17]
	v_mov_b32_e32 v7, v2
	s_andn2_b64 exec, exec, s[16:17]
	s_cbranch_execnz .LBB76_124
; %bb.125:                              ;   in Loop: Header=BB76_85 Depth=1
	s_or_b64 exec, exec, s[16:17]
.LBB76_126:                             ;   in Loop: Header=BB76_85 Depth=1
	s_or_b64 exec, exec, s[10:11]
                                        ; implicit-def: $vgpr7
.LBB76_127:                             ;   in Loop: Header=BB76_85 Depth=1
	s_andn2_saveexec_b64 s[8:9], s[8:9]
	s_cbranch_execz .LBB76_84
; %bb.128:                              ;   in Loop: Header=BB76_85 Depth=1
	s_mov_b64 s[18:19], -1
	s_mov_b64 s[10:11], 0
	s_cmp_lt_i32 s38, 1
	s_mov_b64 s[16:17], 0
	s_cbranch_scc0 .LBB76_141
; %bb.129:                              ;   in Loop: Header=BB76_85 Depth=1
	s_andn2_b64 vcc, exec, s[18:19]
	s_cbranch_vccz .LBB76_142
.LBB76_130:                             ;   in Loop: Header=BB76_85 Depth=1
	s_andn2_b64 vcc, exec, s[16:17]
	s_mov_b32 s16, s33
	s_cbranch_vccz .LBB76_143
.LBB76_131:                             ;   in Loop: Header=BB76_85 Depth=1
	s_andn2_b64 vcc, exec, s[10:11]
	v_mov_b32_e32 v8, s16
	s_cbranch_vccnz .LBB76_84
	s_branch .LBB76_144
.LBB76_132:                             ;   in Loop: Header=BB76_85 Depth=1
	s_cmp_lg_u32 s20, 1
	s_cselect_b64 s[16:17], -1, 0
	s_cbranch_execnz .LBB76_94
.LBB76_133:                             ;   in Loop: Header=BB76_85 Depth=1
	s_cmpk_lg_u32 s20, 0xffff
	s_mov_b64 s[10:11], -1
	s_cselect_b64 s[16:17], -1, 0
	s_andn2_b64 vcc, exec, s[16:17]
	s_mov_b32 s16, s33
	s_cbranch_vccnz .LBB76_95
.LBB76_134:                             ;   in Loop: Header=BB76_85 Depth=1
	s_mov_b32 s16, 0
	v_mov_b32_e32 v4, s16
	s_cbranch_execz .LBB76_96
	s_branch .LBB76_97
.LBB76_135:                             ;   in Loop: Header=BB76_85 Depth=1
	s_cmp_lg_u32 s20, 1
	s_cselect_b64 s[16:17], -1, 0
	s_cbranch_execnz .LBB76_106
.LBB76_136:                             ;   in Loop: Header=BB76_85 Depth=1
	s_cmpk_lg_u32 s20, 0xffff
	s_mov_b64 s[10:11], -1
	s_cselect_b64 s[16:17], -1, 0
	s_andn2_b64 vcc, exec, s[16:17]
	s_mov_b32 s16, s33
	s_cbranch_vccnz .LBB76_107
.LBB76_137:                             ;   in Loop: Header=BB76_85 Depth=1
	s_mov_b32 s16, 0
	v_mov_b32_e32 v5, s16
	s_cbranch_execz .LBB76_108
	s_branch .LBB76_109
.LBB76_138:                             ;   in Loop: Header=BB76_85 Depth=1
	s_cmp_lg_u32 s20, 1
	s_cselect_b64 s[16:17], -1, 0
	s_cbranch_execnz .LBB76_118
.LBB76_139:                             ;   in Loop: Header=BB76_85 Depth=1
	s_cmpk_lg_u32 s20, 0xffff
	s_mov_b64 s[10:11], -1
	s_cselect_b64 s[16:17], -1, 0
	s_andn2_b64 vcc, exec, s[16:17]
	s_mov_b32 s16, s33
	s_cbranch_vccnz .LBB76_119
.LBB76_140:                             ;   in Loop: Header=BB76_85 Depth=1
	s_mov_b32 s16, 0
	v_mov_b32_e32 v6, s16
	s_cbranch_execz .LBB76_120
	s_branch .LBB76_121
.LBB76_141:                             ;   in Loop: Header=BB76_85 Depth=1
	s_cmp_lg_u32 s20, 1
	s_cselect_b64 s[16:17], -1, 0
	s_cbranch_execnz .LBB76_130
.LBB76_142:                             ;   in Loop: Header=BB76_85 Depth=1
	s_cmpk_lg_u32 s20, 0xffff
	s_mov_b64 s[10:11], -1
	s_cselect_b64 s[16:17], -1, 0
	s_andn2_b64 vcc, exec, s[16:17]
	s_mov_b32 s16, s33
	s_cbranch_vccnz .LBB76_131
.LBB76_143:                             ;   in Loop: Header=BB76_85 Depth=1
	s_mov_b32 s16, 0
	v_mov_b32_e32 v8, s16
	s_cbranch_execnz .LBB76_84
.LBB76_144:                             ;   in Loop: Header=BB76_85 Depth=1
	v_and_b32_e32 v2, 1, v7
	v_cmp_eq_u16_e32 vcc, 0, v2
	s_nop 1
	v_cndmask_b32_e64 v8, -1, 1, vcc
	s_branch .LBB76_84
.LBB76_145:
	s_endpgm
	.section	.rodata,"a",@progbits
	.p2align	6, 0x0
	.amdhsa_kernel _ZN2at6native12_GLOBAL__N_125multi_tensor_apply_kernelINS1_18TensorListMetadataILi2EEENS1_21BinaryOpScalarFunctorIsLi2ELi1ELi1EEEJNS1_21reverse_power_functorIsEEsEEEvT_T0_DpT1_
		.amdhsa_group_segment_fixed_size 0
		.amdhsa_private_segment_fixed_size 0
		.amdhsa_kernarg_size 3408
		.amdhsa_user_sgpr_count 2
		.amdhsa_user_sgpr_dispatch_ptr 0
		.amdhsa_user_sgpr_queue_ptr 0
		.amdhsa_user_sgpr_kernarg_segment_ptr 1
		.amdhsa_user_sgpr_dispatch_id 0
		.amdhsa_user_sgpr_kernarg_preload_length 0
		.amdhsa_user_sgpr_kernarg_preload_offset 0
		.amdhsa_user_sgpr_private_segment_size 0
		.amdhsa_uses_dynamic_stack 0
		.amdhsa_enable_private_segment 0
		.amdhsa_system_sgpr_workgroup_id_x 1
		.amdhsa_system_sgpr_workgroup_id_y 0
		.amdhsa_system_sgpr_workgroup_id_z 0
		.amdhsa_system_sgpr_workgroup_info 0
		.amdhsa_system_vgpr_workitem_id 0
		.amdhsa_next_free_vgpr 18
		.amdhsa_next_free_sgpr 43
		.amdhsa_accum_offset 20
		.amdhsa_reserve_vcc 1
		.amdhsa_float_round_mode_32 0
		.amdhsa_float_round_mode_16_64 0
		.amdhsa_float_denorm_mode_32 3
		.amdhsa_float_denorm_mode_16_64 3
		.amdhsa_dx10_clamp 1
		.amdhsa_ieee_mode 1
		.amdhsa_fp16_overflow 0
		.amdhsa_tg_split 0
		.amdhsa_exception_fp_ieee_invalid_op 0
		.amdhsa_exception_fp_denorm_src 0
		.amdhsa_exception_fp_ieee_div_zero 0
		.amdhsa_exception_fp_ieee_overflow 0
		.amdhsa_exception_fp_ieee_underflow 0
		.amdhsa_exception_fp_ieee_inexact 0
		.amdhsa_exception_int_div_zero 0
	.end_amdhsa_kernel
	.section	.text._ZN2at6native12_GLOBAL__N_125multi_tensor_apply_kernelINS1_18TensorListMetadataILi2EEENS1_21BinaryOpScalarFunctorIsLi2ELi1ELi1EEEJNS1_21reverse_power_functorIsEEsEEEvT_T0_DpT1_,"axG",@progbits,_ZN2at6native12_GLOBAL__N_125multi_tensor_apply_kernelINS1_18TensorListMetadataILi2EEENS1_21BinaryOpScalarFunctorIsLi2ELi1ELi1EEEJNS1_21reverse_power_functorIsEEsEEEvT_T0_DpT1_,comdat
.Lfunc_end76:
	.size	_ZN2at6native12_GLOBAL__N_125multi_tensor_apply_kernelINS1_18TensorListMetadataILi2EEENS1_21BinaryOpScalarFunctorIsLi2ELi1ELi1EEEJNS1_21reverse_power_functorIsEEsEEEvT_T0_DpT1_, .Lfunc_end76-_ZN2at6native12_GLOBAL__N_125multi_tensor_apply_kernelINS1_18TensorListMetadataILi2EEENS1_21BinaryOpScalarFunctorIsLi2ELi1ELi1EEEJNS1_21reverse_power_functorIsEEsEEEvT_T0_DpT1_
                                        ; -- End function
	.set _ZN2at6native12_GLOBAL__N_125multi_tensor_apply_kernelINS1_18TensorListMetadataILi2EEENS1_21BinaryOpScalarFunctorIsLi2ELi1ELi1EEEJNS1_21reverse_power_functorIsEEsEEEvT_T0_DpT1_.num_vgpr, 18
	.set _ZN2at6native12_GLOBAL__N_125multi_tensor_apply_kernelINS1_18TensorListMetadataILi2EEENS1_21BinaryOpScalarFunctorIsLi2ELi1ELi1EEEJNS1_21reverse_power_functorIsEEsEEEvT_T0_DpT1_.num_agpr, 0
	.set _ZN2at6native12_GLOBAL__N_125multi_tensor_apply_kernelINS1_18TensorListMetadataILi2EEENS1_21BinaryOpScalarFunctorIsLi2ELi1ELi1EEEJNS1_21reverse_power_functorIsEEsEEEvT_T0_DpT1_.numbered_sgpr, 43
	.set _ZN2at6native12_GLOBAL__N_125multi_tensor_apply_kernelINS1_18TensorListMetadataILi2EEENS1_21BinaryOpScalarFunctorIsLi2ELi1ELi1EEEJNS1_21reverse_power_functorIsEEsEEEvT_T0_DpT1_.num_named_barrier, 0
	.set _ZN2at6native12_GLOBAL__N_125multi_tensor_apply_kernelINS1_18TensorListMetadataILi2EEENS1_21BinaryOpScalarFunctorIsLi2ELi1ELi1EEEJNS1_21reverse_power_functorIsEEsEEEvT_T0_DpT1_.private_seg_size, 0
	.set _ZN2at6native12_GLOBAL__N_125multi_tensor_apply_kernelINS1_18TensorListMetadataILi2EEENS1_21BinaryOpScalarFunctorIsLi2ELi1ELi1EEEJNS1_21reverse_power_functorIsEEsEEEvT_T0_DpT1_.uses_vcc, 1
	.set _ZN2at6native12_GLOBAL__N_125multi_tensor_apply_kernelINS1_18TensorListMetadataILi2EEENS1_21BinaryOpScalarFunctorIsLi2ELi1ELi1EEEJNS1_21reverse_power_functorIsEEsEEEvT_T0_DpT1_.uses_flat_scratch, 0
	.set _ZN2at6native12_GLOBAL__N_125multi_tensor_apply_kernelINS1_18TensorListMetadataILi2EEENS1_21BinaryOpScalarFunctorIsLi2ELi1ELi1EEEJNS1_21reverse_power_functorIsEEsEEEvT_T0_DpT1_.has_dyn_sized_stack, 0
	.set _ZN2at6native12_GLOBAL__N_125multi_tensor_apply_kernelINS1_18TensorListMetadataILi2EEENS1_21BinaryOpScalarFunctorIsLi2ELi1ELi1EEEJNS1_21reverse_power_functorIsEEsEEEvT_T0_DpT1_.has_recursion, 0
	.set _ZN2at6native12_GLOBAL__N_125multi_tensor_apply_kernelINS1_18TensorListMetadataILi2EEENS1_21BinaryOpScalarFunctorIsLi2ELi1ELi1EEEJNS1_21reverse_power_functorIsEEsEEEvT_T0_DpT1_.has_indirect_call, 0
	.section	.AMDGPU.csdata,"",@progbits
; Kernel info:
; codeLenInByte = 2892
; TotalNumSgprs: 49
; NumVgprs: 18
; NumAgprs: 0
; TotalNumVgprs: 18
; ScratchSize: 0
; MemoryBound: 0
; FloatMode: 240
; IeeeMode: 1
; LDSByteSize: 0 bytes/workgroup (compile time only)
; SGPRBlocks: 6
; VGPRBlocks: 2
; NumSGPRsForWavesPerEU: 49
; NumVGPRsForWavesPerEU: 18
; AccumOffset: 20
; Occupancy: 8
; WaveLimiterHint : 0
; COMPUTE_PGM_RSRC2:SCRATCH_EN: 0
; COMPUTE_PGM_RSRC2:USER_SGPR: 2
; COMPUTE_PGM_RSRC2:TRAP_HANDLER: 0
; COMPUTE_PGM_RSRC2:TGID_X_EN: 1
; COMPUTE_PGM_RSRC2:TGID_Y_EN: 0
; COMPUTE_PGM_RSRC2:TGID_Z_EN: 0
; COMPUTE_PGM_RSRC2:TIDIG_COMP_CNT: 0
; COMPUTE_PGM_RSRC3_GFX90A:ACCUM_OFFSET: 4
; COMPUTE_PGM_RSRC3_GFX90A:TG_SPLIT: 0
	.section	.text._ZN2at6native12_GLOBAL__N_125multi_tensor_apply_kernelINS1_18TensorListMetadataILi2EEENS1_21BinaryOpScalarFunctorIdLi2ELi1ELi1EEEJNS1_21reverse_power_functorIdEEdEEEvT_T0_DpT1_,"axG",@progbits,_ZN2at6native12_GLOBAL__N_125multi_tensor_apply_kernelINS1_18TensorListMetadataILi2EEENS1_21BinaryOpScalarFunctorIdLi2ELi1ELi1EEEJNS1_21reverse_power_functorIdEEdEEEvT_T0_DpT1_,comdat
	.globl	_ZN2at6native12_GLOBAL__N_125multi_tensor_apply_kernelINS1_18TensorListMetadataILi2EEENS1_21BinaryOpScalarFunctorIdLi2ELi1ELi1EEEJNS1_21reverse_power_functorIdEEdEEEvT_T0_DpT1_ ; -- Begin function _ZN2at6native12_GLOBAL__N_125multi_tensor_apply_kernelINS1_18TensorListMetadataILi2EEENS1_21BinaryOpScalarFunctorIdLi2ELi1ELi1EEEJNS1_21reverse_power_functorIdEEdEEEvT_T0_DpT1_
	.p2align	8
	.type	_ZN2at6native12_GLOBAL__N_125multi_tensor_apply_kernelINS1_18TensorListMetadataILi2EEENS1_21BinaryOpScalarFunctorIdLi2ELi1ELi1EEEJNS1_21reverse_power_functorIdEEdEEEvT_T0_DpT1_,@function
_ZN2at6native12_GLOBAL__N_125multi_tensor_apply_kernelINS1_18TensorListMetadataILi2EEENS1_21BinaryOpScalarFunctorIdLi2ELi1ELi1EEEJNS1_21reverse_power_functorIdEEdEEEvT_T0_DpT1_: ; @_ZN2at6native12_GLOBAL__N_125multi_tensor_apply_kernelINS1_18TensorListMetadataILi2EEENS1_21BinaryOpScalarFunctorIdLi2ELi1ELi1EEEJNS1_21reverse_power_functorIdEEdEEEvT_T0_DpT1_
; %bb.0:
	v_mov_b32_e32 v1, s2
	global_load_ubyte v1, v1, s[0:1] offset:1536
	s_add_u32 s4, s0, s2
	s_mul_hi_u32 s7, s2, 3
	s_mul_i32 s2, s2, 3
	s_addc_u32 s8, s1, 0
	s_add_u32 s6, s4, s2
	s_addc_u32 s7, s8, s7
	s_load_dword s6, s[6:7], 0x740
	s_mov_b32 s3, 0
	s_mov_b32 s5, s3
	s_waitcnt lgkmcnt(0)
	s_ashr_i32 s7, s6, 31
	s_lshl_b64 s[20:21], s[6:7], 19
	s_lshl_b64 s[6:7], s[6:7], 16
	s_waitcnt vmcnt(0)
	v_readfirstlane_b32 s2, v1
	s_lshl_b32 s2, s2, 3
	s_load_dwordx2 s[18:19], s[0:1], 0xc50
	s_load_dwordx2 s[8:9], s[0:1], s2 offset:0x400
	s_load_dwordx2 s[22:23], s[0:1], s2 offset:0x0
	;; [unrolled: 1-line block ×3, first 2 shown]
	s_waitcnt lgkmcnt(0)
	s_add_u32 s2, s22, s20
	s_and_b32 s4, s24, 31
	s_and_b32 s2, s2, 31
	s_sub_u32 s28, s8, s6
	s_subb_u32 s29, s9, s7
	s_and_b32 s6, s8, 3
	s_mov_b32 s7, s3
	s_or_b64 s[4:5], s[4:5], s[6:7]
	s_or_b64 s[2:3], s[4:5], s[2:3]
	s_cmp_eq_u64 s[2:3], 0
	s_mov_b64 s[2:3], -1
	s_cbranch_scc1 .LBB77_21
; %bb.1:
	v_cmp_lt_i64_e64 s[2:3], s[28:29], 1
	s_and_b64 vcc, exec, s[2:3]
	s_cbranch_vccnz .LBB77_20
; %bb.2:
	s_load_dword s4, s[0:1], 0xc64
	v_mov_b64_e32 v[2:3], 0x10000
	v_cmp_lt_i64_e32 vcc, s[28:29], v[2:3]
	s_and_b64 s[2:3], vcc, exec
	s_mov_b32 s5, 0
	s_cselect_b32 s27, s29, 0
	s_cselect_b32 s26, s28, 0x10000
	s_waitcnt lgkmcnt(0)
	s_and_b32 s4, s4, 0xffff
	v_cmp_lt_u64_e32 vcc, s[28:29], v[2:3]
	v_mov_b32_e32 v1, 0
	s_and_b64 s[2:3], vcc, exec
	s_mul_i32 s8, s4, 3
	s_mov_b32 s9, s5
	s_cselect_b32 s31, s29, 0
	s_cselect_b32 s30, s28, 0x10000
	v_lshlrev_b32_e32 v12, 3, v0
	v_mov_b32_e32 v13, v1
	v_lshl_add_u64 v[10:11], s[8:9], 0, v[0:1]
	s_lshl_b32 s8, s4, 4
	v_lshl_add_u64 v[18:19], v[0:1], 0, s[4:5]
	s_lshl_b32 s6, s4, 1
	s_mov_b32 s7, s5
	v_mad_u64_u32 v[8:9], s[10:11], s4, 24, v[12:13]
	v_lshl_add_u64 v[14:15], s[8:9], 0, v[12:13]
	v_lshlrev_b32_e32 v22, 3, v18
	v_mov_b32_e32 v23, v1
	s_mov_b32 s38, 0x55555555
	s_mov_b32 s40, 0xfefa39ef
	;; [unrolled: 1-line block ×10, first 2 shown]
	v_cmp_eq_f64_e64 s[2:3], s[18:19], 1.0
	s_lshl_b32 s33, s4, 2
	v_lshl_add_u64 v[2:3], s[22:23], 0, v[12:13]
	s_lshl_b32 s34, s4, 5
	s_mov_b32 s35, s5
	v_lshl_add_u64 v[4:5], s[24:25], 0, v[12:13]
	v_lshl_add_u64 v[6:7], s[22:23], 0, v[8:9]
	;; [unrolled: 1-line block ×8, first 2 shown]
	s_mov_b64 s[36:37], 0
	s_movk_i32 s72, 0x204
	s_brev_b32 s73, -2
	s_mov_b32 s39, 0x3fe55555
	s_mov_b32 s41, 0x3fe62e42
	s_mov_b32 s43, 0x3c7abc9e
	s_mov_b32 s45, 0x3fbdee67
	s_mov_b32 s47, 0x3c8543b0
	s_mov_b32 s49, 0xbfe55555
	s_mov_b32 s51, 0x3ff71547
	s_mov_b32 s53, 0xbfe62e42
	s_mov_b32 s55, 0xbc7abc9e
	s_mov_b32 s57, 0x3e5ade15
	s_mov_b32 s59, 0x40900000
	s_mov_b32 s61, 0xc090cc00
	s_mov_b32 s63, 0x7ff00000
	v_mov_b32_e32 v70, 0x3ff00000
	v_mov_b32_e32 v71, 0x7ff00000
	;; [unrolled: 1-line block ×37, first 2 shown]
	s_branch .LBB77_4
.LBB77_3:                               ;   in Loop: Header=BB77_4 Depth=1
	s_or_b64 exec, exec, s[10:11]
	s_add_u32 s36, s36, s33
	s_addc_u32 s37, s37, 0
	s_waitcnt vmcnt(0)
	v_mov_b64_e32 v[58:59], s[26:27]
	v_cmp_lt_i64_e32 vcc, s[36:37], v[58:59]
	v_lshl_add_u64 v[2:3], v[2:3], 0, s[34:35]
	v_lshl_add_u64 v[4:5], v[4:5], 0, s[34:35]
	;; [unrolled: 1-line block ×8, first 2 shown]
	s_cbranch_vccz .LBB77_20
.LBB77_4:                               ; =>This Inner Loop Header: Depth=1
	v_lshl_add_u64 v[58:59], v[0:1], 0, s[36:37]
	v_cmp_gt_u64_e64 s[8:9], s[30:31], v[58:59]
	v_mov_b64_e32 v[62:63], 0
	v_mov_b64_e32 v[66:67], 0
	s_and_saveexec_b64 s[4:5], s[8:9]
	s_cbranch_execz .LBB77_6
; %bb.5:                                ;   in Loop: Header=BB77_4 Depth=1
	v_lshl_add_u64 v[58:59], v[2:3], 0, s[20:21]
	global_load_dwordx2 v[66:67], v[58:59], off
.LBB77_6:                               ;   in Loop: Header=BB77_4 Depth=1
	s_or_b64 exec, exec, s[4:5]
	v_lshl_add_u64 v[58:59], v[18:19], 0, s[36:37]
	v_cmp_gt_u64_e64 s[6:7], s[30:31], v[58:59]
	s_and_saveexec_b64 s[4:5], s[6:7]
	s_cbranch_execz .LBB77_8
; %bb.7:                                ;   in Loop: Header=BB77_4 Depth=1
	v_lshl_add_u64 v[58:59], v[20:21], 0, s[20:21]
	global_load_dwordx2 v[62:63], v[58:59], off
.LBB77_8:                               ;   in Loop: Header=BB77_4 Depth=1
	s_or_b64 exec, exec, s[4:5]
	v_lshl_add_u64 v[58:59], v[16:17], 0, s[36:37]
	v_cmp_gt_u64_e64 s[4:5], s[30:31], v[58:59]
	v_mov_b64_e32 v[58:59], 0
	v_mov_b64_e32 v[60:61], 0
	s_and_saveexec_b64 s[10:11], s[4:5]
	s_cbranch_execz .LBB77_10
; %bb.9:                                ;   in Loop: Header=BB77_4 Depth=1
	v_lshl_add_u64 v[60:61], v[12:13], 0, s[20:21]
	global_load_dwordx2 v[60:61], v[60:61], off
.LBB77_10:                              ;   in Loop: Header=BB77_4 Depth=1
	s_or_b64 exec, exec, s[10:11]
	v_lshl_add_u64 v[64:65], v[10:11], 0, s[36:37]
	v_cmp_gt_u64_e32 vcc, s[30:31], v[64:65]
	s_and_saveexec_b64 s[10:11], vcc
	s_cbranch_execnz .LBB77_15
; %bb.11:                               ;   in Loop: Header=BB77_4 Depth=1
	s_or_b64 exec, exec, s[10:11]
	s_and_saveexec_b64 s[64:65], s[8:9]
	s_cbranch_execnz .LBB77_16
.LBB77_12:                              ;   in Loop: Header=BB77_4 Depth=1
	s_or_b64 exec, exec, s[64:65]
	s_and_saveexec_b64 s[14:15], s[6:7]
	s_cbranch_execnz .LBB77_17
.LBB77_13:                              ;   in Loop: Header=BB77_4 Depth=1
	s_or_b64 exec, exec, s[14:15]
	s_and_saveexec_b64 s[12:13], s[4:5]
	s_cbranch_execnz .LBB77_18
.LBB77_14:                              ;   in Loop: Header=BB77_4 Depth=1
	s_or_b64 exec, exec, s[12:13]
	s_and_saveexec_b64 s[10:11], vcc
	s_cbranch_execz .LBB77_3
	s_branch .LBB77_19
.LBB77_15:                              ;   in Loop: Header=BB77_4 Depth=1
	v_lshl_add_u64 v[58:59], v[6:7], 0, s[20:21]
	global_load_dwordx2 v[58:59], v[58:59], off
	s_or_b64 exec, exec, s[10:11]
	s_and_saveexec_b64 s[64:65], s[8:9]
	s_cbranch_execz .LBB77_12
.LBB77_16:                              ;   in Loop: Header=BB77_4 Depth=1
	s_waitcnt vmcnt(0)
	v_cndmask_b32_e64 v67, v67, v70, s[2:3]
	v_cndmask_b32_e64 v66, v66, 0, s[2:3]
	v_mov_b32_e32 v68, s19
	v_cmp_neq_f64_e64 s[8:9], 0, v[66:67]
	v_cmp_gt_f64_e64 s[10:11], 0, v[66:67]
	v_trunc_f64_e32 v[74:75], v[66:67]
	v_cndmask_b32_e64 v69, v70, v68, s[8:9]
	v_mov_b32_e32 v68, s18
	v_cndmask_b32_e64 v68, 0, v68, s[8:9]
	v_cmp_eq_f64_e64 s[8:9], 0, v[68:69]
	s_xor_b64 s[10:11], s[10:11], s[8:9]
	v_cndmask_b32_e64 v73, v71, 0, s[10:11]
	v_cmp_eq_f64_e64 s[10:11], v[74:75], v[66:67]
	v_mul_f64 v[74:75], v[66:67], 0.5
	v_trunc_f64_e32 v[76:77], v[74:75]
	v_cmp_neq_f64_e64 s[12:13], v[76:77], v[74:75]
	s_and_b64 s[12:13], s[10:11], s[12:13]
	v_frexp_exp_i32_f64_e32 v76, v[68:69]
	v_cndmask_b32_e64 v74, 0, v69, s[12:13]
	v_bfi_b32 v73, s73, v73, v74
	v_frexp_mant_f64_e64 v[74:75], |v[68:69]|
	v_cmp_gt_f64_e64 s[14:15], s[38:39], v[74:75]
	v_mov_b64_e32 v[92:93], v[24:25]
	v_mov_b64_e32 v[94:95], v[26:27]
	v_cndmask_b32_e64 v80, 0, 1, s[14:15]
	v_ldexp_f64 v[74:75], v[74:75], v80
	v_add_f64 v[80:81], v[74:75], 1.0
	v_rcp_f64_e32 v[82:83], v[80:81]
	v_subbrev_co_u32_e64 v76, s[16:17], 0, v76, s[14:15]
	v_cvt_f64_i32_e32 v[76:77], v76
	v_fma_f64 v[86:87], -v[80:81], v[82:83], 1.0
	v_mul_f64 v[78:79], v[76:77], s[40:41]
	v_fmac_f64_e32 v[82:83], v[86:87], v[82:83]
	v_fma_f64 v[84:85], v[76:77], s[40:41], -v[78:79]
	v_fma_f64 v[86:87], -v[80:81], v[82:83], 1.0
	v_fmac_f64_e32 v[84:85], s[42:43], v[76:77]
	v_add_f64 v[76:77], v[74:75], -1.0
	v_fmac_f64_e32 v[82:83], v[86:87], v[82:83]
	v_mul_f64 v[86:87], v[76:77], v[82:83]
	v_mul_f64 v[88:89], v[80:81], v[86:87]
	v_add_f64 v[90:91], v[80:81], -1.0
	v_add_f64 v[74:75], v[74:75], -v[90:91]
	v_fma_f64 v[80:81], v[86:87], v[80:81], -v[88:89]
	v_fmac_f64_e32 v[80:81], v[86:87], v[74:75]
	v_add_f64 v[74:75], v[88:89], v[80:81]
	v_add_f64 v[90:91], v[76:77], -v[74:75]
	v_add_f64 v[88:89], v[74:75], -v[88:89]
	;; [unrolled: 1-line block ×5, first 2 shown]
	v_add_f64 v[74:75], v[80:81], v[74:75]
	v_add_f64 v[74:75], v[90:91], v[74:75]
	v_mul_f64 v[74:75], v[82:83], v[74:75]
	v_add_f64 v[76:77], v[86:87], v[74:75]
	v_add_f64 v[82:83], v[76:77], -v[86:87]
	v_mul_f64 v[80:81], v[76:77], v[76:77]
	v_add_f64 v[74:75], v[74:75], -v[82:83]
	v_add_f64 v[82:83], v[74:75], v[74:75]
	v_fma_f64 v[86:87], v[76:77], v[76:77], -v[80:81]
	v_fmac_f64_e32 v[86:87], v[76:77], v[82:83]
	v_add_f64 v[82:83], v[80:81], v[86:87]
	v_fmac_f64_e32 v[92:93], s[44:45], v[82:83]
	v_fmac_f64_e32 v[94:95], v[82:83], v[92:93]
	v_mov_b64_e32 v[92:93], v[28:29]
	v_fmac_f64_e32 v[92:93], v[82:83], v[94:95]
	v_mov_b64_e32 v[94:95], v[30:31]
	v_fmac_f64_e32 v[94:95], v[82:83], v[92:93]
	v_mov_b64_e32 v[92:93], v[32:33]
	v_fmac_f64_e32 v[92:93], v[82:83], v[94:95]
	v_mov_b64_e32 v[94:95], v[34:35]
	v_fmac_f64_e32 v[94:95], v[82:83], v[92:93]
	v_mov_b64_e32 v[92:93], v[36:37]
	v_fmac_f64_e32 v[92:93], v[82:83], v[94:95]
	v_mov_b64_e32 v[94:95], v[38:39]
	v_mul_f64 v[88:89], v[76:77], v[82:83]
	v_add_f64 v[80:81], v[82:83], -v[80:81]
	v_fmac_f64_e32 v[94:95], v[82:83], v[92:93]
	v_add_f64 v[80:81], v[86:87], -v[80:81]
	v_fma_f64 v[86:87], v[82:83], v[76:77], -v[88:89]
	v_mul_f64 v[92:93], v[82:83], v[94:95]
	v_fmac_f64_e32 v[86:87], v[82:83], v[74:75]
	v_fma_f64 v[82:83], v[82:83], v[94:95], -v[92:93]
	v_fmac_f64_e32 v[82:83], v[80:81], v[94:95]
	v_fmac_f64_e32 v[86:87], v[80:81], v[76:77]
	v_add_f64 v[80:81], v[92:93], v[82:83]
	v_add_f64 v[94:95], v[80:81], s[38:39]
	v_add_f64 v[92:93], v[80:81], -v[92:93]
	s_mov_b32 s48, s38
	v_add_f64 v[82:83], v[82:83], -v[92:93]
	v_add_f64 v[92:93], v[94:95], s[48:49]
	v_add_f64 v[82:83], v[82:83], s[46:47]
	v_add_f64 v[80:81], v[80:81], -v[92:93]
	v_add_f64 v[80:81], v[82:83], v[80:81]
	v_add_f64 v[90:91], v[88:89], v[86:87]
	;; [unrolled: 1-line block ×3, first 2 shown]
	v_cmp_neq_f64_e64 s[68:69], v[66:67], |v[66:67]|
	v_cmp_lt_f64_e64 s[70:71], |v[68:69]|, 1.0
	v_mul_f64 v[92:93], v[90:91], v[82:83]
	v_add_f64 v[94:95], v[94:95], -v[82:83]
	v_add_f64 v[80:81], v[80:81], v[94:95]
	v_fma_f64 v[94:95], v[90:91], v[82:83], -v[92:93]
	s_xor_b64 s[14:15], s[68:69], s[70:71]
	v_fmac_f64_e32 v[94:95], v[90:91], v[80:81]
	v_cndmask_b32_e64 v80, v71, 0, s[14:15]
	v_cmp_neq_f64_e64 s[14:15], |v[68:69]|, 1.0
	v_ldexp_f64 v[76:77], v[76:77], 1
	v_ldexp_f64 v[74:75], v[74:75], 1
	v_cndmask_b32_e64 v96, v70, v80, s[14:15]
	v_add_f64 v[80:81], v[90:91], -v[88:89]
	v_add_f64 v[80:81], v[86:87], -v[80:81]
	v_fmac_f64_e32 v[94:95], v[80:81], v[82:83]
	v_add_f64 v[80:81], v[92:93], v[94:95]
	v_add_f64 v[82:83], v[76:77], v[80:81]
	v_add_f64 v[86:87], v[80:81], -v[92:93]
	v_add_f64 v[86:87], v[94:95], -v[86:87]
	;; [unrolled: 1-line block ×3, first 2 shown]
	v_add_f64 v[74:75], v[74:75], v[86:87]
	v_add_f64 v[76:77], v[80:81], -v[76:77]
	v_add_f64 v[74:75], v[74:75], v[76:77]
	v_add_f64 v[88:89], v[78:79], v[84:85]
	;; [unrolled: 1-line block ×4, first 2 shown]
	v_add_f64 v[78:79], v[88:89], -v[78:79]
	v_add_f64 v[78:79], v[84:85], -v[78:79]
	;; [unrolled: 1-line block ×7, first 2 shown]
	v_add_f64 v[82:83], v[78:79], v[74:75]
	v_add_f64 v[84:85], v[88:89], -v[84:85]
	v_add_f64 v[76:77], v[76:77], v[84:85]
	v_add_f64 v[86:87], v[82:83], -v[78:79]
	;; [unrolled: 2-line block ×4, first 2 shown]
	v_add_f64 v[78:79], v[78:79], -v[82:83]
	v_add_f64 v[74:75], v[74:75], v[78:79]
	v_add_f64 v[78:79], v[84:85], -v[80:81]
	v_add_f64 v[76:77], v[76:77], -v[78:79]
	v_add_f64 v[74:75], v[74:75], v[76:77]
	v_add_f64 v[76:77], v[84:85], v[74:75]
	v_mul_f64 v[78:79], v[66:67], v[76:77]
	v_add_f64 v[80:81], v[76:77], -v[84:85]
	v_add_f64 v[74:75], v[74:75], -v[80:81]
	v_fma_f64 v[76:77], v[66:67], v[76:77], -v[78:79]
	v_fmac_f64_e32 v[76:77], v[66:67], v[74:75]
	v_add_f64 v[74:75], v[78:79], v[76:77]
	v_cmp_class_f64_e64 s[14:15], v[78:79], s72
	s_mov_b32 s52, s40
	s_mov_b32 s54, s42
	v_cndmask_b32_e64 v81, v75, v79, s[14:15]
	v_cndmask_b32_e64 v80, v74, v78, s[14:15]
	v_mul_f64 v[82:83], v[80:81], s[50:51]
	v_rndne_f64_e32 v[82:83], v[82:83]
	v_fma_f64 v[84:85], s[52:53], v[82:83], v[80:81]
	v_fmac_f64_e32 v[84:85], s[54:55], v[82:83]
	v_mov_b64_e32 v[86:87], v[40:41]
	v_fmac_f64_e32 v[86:87], s[56:57], v[84:85]
	v_mov_b64_e32 v[88:89], v[42:43]
	;; [unrolled: 2-line block ×9, first 2 shown]
	v_fmac_f64_e32 v[86:87], v[84:85], v[88:89]
	v_fma_f64 v[86:87], v[84:85], v[86:87], 1.0
	v_fma_f64 v[84:85], v[84:85], v[86:87], 1.0
	v_cvt_i32_f64_e32 v82, v[82:83]
	v_ldexp_f64 v[82:83], v[84:85], v82
	v_cmp_nlt_f64_e64 s[14:15], s[58:59], v[80:81]
	v_cmp_ngt_f64_e64 s[16:17], s[60:61], v[80:81]
	v_add_f64 v[74:75], v[74:75], -v[78:79]
	v_cndmask_b32_e64 v83, v71, v83, s[14:15]
	s_and_b64 s[14:15], s[16:17], s[14:15]
	v_cndmask_b32_e64 v83, 0, v83, s[16:17]
	v_cndmask_b32_e64 v82, 0, v82, s[14:15]
	v_add_f64 v[74:75], v[76:77], -v[74:75]
	v_cmp_neq_f64_e64 s[14:15], |v[80:81]|, s[62:63]
	v_mov_b64_e32 v[76:77], v[82:83]
	v_cmp_class_f64_e64 s[66:67], v[68:69], s72
	v_cndmask_b32_e64 v75, 0, v75, s[14:15]
	v_cndmask_b32_e64 v74, 0, v74, s[14:15]
	v_fmac_f64_e32 v[76:77], v[76:77], v[74:75]
	v_cmp_class_f64_e64 s[14:15], v[82:83], s72
	s_or_b64 s[8:9], s[8:9], s[66:67]
	v_lshl_add_u64 v[64:65], v[4:5], 0, s[20:21]
	v_cndmask_b32_e64 v74, v76, v82, s[14:15]
	v_cndmask_b32_e64 v75, v77, v83, s[14:15]
	;; [unrolled: 1-line block ×3, first 2 shown]
	v_bfi_b32 v75, s73, v75, v76
	v_cndmask_b32_e64 v76, v72, v75, s[10:11]
	v_cndmask_b32_e64 v77, 0, v74, s[10:11]
	v_cmp_gt_f64_e64 s[10:11], 0, v[68:69]
	s_nop 1
	v_cndmask_b32_e64 v74, v74, v77, s[10:11]
	v_cndmask_b32_e64 v75, v75, v76, s[10:11]
	v_cmp_class_f64_e64 s[10:11], v[66:67], s72
	s_nop 1
	v_cndmask_b32_e64 v75, v75, v96, s[10:11]
	v_cndmask_b32_e64 v73, v75, v73, s[8:9]
	s_or_b64 s[8:9], s[8:9], s[10:11]
	v_cndmask_b32_e64 v74, v74, 0, s[8:9]
	v_cmp_o_f64_e64 s[8:9], v[68:69], v[66:67]
	s_nop 1
	v_cndmask_b32_e64 v66, 0, v74, s[8:9]
	v_cndmask_b32_e64 v67, v72, v73, s[8:9]
	global_store_dwordx2 v[64:65], v[66:67], off
	s_or_b64 exec, exec, s[64:65]
	s_and_saveexec_b64 s[14:15], s[6:7]
	s_cbranch_execz .LBB77_13
.LBB77_17:                              ;   in Loop: Header=BB77_4 Depth=1
	s_waitcnt vmcnt(0)
	v_cndmask_b32_e64 v63, v63, v70, s[2:3]
	v_cndmask_b32_e64 v62, v62, 0, s[2:3]
	v_mov_b32_e32 v64, s19
	v_cmp_neq_f64_e64 s[6:7], 0, v[62:63]
	s_mov_b32 s48, s38
	s_mov_b32 s52, s40
	v_cndmask_b32_e64 v65, v70, v64, s[6:7]
	v_mov_b32_e32 v64, s18
	v_cndmask_b32_e64 v64, 0, v64, s[6:7]
	v_frexp_mant_f64_e64 v[66:67], |v[64:65]|
	v_cmp_gt_f64_e64 s[6:7], s[38:39], v[66:67]
	v_frexp_exp_i32_f64_e32 v68, v[64:65]
	s_mov_b32 s54, s42
	v_cndmask_b32_e64 v69, 0, 1, s[6:7]
	v_ldexp_f64 v[66:67], v[66:67], v69
	v_subbrev_co_u32_e64 v73, s[6:7], 0, v68, s[6:7]
	v_add_f64 v[68:69], v[66:67], 1.0
	v_rcp_f64_e32 v[74:75], v[68:69]
	v_add_f64 v[78:79], v[68:69], -1.0
	v_add_f64 v[76:77], v[66:67], -1.0
	v_add_f64 v[66:67], v[66:67], -v[78:79]
	v_fma_f64 v[78:79], -v[68:69], v[74:75], 1.0
	v_fmac_f64_e32 v[74:75], v[78:79], v[74:75]
	v_fma_f64 v[78:79], -v[68:69], v[74:75], 1.0
	v_fmac_f64_e32 v[74:75], v[78:79], v[74:75]
	v_mul_f64 v[78:79], v[76:77], v[74:75]
	v_mul_f64 v[80:81], v[68:69], v[78:79]
	v_fma_f64 v[68:69], v[78:79], v[68:69], -v[80:81]
	v_fmac_f64_e32 v[68:69], v[78:79], v[66:67]
	v_add_f64 v[66:67], v[80:81], v[68:69]
	v_add_f64 v[82:83], v[76:77], -v[66:67]
	v_add_f64 v[80:81], v[66:67], -v[80:81]
	;; [unrolled: 1-line block ×5, first 2 shown]
	v_add_f64 v[66:67], v[68:69], v[66:67]
	v_add_f64 v[66:67], v[82:83], v[66:67]
	v_mul_f64 v[66:67], v[74:75], v[66:67]
	v_add_f64 v[68:69], v[78:79], v[66:67]
	v_add_f64 v[74:75], v[68:69], -v[78:79]
	v_add_f64 v[66:67], v[66:67], -v[74:75]
	v_mul_f64 v[74:75], v[68:69], v[68:69]
	v_fma_f64 v[76:77], v[68:69], v[68:69], -v[74:75]
	v_add_f64 v[78:79], v[66:67], v[66:67]
	v_fmac_f64_e32 v[76:77], v[68:69], v[78:79]
	v_add_f64 v[78:79], v[74:75], v[76:77]
	v_add_f64 v[74:75], v[78:79], -v[74:75]
	v_add_f64 v[74:75], v[76:77], -v[74:75]
	v_mov_b64_e32 v[76:77], v[24:25]
	v_fmac_f64_e32 v[76:77], s[44:45], v[78:79]
	v_mov_b64_e32 v[80:81], v[26:27]
	v_fmac_f64_e32 v[80:81], v[78:79], v[76:77]
	v_mov_b64_e32 v[76:77], v[28:29]
	v_fmac_f64_e32 v[76:77], v[78:79], v[80:81]
	v_mov_b64_e32 v[80:81], v[30:31]
	v_fmac_f64_e32 v[80:81], v[78:79], v[76:77]
	v_mov_b64_e32 v[76:77], v[32:33]
	v_fmac_f64_e32 v[76:77], v[78:79], v[80:81]
	v_mov_b64_e32 v[80:81], v[34:35]
	v_fmac_f64_e32 v[80:81], v[78:79], v[76:77]
	v_mov_b64_e32 v[76:77], v[36:37]
	v_fmac_f64_e32 v[76:77], v[78:79], v[80:81]
	v_mov_b64_e32 v[80:81], v[38:39]
	v_fmac_f64_e32 v[80:81], v[78:79], v[76:77]
	v_cvt_f64_i32_e32 v[76:77], v73
	v_mul_f64 v[82:83], v[76:77], s[40:41]
	v_mul_f64 v[88:89], v[68:69], v[78:79]
	v_fma_f64 v[84:85], v[76:77], s[40:41], -v[82:83]
	v_fma_f64 v[90:91], v[78:79], v[68:69], -v[88:89]
	v_fmac_f64_e32 v[84:85], s[42:43], v[76:77]
	v_fmac_f64_e32 v[90:91], v[78:79], v[66:67]
	v_add_f64 v[76:77], v[82:83], v[84:85]
	v_fmac_f64_e32 v[90:91], v[74:75], v[68:69]
	v_add_f64 v[82:83], v[76:77], -v[82:83]
	v_ldexp_f64 v[86:87], v[66:67], 1
	v_add_f64 v[66:67], v[88:89], v[90:91]
	v_add_f64 v[82:83], v[84:85], -v[82:83]
	v_ldexp_f64 v[84:85], v[68:69], 1
	v_add_f64 v[68:69], v[66:67], -v[88:89]
	v_mul_f64 v[88:89], v[78:79], v[80:81]
	v_fma_f64 v[78:79], v[78:79], v[80:81], -v[88:89]
	v_fmac_f64_e32 v[78:79], v[74:75], v[80:81]
	v_add_f64 v[74:75], v[88:89], v[78:79]
	v_add_f64 v[80:81], v[74:75], -v[88:89]
	v_add_f64 v[78:79], v[78:79], -v[80:81]
	v_add_f64 v[80:81], v[74:75], s[38:39]
	v_add_f64 v[88:89], v[80:81], s[48:49]
	v_add_f64 v[74:75], v[74:75], -v[88:89]
	v_add_f64 v[78:79], v[78:79], s[46:47]
	v_add_f64 v[74:75], v[78:79], v[74:75]
	v_add_f64 v[78:79], v[80:81], v[74:75]
	v_add_f64 v[80:81], v[80:81], -v[78:79]
	v_add_f64 v[74:75], v[74:75], v[80:81]
	v_mul_f64 v[80:81], v[66:67], v[78:79]
	v_fma_f64 v[88:89], v[66:67], v[78:79], -v[80:81]
	v_add_f64 v[68:69], v[90:91], -v[68:69]
	v_fmac_f64_e32 v[88:89], v[66:67], v[74:75]
	v_fmac_f64_e32 v[88:89], v[68:69], v[78:79]
	v_add_f64 v[66:67], v[80:81], v[88:89]
	v_add_f64 v[68:69], v[66:67], -v[80:81]
	v_add_f64 v[74:75], v[84:85], v[66:67]
	v_add_f64 v[68:69], v[88:89], -v[68:69]
	v_add_f64 v[78:79], v[74:75], -v[84:85]
	;; [unrolled: 1-line block ×3, first 2 shown]
	v_add_f64 v[68:69], v[86:87], v[68:69]
	v_add_f64 v[66:67], v[68:69], v[66:67]
	;; [unrolled: 1-line block ×3, first 2 shown]
	v_add_f64 v[74:75], v[68:69], -v[74:75]
	v_add_f64 v[66:67], v[66:67], -v[74:75]
	v_add_f64 v[74:75], v[76:77], v[68:69]
	v_add_f64 v[78:79], v[74:75], -v[76:77]
	v_add_f64 v[80:81], v[74:75], -v[78:79]
	;; [unrolled: 1-line block ×4, first 2 shown]
	v_add_f64 v[68:69], v[68:69], v[76:77]
	v_add_f64 v[76:77], v[82:83], v[66:67]
	v_add_f64 v[78:79], v[76:77], -v[82:83]
	v_add_f64 v[68:69], v[76:77], v[68:69]
	v_add_f64 v[80:81], v[76:77], -v[78:79]
	;; [unrolled: 2-line block ×3, first 2 shown]
	v_add_f64 v[66:67], v[66:67], -v[78:79]
	v_add_f64 v[74:75], v[76:77], -v[74:75]
	v_add_f64 v[66:67], v[66:67], v[80:81]
	v_add_f64 v[68:69], v[68:69], -v[74:75]
	v_add_f64 v[66:67], v[66:67], v[68:69]
	v_add_f64 v[68:69], v[76:77], v[66:67]
	v_add_f64 v[74:75], v[68:69], -v[76:77]
	v_add_f64 v[66:67], v[66:67], -v[74:75]
	v_mul_f64 v[74:75], v[62:63], v[68:69]
	v_fma_f64 v[68:69], v[62:63], v[68:69], -v[74:75]
	v_fmac_f64_e32 v[68:69], v[62:63], v[66:67]
	v_add_f64 v[66:67], v[74:75], v[68:69]
	v_cmp_class_f64_e64 s[6:7], v[74:75], s72
	v_add_f64 v[76:77], v[66:67], -v[74:75]
	v_add_f64 v[68:69], v[68:69], -v[76:77]
	v_cndmask_b32_e64 v67, v67, v75, s[6:7]
	v_cndmask_b32_e64 v66, v66, v74, s[6:7]
	v_mul_f64 v[74:75], v[66:67], s[50:51]
	v_rndne_f64_e32 v[74:75], v[74:75]
	v_fma_f64 v[76:77], s[52:53], v[74:75], v[66:67]
	v_fmac_f64_e32 v[76:77], s[54:55], v[74:75]
	v_mov_b64_e32 v[78:79], v[40:41]
	v_fmac_f64_e32 v[78:79], s[56:57], v[76:77]
	v_mov_b64_e32 v[80:81], v[42:43]
	;; [unrolled: 2-line block ×9, first 2 shown]
	v_fmac_f64_e32 v[78:79], v[76:77], v[80:81]
	v_fma_f64 v[78:79], v[76:77], v[78:79], 1.0
	v_cmp_neq_f64_e64 s[6:7], |v[66:67]|, s[62:63]
	v_fma_f64 v[76:77], v[76:77], v[78:79], 1.0
	v_cvt_i32_f64_e32 v73, v[74:75]
	v_cndmask_b32_e64 v69, 0, v69, s[6:7]
	v_cndmask_b32_e64 v68, 0, v68, s[6:7]
	v_ldexp_f64 v[74:75], v[76:77], v73
	v_cmp_nlt_f64_e64 s[6:7], s[58:59], v[66:67]
	v_cmp_ngt_f64_e64 s[8:9], s[60:61], v[66:67]
	v_cmp_lt_f64_e64 s[10:11], |v[64:65]|, 1.0
	v_cndmask_b32_e64 v73, v71, v75, s[6:7]
	s_and_b64 s[6:7], s[8:9], s[6:7]
	v_cndmask_b32_e64 v67, 0, v73, s[8:9]
	v_cndmask_b32_e64 v66, 0, v74, s[6:7]
	v_mov_b64_e32 v[74:75], v[66:67]
	v_fmac_f64_e32 v[74:75], v[74:75], v[68:69]
	v_cmp_class_f64_e64 s[6:7], v[66:67], s72
	v_cmp_gt_f64_e64 s[12:13], 0, v[62:63]
	v_cmp_class_f64_e64 s[16:17], v[64:65], s72
	v_cndmask_b32_e64 v73, v74, v66, s[6:7]
	v_cndmask_b32_e64 v74, v75, v67, s[6:7]
	v_trunc_f64_e32 v[66:67], v[62:63]
	v_cmp_eq_f64_e64 s[6:7], v[66:67], v[62:63]
	v_mul_f64 v[66:67], v[62:63], 0.5
	v_trunc_f64_e32 v[68:69], v[66:67]
	v_cmp_neq_f64_e64 s[8:9], v[68:69], v[66:67]
	s_and_b64 s[8:9], s[6:7], s[8:9]
	v_cndmask_b32_e64 v68, 0, v73, s[6:7]
	v_cndmask_b32_e64 v66, v70, v65, s[8:9]
	v_bfi_b32 v66, s73, v74, v66
	v_cndmask_b32_e64 v67, v72, v66, s[6:7]
	v_cmp_gt_f64_e64 s[6:7], 0, v[64:65]
	v_cndmask_b32_e64 v69, 0, v65, s[8:9]
	s_nop 0
	v_cndmask_b32_e64 v68, v73, v68, s[6:7]
	v_cndmask_b32_e64 v66, v66, v67, s[6:7]
	v_cmp_neq_f64_e64 s[6:7], v[62:63], |v[62:63]|
	s_xor_b64 s[6:7], s[6:7], s[10:11]
	v_cmp_eq_f64_e64 s[10:11], 0, v[64:65]
	v_cndmask_b32_e64 v67, v71, 0, s[6:7]
	v_cmp_neq_f64_e64 s[6:7], |v[64:65]|, 1.0
	s_xor_b64 s[12:13], s[12:13], s[10:11]
	s_or_b64 s[8:9], s[10:11], s[16:17]
	v_cndmask_b32_e64 v67, v70, v67, s[6:7]
	v_cmp_class_f64_e64 s[6:7], v[62:63], s72
	s_nop 1
	v_cndmask_b32_e64 v66, v66, v67, s[6:7]
	v_cndmask_b32_e64 v67, v71, 0, s[12:13]
	v_bfi_b32 v67, s73, v67, v69
	s_or_b64 s[6:7], s[8:9], s[6:7]
	v_cndmask_b32_e64 v66, v66, v67, s[8:9]
	v_cndmask_b32_e64 v67, v68, 0, s[6:7]
	v_cmp_o_f64_e64 s[6:7], v[64:65], v[62:63]
	v_lshl_add_u64 v[64:65], v[22:23], 0, s[20:21]
	s_nop 0
	v_cndmask_b32_e64 v62, 0, v67, s[6:7]
	v_cndmask_b32_e64 v63, v72, v66, s[6:7]
	global_store_dwordx2 v[64:65], v[62:63], off
	s_or_b64 exec, exec, s[14:15]
	s_and_saveexec_b64 s[12:13], s[4:5]
	s_cbranch_execz .LBB77_14
.LBB77_18:                              ;   in Loop: Header=BB77_4 Depth=1
	s_waitcnt vmcnt(0)
	v_cndmask_b32_e64 v61, v61, v70, s[2:3]
	v_cndmask_b32_e64 v60, v60, 0, s[2:3]
	v_mov_b32_e32 v62, s19
	v_cmp_neq_f64_e64 s[4:5], 0, v[60:61]
	s_mov_b32 s48, s38
	s_mov_b32 s52, s40
	v_cndmask_b32_e64 v63, v70, v62, s[4:5]
	v_mov_b32_e32 v62, s18
	v_cndmask_b32_e64 v62, 0, v62, s[4:5]
	v_frexp_mant_f64_e64 v[64:65], |v[62:63]|
	v_cmp_gt_f64_e64 s[4:5], s[38:39], v[64:65]
	v_frexp_exp_i32_f64_e32 v66, v[62:63]
	s_mov_b32 s54, s42
	v_cndmask_b32_e64 v67, 0, 1, s[4:5]
	v_ldexp_f64 v[64:65], v[64:65], v67
	v_subbrev_co_u32_e64 v73, s[4:5], 0, v66, s[4:5]
	v_add_f64 v[66:67], v[64:65], 1.0
	v_rcp_f64_e32 v[68:69], v[66:67]
	v_add_f64 v[76:77], v[66:67], -1.0
	v_add_f64 v[74:75], v[64:65], -1.0
	v_add_f64 v[64:65], v[64:65], -v[76:77]
	v_fma_f64 v[76:77], -v[66:67], v[68:69], 1.0
	v_fmac_f64_e32 v[68:69], v[76:77], v[68:69]
	v_fma_f64 v[76:77], -v[66:67], v[68:69], 1.0
	v_fmac_f64_e32 v[68:69], v[76:77], v[68:69]
	v_mul_f64 v[76:77], v[74:75], v[68:69]
	v_mul_f64 v[78:79], v[66:67], v[76:77]
	v_fma_f64 v[66:67], v[76:77], v[66:67], -v[78:79]
	v_fmac_f64_e32 v[66:67], v[76:77], v[64:65]
	v_add_f64 v[64:65], v[78:79], v[66:67]
	v_add_f64 v[80:81], v[74:75], -v[64:65]
	v_add_f64 v[78:79], v[64:65], -v[78:79]
	;; [unrolled: 1-line block ×5, first 2 shown]
	v_add_f64 v[64:65], v[66:67], v[64:65]
	v_add_f64 v[64:65], v[80:81], v[64:65]
	v_mul_f64 v[64:65], v[68:69], v[64:65]
	v_add_f64 v[66:67], v[76:77], v[64:65]
	v_add_f64 v[68:69], v[66:67], -v[76:77]
	v_add_f64 v[64:65], v[64:65], -v[68:69]
	v_mul_f64 v[68:69], v[66:67], v[66:67]
	v_fma_f64 v[74:75], v[66:67], v[66:67], -v[68:69]
	v_add_f64 v[76:77], v[64:65], v[64:65]
	v_fmac_f64_e32 v[74:75], v[66:67], v[76:77]
	v_add_f64 v[76:77], v[68:69], v[74:75]
	v_add_f64 v[68:69], v[76:77], -v[68:69]
	v_add_f64 v[68:69], v[74:75], -v[68:69]
	v_mov_b64_e32 v[74:75], v[24:25]
	v_fmac_f64_e32 v[74:75], s[44:45], v[76:77]
	v_mov_b64_e32 v[78:79], v[26:27]
	v_fmac_f64_e32 v[78:79], v[76:77], v[74:75]
	;; [unrolled: 2-line block ×8, first 2 shown]
	v_cvt_f64_i32_e32 v[74:75], v73
	v_mul_f64 v[80:81], v[74:75], s[40:41]
	v_mul_f64 v[86:87], v[66:67], v[76:77]
	v_fma_f64 v[82:83], v[74:75], s[40:41], -v[80:81]
	v_fma_f64 v[88:89], v[76:77], v[66:67], -v[86:87]
	v_fmac_f64_e32 v[82:83], s[42:43], v[74:75]
	v_fmac_f64_e32 v[88:89], v[76:77], v[64:65]
	v_add_f64 v[74:75], v[80:81], v[82:83]
	v_fmac_f64_e32 v[88:89], v[68:69], v[66:67]
	v_add_f64 v[80:81], v[74:75], -v[80:81]
	v_ldexp_f64 v[84:85], v[64:65], 1
	v_add_f64 v[64:65], v[86:87], v[88:89]
	v_add_f64 v[80:81], v[82:83], -v[80:81]
	v_ldexp_f64 v[82:83], v[66:67], 1
	v_add_f64 v[66:67], v[64:65], -v[86:87]
	v_mul_f64 v[86:87], v[76:77], v[78:79]
	v_fma_f64 v[76:77], v[76:77], v[78:79], -v[86:87]
	v_fmac_f64_e32 v[76:77], v[68:69], v[78:79]
	v_add_f64 v[68:69], v[86:87], v[76:77]
	v_add_f64 v[78:79], v[68:69], -v[86:87]
	v_add_f64 v[76:77], v[76:77], -v[78:79]
	v_add_f64 v[78:79], v[68:69], s[38:39]
	v_add_f64 v[86:87], v[78:79], s[48:49]
	v_add_f64 v[68:69], v[68:69], -v[86:87]
	v_add_f64 v[76:77], v[76:77], s[46:47]
	v_add_f64 v[68:69], v[76:77], v[68:69]
	;; [unrolled: 1-line block ×3, first 2 shown]
	v_add_f64 v[78:79], v[78:79], -v[76:77]
	v_add_f64 v[68:69], v[68:69], v[78:79]
	v_mul_f64 v[78:79], v[64:65], v[76:77]
	v_fma_f64 v[86:87], v[64:65], v[76:77], -v[78:79]
	v_add_f64 v[66:67], v[88:89], -v[66:67]
	v_fmac_f64_e32 v[86:87], v[64:65], v[68:69]
	v_fmac_f64_e32 v[86:87], v[66:67], v[76:77]
	v_add_f64 v[64:65], v[78:79], v[86:87]
	v_add_f64 v[66:67], v[64:65], -v[78:79]
	v_add_f64 v[68:69], v[82:83], v[64:65]
	v_add_f64 v[66:67], v[86:87], -v[66:67]
	v_add_f64 v[76:77], v[68:69], -v[82:83]
	;; [unrolled: 1-line block ×3, first 2 shown]
	v_add_f64 v[66:67], v[84:85], v[66:67]
	v_add_f64 v[64:65], v[66:67], v[64:65]
	;; [unrolled: 1-line block ×3, first 2 shown]
	v_add_f64 v[68:69], v[66:67], -v[68:69]
	v_add_f64 v[64:65], v[64:65], -v[68:69]
	v_add_f64 v[68:69], v[74:75], v[66:67]
	v_add_f64 v[76:77], v[68:69], -v[74:75]
	v_add_f64 v[78:79], v[68:69], -v[76:77]
	;; [unrolled: 1-line block ×4, first 2 shown]
	v_add_f64 v[66:67], v[66:67], v[74:75]
	v_add_f64 v[74:75], v[80:81], v[64:65]
	v_add_f64 v[76:77], v[74:75], -v[80:81]
	v_add_f64 v[66:67], v[74:75], v[66:67]
	v_add_f64 v[78:79], v[74:75], -v[76:77]
	;; [unrolled: 2-line block ×3, first 2 shown]
	v_add_f64 v[64:65], v[64:65], -v[76:77]
	v_add_f64 v[68:69], v[74:75], -v[68:69]
	v_add_f64 v[64:65], v[64:65], v[78:79]
	v_add_f64 v[66:67], v[66:67], -v[68:69]
	v_add_f64 v[64:65], v[64:65], v[66:67]
	v_add_f64 v[66:67], v[74:75], v[64:65]
	v_add_f64 v[68:69], v[66:67], -v[74:75]
	v_add_f64 v[64:65], v[64:65], -v[68:69]
	v_mul_f64 v[68:69], v[60:61], v[66:67]
	v_fma_f64 v[66:67], v[60:61], v[66:67], -v[68:69]
	v_fmac_f64_e32 v[66:67], v[60:61], v[64:65]
	v_add_f64 v[64:65], v[68:69], v[66:67]
	v_cmp_class_f64_e64 s[4:5], v[68:69], s72
	v_add_f64 v[74:75], v[64:65], -v[68:69]
	v_add_f64 v[66:67], v[66:67], -v[74:75]
	v_cndmask_b32_e64 v65, v65, v69, s[4:5]
	v_cndmask_b32_e64 v64, v64, v68, s[4:5]
	v_mul_f64 v[68:69], v[64:65], s[50:51]
	v_rndne_f64_e32 v[68:69], v[68:69]
	v_fma_f64 v[74:75], s[52:53], v[68:69], v[64:65]
	v_fmac_f64_e32 v[74:75], s[54:55], v[68:69]
	v_mov_b64_e32 v[76:77], v[40:41]
	v_fmac_f64_e32 v[76:77], s[56:57], v[74:75]
	v_mov_b64_e32 v[78:79], v[42:43]
	;; [unrolled: 2-line block ×9, first 2 shown]
	v_fmac_f64_e32 v[76:77], v[74:75], v[78:79]
	v_fma_f64 v[76:77], v[74:75], v[76:77], 1.0
	v_cmp_neq_f64_e64 s[4:5], |v[64:65]|, s[62:63]
	v_fma_f64 v[74:75], v[74:75], v[76:77], 1.0
	v_cvt_i32_f64_e32 v68, v[68:69]
	v_cndmask_b32_e64 v67, 0, v67, s[4:5]
	v_cndmask_b32_e64 v66, 0, v66, s[4:5]
	v_ldexp_f64 v[68:69], v[74:75], v68
	v_cmp_nlt_f64_e64 s[4:5], s[58:59], v[64:65]
	v_cmp_ngt_f64_e64 s[6:7], s[60:61], v[64:65]
	v_cmp_lt_f64_e64 s[8:9], |v[62:63]|, 1.0
	v_cndmask_b32_e64 v69, v71, v69, s[4:5]
	s_and_b64 s[4:5], s[6:7], s[4:5]
	v_cndmask_b32_e64 v65, 0, v69, s[6:7]
	v_cndmask_b32_e64 v64, 0, v68, s[4:5]
	v_mov_b64_e32 v[68:69], v[64:65]
	v_fmac_f64_e32 v[68:69], v[68:69], v[66:67]
	v_cmp_class_f64_e64 s[4:5], v[64:65], s72
	v_cmp_gt_f64_e64 s[10:11], 0, v[60:61]
	v_cmp_class_f64_e64 s[14:15], v[62:63], s72
	v_cndmask_b32_e64 v68, v68, v64, s[4:5]
	v_cndmask_b32_e64 v69, v69, v65, s[4:5]
	v_trunc_f64_e32 v[64:65], v[60:61]
	v_cmp_eq_f64_e64 s[4:5], v[64:65], v[60:61]
	v_mul_f64 v[64:65], v[60:61], 0.5
	v_trunc_f64_e32 v[66:67], v[64:65]
	v_cmp_neq_f64_e64 s[6:7], v[66:67], v[64:65]
	s_and_b64 s[6:7], s[4:5], s[6:7]
	v_cndmask_b32_e64 v66, 0, v68, s[4:5]
	v_cndmask_b32_e64 v64, v70, v63, s[6:7]
	v_bfi_b32 v64, s73, v69, v64
	v_cndmask_b32_e64 v65, v72, v64, s[4:5]
	v_cmp_gt_f64_e64 s[4:5], 0, v[62:63]
	v_cndmask_b32_e64 v67, 0, v63, s[6:7]
	s_nop 0
	v_cndmask_b32_e64 v66, v68, v66, s[4:5]
	v_cndmask_b32_e64 v64, v64, v65, s[4:5]
	v_cmp_neq_f64_e64 s[4:5], v[60:61], |v[60:61]|
	s_xor_b64 s[4:5], s[4:5], s[8:9]
	v_cmp_eq_f64_e64 s[8:9], 0, v[62:63]
	v_cndmask_b32_e64 v65, v71, 0, s[4:5]
	v_cmp_neq_f64_e64 s[4:5], |v[62:63]|, 1.0
	s_xor_b64 s[10:11], s[10:11], s[8:9]
	s_or_b64 s[6:7], s[8:9], s[14:15]
	v_cndmask_b32_e64 v65, v70, v65, s[4:5]
	v_cmp_class_f64_e64 s[4:5], v[60:61], s72
	s_nop 1
	v_cndmask_b32_e64 v64, v64, v65, s[4:5]
	v_cndmask_b32_e64 v65, v71, 0, s[10:11]
	v_bfi_b32 v65, s73, v65, v67
	s_or_b64 s[4:5], s[6:7], s[4:5]
	v_cndmask_b32_e64 v64, v64, v65, s[6:7]
	v_cndmask_b32_e64 v65, v66, 0, s[4:5]
	v_cmp_o_f64_e64 s[4:5], v[62:63], v[60:61]
	v_lshl_add_u64 v[62:63], v[14:15], 0, s[20:21]
	s_nop 0
	v_cndmask_b32_e64 v60, 0, v65, s[4:5]
	v_cndmask_b32_e64 v61, v72, v64, s[4:5]
	global_store_dwordx2 v[62:63], v[60:61], off
	s_or_b64 exec, exec, s[12:13]
	s_and_saveexec_b64 s[10:11], vcc
	s_cbranch_execz .LBB77_3
.LBB77_19:                              ;   in Loop: Header=BB77_4 Depth=1
	s_waitcnt vmcnt(0)
	v_cndmask_b32_e64 v59, v59, v70, s[2:3]
	v_cndmask_b32_e64 v58, v58, 0, s[2:3]
	v_mov_b32_e32 v60, s19
	v_cmp_neq_f64_e32 vcc, 0, v[58:59]
	s_mov_b32 s48, s38
	s_mov_b32 s52, s40
	v_cndmask_b32_e32 v61, v70, v60, vcc
	v_mov_b32_e32 v60, s18
	v_cndmask_b32_e32 v60, 0, v60, vcc
	v_frexp_mant_f64_e64 v[62:63], |v[60:61]|
	v_cmp_gt_f64_e32 vcc, s[38:39], v[62:63]
	v_frexp_exp_i32_f64_e32 v64, v[60:61]
	s_mov_b32 s54, s42
	v_cndmask_b32_e64 v65, 0, 1, vcc
	v_ldexp_f64 v[62:63], v[62:63], v65
	v_subbrev_co_u32_e32 v73, vcc, 0, v64, vcc
	v_add_f64 v[64:65], v[62:63], 1.0
	v_rcp_f64_e32 v[66:67], v[64:65]
	v_add_f64 v[74:75], v[64:65], -1.0
	v_add_f64 v[68:69], v[62:63], -1.0
	v_add_f64 v[62:63], v[62:63], -v[74:75]
	v_fma_f64 v[74:75], -v[64:65], v[66:67], 1.0
	v_fmac_f64_e32 v[66:67], v[74:75], v[66:67]
	v_fma_f64 v[74:75], -v[64:65], v[66:67], 1.0
	v_fmac_f64_e32 v[66:67], v[74:75], v[66:67]
	v_mul_f64 v[74:75], v[68:69], v[66:67]
	v_mul_f64 v[76:77], v[64:65], v[74:75]
	v_fma_f64 v[64:65], v[74:75], v[64:65], -v[76:77]
	v_fmac_f64_e32 v[64:65], v[74:75], v[62:63]
	v_add_f64 v[62:63], v[76:77], v[64:65]
	v_add_f64 v[78:79], v[68:69], -v[62:63]
	v_add_f64 v[76:77], v[62:63], -v[76:77]
	;; [unrolled: 1-line block ×5, first 2 shown]
	v_add_f64 v[62:63], v[64:65], v[62:63]
	v_add_f64 v[62:63], v[78:79], v[62:63]
	v_mul_f64 v[62:63], v[66:67], v[62:63]
	v_add_f64 v[64:65], v[74:75], v[62:63]
	v_add_f64 v[66:67], v[64:65], -v[74:75]
	v_add_f64 v[62:63], v[62:63], -v[66:67]
	v_mul_f64 v[66:67], v[64:65], v[64:65]
	v_fma_f64 v[68:69], v[64:65], v[64:65], -v[66:67]
	v_add_f64 v[74:75], v[62:63], v[62:63]
	v_fmac_f64_e32 v[68:69], v[64:65], v[74:75]
	v_add_f64 v[74:75], v[66:67], v[68:69]
	v_add_f64 v[66:67], v[74:75], -v[66:67]
	v_add_f64 v[66:67], v[68:69], -v[66:67]
	v_mov_b64_e32 v[68:69], v[24:25]
	v_fmac_f64_e32 v[68:69], s[44:45], v[74:75]
	v_mov_b64_e32 v[76:77], v[26:27]
	v_fmac_f64_e32 v[76:77], v[74:75], v[68:69]
	;; [unrolled: 2-line block ×8, first 2 shown]
	v_cvt_f64_i32_e32 v[68:69], v73
	v_mul_f64 v[78:79], v[68:69], s[40:41]
	v_mul_f64 v[84:85], v[64:65], v[74:75]
	v_fma_f64 v[80:81], v[68:69], s[40:41], -v[78:79]
	v_fma_f64 v[86:87], v[74:75], v[64:65], -v[84:85]
	v_fmac_f64_e32 v[80:81], s[42:43], v[68:69]
	v_fmac_f64_e32 v[86:87], v[74:75], v[62:63]
	v_add_f64 v[68:69], v[78:79], v[80:81]
	v_fmac_f64_e32 v[86:87], v[66:67], v[64:65]
	v_add_f64 v[78:79], v[68:69], -v[78:79]
	v_ldexp_f64 v[82:83], v[62:63], 1
	v_add_f64 v[62:63], v[84:85], v[86:87]
	v_add_f64 v[78:79], v[80:81], -v[78:79]
	v_ldexp_f64 v[80:81], v[64:65], 1
	v_add_f64 v[64:65], v[62:63], -v[84:85]
	v_mul_f64 v[84:85], v[74:75], v[76:77]
	v_fma_f64 v[74:75], v[74:75], v[76:77], -v[84:85]
	v_fmac_f64_e32 v[74:75], v[66:67], v[76:77]
	v_add_f64 v[66:67], v[84:85], v[74:75]
	v_add_f64 v[76:77], v[66:67], -v[84:85]
	v_add_f64 v[74:75], v[74:75], -v[76:77]
	v_add_f64 v[76:77], v[66:67], s[38:39]
	v_add_f64 v[84:85], v[76:77], s[48:49]
	v_add_f64 v[66:67], v[66:67], -v[84:85]
	v_add_f64 v[74:75], v[74:75], s[46:47]
	v_add_f64 v[66:67], v[74:75], v[66:67]
	;; [unrolled: 1-line block ×3, first 2 shown]
	v_add_f64 v[76:77], v[76:77], -v[74:75]
	v_add_f64 v[66:67], v[66:67], v[76:77]
	v_mul_f64 v[76:77], v[62:63], v[74:75]
	v_fma_f64 v[84:85], v[62:63], v[74:75], -v[76:77]
	v_add_f64 v[64:65], v[86:87], -v[64:65]
	v_fmac_f64_e32 v[84:85], v[62:63], v[66:67]
	v_fmac_f64_e32 v[84:85], v[64:65], v[74:75]
	v_add_f64 v[62:63], v[76:77], v[84:85]
	v_add_f64 v[64:65], v[62:63], -v[76:77]
	v_add_f64 v[66:67], v[80:81], v[62:63]
	v_add_f64 v[64:65], v[84:85], -v[64:65]
	v_add_f64 v[74:75], v[66:67], -v[80:81]
	v_add_f64 v[62:63], v[62:63], -v[74:75]
	v_add_f64 v[64:65], v[82:83], v[64:65]
	v_add_f64 v[62:63], v[64:65], v[62:63]
	;; [unrolled: 1-line block ×3, first 2 shown]
	v_add_f64 v[66:67], v[64:65], -v[66:67]
	v_add_f64 v[62:63], v[62:63], -v[66:67]
	v_add_f64 v[66:67], v[68:69], v[64:65]
	v_add_f64 v[74:75], v[66:67], -v[68:69]
	v_add_f64 v[76:77], v[66:67], -v[74:75]
	;; [unrolled: 1-line block ×4, first 2 shown]
	v_add_f64 v[64:65], v[64:65], v[68:69]
	v_add_f64 v[68:69], v[78:79], v[62:63]
	v_add_f64 v[74:75], v[68:69], -v[78:79]
	v_add_f64 v[64:65], v[68:69], v[64:65]
	v_add_f64 v[76:77], v[68:69], -v[74:75]
	;; [unrolled: 2-line block ×3, first 2 shown]
	v_add_f64 v[62:63], v[62:63], -v[74:75]
	v_add_f64 v[66:67], v[68:69], -v[66:67]
	v_add_f64 v[62:63], v[62:63], v[76:77]
	v_add_f64 v[64:65], v[64:65], -v[66:67]
	v_add_f64 v[62:63], v[62:63], v[64:65]
	v_add_f64 v[64:65], v[68:69], v[62:63]
	v_add_f64 v[66:67], v[64:65], -v[68:69]
	v_add_f64 v[62:63], v[62:63], -v[66:67]
	v_mul_f64 v[66:67], v[58:59], v[64:65]
	v_fma_f64 v[64:65], v[58:59], v[64:65], -v[66:67]
	v_fmac_f64_e32 v[64:65], v[58:59], v[62:63]
	v_add_f64 v[62:63], v[66:67], v[64:65]
	v_cmp_class_f64_e64 vcc, v[66:67], s72
	v_add_f64 v[68:69], v[62:63], -v[66:67]
	v_add_f64 v[64:65], v[64:65], -v[68:69]
	v_cndmask_b32_e32 v63, v63, v67, vcc
	v_cndmask_b32_e32 v62, v62, v66, vcc
	v_mul_f64 v[66:67], v[62:63], s[50:51]
	v_rndne_f64_e32 v[66:67], v[66:67]
	v_fma_f64 v[68:69], s[52:53], v[66:67], v[62:63]
	v_fmac_f64_e32 v[68:69], s[54:55], v[66:67]
	v_mov_b64_e32 v[74:75], v[40:41]
	v_fmac_f64_e32 v[74:75], s[56:57], v[68:69]
	v_mov_b64_e32 v[76:77], v[42:43]
	;; [unrolled: 2-line block ×9, first 2 shown]
	v_fmac_f64_e32 v[74:75], v[68:69], v[76:77]
	v_fma_f64 v[74:75], v[68:69], v[74:75], 1.0
	v_cmp_neq_f64_e64 vcc, |v[62:63]|, s[62:63]
	v_fma_f64 v[68:69], v[68:69], v[74:75], 1.0
	v_cvt_i32_f64_e32 v66, v[66:67]
	v_cndmask_b32_e32 v65, 0, v65, vcc
	v_cndmask_b32_e32 v64, 0, v64, vcc
	v_ldexp_f64 v[66:67], v[68:69], v66
	v_cmp_nlt_f64_e32 vcc, s[58:59], v[62:63]
	v_cmp_ngt_f64_e64 s[4:5], s[60:61], v[62:63]
	v_cmp_neq_f64_e64 s[6:7], v[58:59], |v[58:59]|
	v_cndmask_b32_e32 v67, v71, v67, vcc
	s_and_b64 vcc, s[4:5], vcc
	v_cndmask_b32_e64 v63, 0, v67, s[4:5]
	v_cndmask_b32_e32 v62, 0, v66, vcc
	v_mov_b64_e32 v[66:67], v[62:63]
	v_fmac_f64_e32 v[66:67], v[66:67], v[64:65]
	v_cmp_class_f64_e64 vcc, v[62:63], s72
	v_cmp_lt_f64_e64 s[8:9], |v[60:61]|, 1.0
	s_xor_b64 s[6:7], s[6:7], s[8:9]
	v_cndmask_b32_e32 v66, v66, v62, vcc
	v_cndmask_b32_e32 v67, v67, v63, vcc
	v_trunc_f64_e32 v[62:63], v[58:59]
	v_cmp_eq_f64_e32 vcc, v[62:63], v[58:59]
	v_mul_f64 v[62:63], v[58:59], 0.5
	v_trunc_f64_e32 v[64:65], v[62:63]
	v_cmp_neq_f64_e64 s[4:5], v[64:65], v[62:63]
	s_and_b64 s[4:5], vcc, s[4:5]
	v_cndmask_b32_e32 v64, 0, v66, vcc
	v_cndmask_b32_e64 v62, v70, v61, s[4:5]
	v_bfi_b32 v62, s73, v67, v62
	v_cndmask_b32_e32 v63, v72, v62, vcc
	v_cmp_gt_f64_e32 vcc, 0, v[60:61]
	v_cmp_gt_f64_e64 s[8:9], 0, v[58:59]
	v_cmp_class_f64_e64 s[12:13], v[60:61], s72
	v_cndmask_b32_e32 v64, v66, v64, vcc
	v_cndmask_b32_e32 v62, v62, v63, vcc
	v_cndmask_b32_e64 v63, v71, 0, s[6:7]
	v_cmp_neq_f64_e64 vcc, |v[60:61]|, 1.0
	v_cmp_eq_f64_e64 s[6:7], 0, v[60:61]
	s_xor_b64 s[8:9], s[8:9], s[6:7]
	v_cndmask_b32_e32 v63, v70, v63, vcc
	v_cmp_class_f64_e64 vcc, v[58:59], s72
	v_cndmask_b32_e64 v65, 0, v61, s[4:5]
	s_or_b64 s[4:5], s[6:7], s[12:13]
	v_cndmask_b32_e32 v62, v62, v63, vcc
	v_cndmask_b32_e64 v63, v71, 0, s[8:9]
	v_bfi_b32 v63, s73, v63, v65
	v_cndmask_b32_e64 v62, v62, v63, s[4:5]
	s_or_b64 s[4:5], s[4:5], vcc
	v_cndmask_b32_e64 v63, v64, 0, s[4:5]
	v_cmp_o_f64_e32 vcc, v[60:61], v[58:59]
	v_lshl_add_u64 v[60:61], v[8:9], 0, s[20:21]
	s_nop 0
	v_cndmask_b32_e32 v58, 0, v63, vcc
	v_cndmask_b32_e32 v59, v72, v62, vcc
	global_store_dwordx2 v[60:61], v[58:59], off
	s_branch .LBB77_3
.LBB77_20:
	s_mov_b64 s[2:3], 0
.LBB77_21:
	s_andn2_b64 vcc, exec, s[2:3]
	s_cbranch_vccnz .LBB77_25
; %bb.22:
	v_mov_b64_e32 v[4:5], 0x10000
	v_cmp_lt_i64_e32 vcc, s[28:29], v[4:5]
	s_and_b64 s[2:3], vcc, exec
	v_mov_b32_e32 v3, 0
	s_cselect_b32 s29, s29, 0
	s_cselect_b32 s28, s28, 0x10000
	v_lshlrev_b32_e32 v2, 2, v0
	s_mov_b32 s27, 0
	v_cmp_gt_i64_e32 vcc, s[28:29], v[2:3]
	s_and_saveexec_b64 s[2:3], vcc
	s_cbranch_execz .LBB77_25
; %bb.23:
	s_load_dword s0, s[0:1], 0xc64
	v_lshlrev_b32_e32 v2, 5, v0
	s_mov_b32 s36, 0x55555555
	s_mov_b32 s38, 0x55555555
	;; [unrolled: 1-line block ×3, first 2 shown]
	s_waitcnt lgkmcnt(0)
	s_and_b32 s26, s0, 0xffff
	s_mov_b32 s0, 0x968915a9
	s_mov_b32 s1, 0x3fba6564
	v_mov_b64_e32 v[4:5], s[0:1]
	s_mov_b32 s0, 0xfca7ab0c
	s_mov_b32 s42, 0x3abe935a
	;; [unrolled: 1-line block ×27, first 2 shown]
	v_mov_b32_e32 v1, v3
	v_cmp_eq_f64_e64 vcc, s[18:19], 1.0
	v_lshl_add_u64 v[2:3], s[20:21], 0, v[2:3]
	s_lshl_b32 s30, s26, 5
	s_mov_b32 s31, s27
	s_mov_b64 s[34:35], 0
	v_mov_b32_e32 v42, 0x3ff00000
	v_mov_b32_e32 v43, s19
	v_mov_b32_e32 v44, s18
	s_mov_b32 s37, 0x3fe55555
	s_mov_b32 s39, 0xbfe55555
	;; [unrolled: 1-line block ×15, first 2 shown]
	s_movk_i32 s33, 0x204
	s_mov_b32 s67, 0x7ff00000
	s_mov_b32 s69, 0x3ff71547
	s_mov_b32 s71, 0x3e5ade15
	v_mov_b64_e32 v[6:7], s[0:1]
	s_mov_b32 s73, 0x3ec71dee
	s_mov_b32 s75, 0x3efa0199
	;; [unrolled: 1-line block ×9, first 2 shown]
	v_mov_b32_e32 v45, 0x7ff00000
	s_mov_b32 s91, 0xc090cc00
	s_brev_b32 s92, -2
	v_mov_b32_e32 v46, 0x7ff80000
.LBB77_24:                              ; =>This Inner Loop Header: Depth=1
	v_lshl_add_u64 v[8:9], s[22:23], 0, v[2:3]
	global_load_dwordx4 v[12:15], v[8:9], off
	global_load_dwordx4 v[20:23], v[8:9], off offset:16
	v_lshl_add_u64 v[0:1], v[0:1], 0, s[26:27]
	v_lshlrev_b64 v[8:9], 2, v[0:1]
	v_cmp_le_i64_e64 s[0:1], s[28:29], v[8:9]
	v_lshl_add_u64 v[10:11], s[24:25], 0, v[2:3]
	v_lshl_add_u64 v[2:3], v[2:3], 0, s[30:31]
	s_waitcnt vmcnt(1)
	v_cndmask_b32_e32 v9, v13, v42, vcc
	v_cndmask_b32_e64 v8, v12, 0, vcc
	v_cmp_neq_f64_e64 s[2:3], 0, v[8:9]
	v_cmp_neq_f64_e64 s[14:15], v[8:9], |v[8:9]|
	v_cndmask_b32_e32 v19, v15, v42, vcc
	v_cndmask_b32_e64 v17, v42, v43, s[2:3]
	v_cndmask_b32_e64 v16, 0, v44, s[2:3]
	v_cmp_lt_f64_e64 s[2:3], |v[16:17]|, 1.0
	v_cndmask_b32_e64 v18, v14, 0, vcc
	s_xor_b64 s[2:3], s[14:15], s[2:3]
	v_cmp_gt_f64_e64 s[4:5], 0, v[8:9]
	v_cmp_neq_f64_e64 s[6:7], 0, v[18:19]
	v_cndmask_b32_e64 v48, v45, 0, s[2:3]
	v_cmp_eq_f64_e64 s[2:3], 0, v[16:17]
	s_waitcnt vmcnt(0)
	v_cndmask_b32_e32 v15, v21, v42, vcc
	v_cndmask_b32_e64 v14, v20, 0, vcc
	v_cndmask_b32_e64 v21, v42, v43, s[6:7]
	v_cndmask_b32_e64 v20, 0, v44, s[6:7]
	s_xor_b64 s[4:5], s[4:5], s[2:3]
	v_cmp_neq_f64_e64 s[16:17], v[18:19], |v[18:19]|
	v_cndmask_b32_e64 v47, v45, 0, s[4:5]
	v_cmp_lt_f64_e64 s[4:5], |v[20:21]|, 1.0
	s_xor_b64 s[4:5], s[16:17], s[4:5]
	v_cmp_gt_f64_e64 s[8:9], 0, v[18:19]
	v_cmp_neq_f64_e64 s[10:11], 0, v[14:15]
	v_cndmask_b32_e64 v51, v45, 0, s[4:5]
	v_cmp_eq_f64_e64 s[4:5], 0, v[20:21]
	v_cndmask_b32_e32 v13, v23, v42, vcc
	v_cndmask_b32_e64 v12, v22, 0, vcc
	v_cndmask_b32_e64 v23, v42, v43, s[10:11]
	v_cndmask_b32_e64 v22, 0, v44, s[10:11]
	s_xor_b64 s[6:7], s[8:9], s[4:5]
	v_cmp_neq_f64_e64 s[94:95], v[14:15], |v[14:15]|
	v_cndmask_b32_e64 v49, v45, 0, s[6:7]
	v_cmp_lt_f64_e64 s[6:7], |v[22:23]|, 1.0
	s_xor_b64 s[6:7], s[94:95], s[6:7]
	v_cmp_gt_f64_e64 s[18:19], 0, v[14:15]
	v_cmp_neq_f64_e64 s[12:13], 0, v[12:13]
	v_cndmask_b32_e64 v55, v45, 0, s[6:7]
	v_cmp_eq_f64_e64 s[6:7], 0, v[22:23]
	v_cndmask_b32_e64 v25, v42, v43, s[12:13]
	v_cndmask_b32_e64 v24, 0, v44, s[12:13]
	s_xor_b64 s[8:9], s[18:19], s[6:7]
	v_cmp_neq_f64_e64 s[96:97], v[12:13], |v[12:13]|
	v_cndmask_b32_e64 v50, v45, 0, s[8:9]
	v_cmp_lt_f64_e64 s[8:9], |v[24:25]|, 1.0
	v_trunc_f64_e32 v[26:27], v[8:9]
	v_mul_f64 v[28:29], v[8:9], 0.5
	s_xor_b64 s[8:9], s[96:97], s[8:9]
	v_cmp_gt_f64_e64 s[20:21], 0, v[12:13]
	v_cmp_eq_f64_e64 s[10:11], v[26:27], v[8:9]
	v_trunc_f64_e32 v[26:27], v[28:29]
	v_cndmask_b32_e64 v64, v45, 0, s[8:9]
	v_cmp_eq_f64_e64 s[8:9], 0, v[24:25]
	v_frexp_mant_f64_e64 v[62:63], |v[16:17]|
	v_cmp_neq_f64_e64 s[18:19], v[26:27], v[28:29]
	s_xor_b64 s[20:21], s[20:21], s[8:9]
	v_frexp_exp_i32_f64_e32 v53, v[16:17]
	v_frexp_mant_f64_e64 v[26:27], |v[20:21]|
	v_cndmask_b32_e64 v52, v45, 0, s[20:21]
	v_cmp_gt_f64_e64 s[20:21], s[36:37], v[62:63]
	s_and_b64 s[18:19], s[10:11], s[18:19]
	v_trunc_f64_e32 v[30:31], v[18:19]
	v_mul_f64 v[32:33], v[18:19], 0.5
	v_frexp_exp_i32_f64_e32 v57, v[20:21]
	v_cndmask_b32_e64 v65, 0, 1, s[20:21]
	v_subbrev_co_u32_e64 v68, s[20:21], 0, v53, s[20:21]
	v_cndmask_b32_e64 v56, v42, v17, s[18:19]
	v_cndmask_b32_e64 v54, 0, v17, s[18:19]
	v_cmp_gt_f64_e64 s[18:19], s[36:37], v[26:27]
	v_trunc_f64_e32 v[34:35], v[14:15]
	v_mul_f64 v[36:37], v[14:15], 0.5
	v_cmp_eq_f64_e64 s[14:15], v[30:31], v[18:19]
	v_trunc_f64_e32 v[30:31], v[32:33]
	v_cmp_neq_f64_e64 s[20:21], |v[16:17]|, 1.0
	v_cndmask_b32_e64 v66, 0, 1, s[18:19]
	v_subbrev_co_u32_e64 v72, s[18:19], 0, v57, s[18:19]
	v_cmp_eq_f64_e64 s[12:13], v[34:35], v[14:15]
	v_trunc_f64_e32 v[34:35], v[36:37]
	v_cndmask_b32_e64 v48, v42, v48, s[20:21]
	v_cmp_neq_f64_e64 s[20:21], v[30:31], v[32:33]
	v_cmp_neq_f64_e64 s[18:19], |v[20:21]|, 1.0
	v_frexp_mant_f64_e64 v[28:29], |v[22:23]|
	s_and_b64 s[20:21], s[14:15], s[20:21]
	v_cndmask_b32_e64 v51, v42, v51, s[18:19]
	v_cmp_neq_f64_e64 s[18:19], v[34:35], v[36:37]
	v_frexp_exp_i32_f64_e32 v32, v[22:23]
	v_frexp_mant_f64_e64 v[30:31], |v[24:25]|
	v_cndmask_b32_e64 v58, v42, v21, s[20:21]
	v_cndmask_b32_e64 v57, 0, v21, s[20:21]
	v_cmp_gt_f64_e64 s[20:21], s[36:37], v[28:29]
	s_and_b64 s[18:19], s[12:13], s[18:19]
	v_trunc_f64_e32 v[38:39], v[12:13]
	v_mul_f64 v[40:41], v[12:13], 0.5
	v_cndmask_b32_e64 v34, 0, 1, s[20:21]
	v_subbrev_co_u32_e64 v76, s[20:21], 0, v32, s[20:21]
	v_cndmask_b32_e64 v59, v42, v23, s[18:19]
	v_cndmask_b32_e64 v60, 0, v23, s[18:19]
	v_cmp_gt_f64_e64 s[18:19], s[36:37], v[30:31]
	v_cmp_eq_f64_e64 s[16:17], v[38:39], v[12:13]
	v_trunc_f64_e32 v[38:39], v[40:41]
	v_frexp_exp_i32_f64_e32 v33, v[24:25]
	v_cmp_neq_f64_e64 s[20:21], |v[22:23]|, 1.0
	v_cndmask_b32_e64 v35, 0, 1, s[18:19]
	v_ldexp_f64 v[26:27], v[26:27], v66
	v_cndmask_b32_e64 v53, v42, v55, s[20:21]
	v_cmp_neq_f64_e64 s[20:21], v[38:39], v[40:41]
	v_subbrev_co_u32_e64 v40, s[18:19], 0, v33, s[18:19]
	v_ldexp_f64 v[32:33], v[62:63], v65
	v_ldexp_f64 v[30:31], v[30:31], v35
	;; [unrolled: 1-line block ×3, first 2 shown]
	v_add_f64 v[66:67], v[32:33], 1.0
	v_add_f64 v[70:71], v[26:27], 1.0
	;; [unrolled: 1-line block ×3, first 2 shown]
	v_cvt_f64_i32_e32 v[34:35], v68
	v_cvt_f64_i32_e32 v[36:37], v72
	v_add_f64 v[74:75], v[28:29], 1.0
	v_cvt_f64_i32_e32 v[40:41], v40
	v_rcp_f64_e32 v[82:83], v[66:67]
	v_rcp_f64_e32 v[88:89], v[70:71]
	;; [unrolled: 1-line block ×3, first 2 shown]
	v_cmp_neq_f64_e64 s[18:19], |v[24:25]|, 1.0
	v_cvt_f64_i32_e32 v[38:39], v76
	v_add_f64 v[80:81], v[66:67], -1.0
	v_mul_f64 v[84:85], v[34:35], s[56:57]
	v_mul_f64 v[90:91], v[36:37], s[56:57]
	v_rcp_f64_e32 v[94:95], v[74:75]
	v_mul_f64 v[102:103], v[40:41], s[56:57]
	v_cndmask_b32_e64 v55, v42, v64, s[18:19]
	v_add_f64 v[64:65], v[32:33], -1.0
	v_mul_f64 v[96:97], v[38:39], s[56:57]
	v_add_f64 v[80:81], v[32:33], -v[80:81]
	v_fma_f64 v[32:33], v[34:35], s[56:57], -v[84:85]
	v_fma_f64 v[104:105], v[36:37], s[56:57], -v[90:91]
	;; [unrolled: 1-line block ×3, first 2 shown]
	v_add_f64 v[86:87], v[70:71], -1.0
	v_add_f64 v[98:99], v[78:79], -1.0
	v_fma_f64 v[106:107], v[38:39], s[56:57], -v[96:97]
	v_fmac_f64_e32 v[32:33], s[60:61], v[34:35]
	v_fmac_f64_e32 v[104:105], s[60:61], v[36:37]
	;; [unrolled: 1-line block ×3, first 2 shown]
	v_add_f64 v[68:69], v[26:27], -1.0
	v_add_f64 v[76:77], v[30:31], -1.0
	;; [unrolled: 1-line block ×3, first 2 shown]
	v_add_f64 v[86:87], v[26:27], -v[86:87]
	v_add_f64 v[98:99], v[30:31], -v[98:99]
	v_fmac_f64_e32 v[106:107], s[60:61], v[38:39]
	v_add_f64 v[40:41], v[84:85], v[32:33]
	v_add_f64 v[38:39], v[90:91], v[104:105]
	;; [unrolled: 1-line block ×3, first 2 shown]
	v_fma_f64 v[26:27], -v[66:67], v[82:83], 1.0
	v_fma_f64 v[30:31], -v[70:71], v[88:89], 1.0
	v_fma_f64 v[110:111], -v[78:79], v[100:101], 1.0
	v_add_f64 v[72:73], v[28:29], -1.0
	v_add_f64 v[92:93], v[28:29], -v[92:93]
	v_add_f64 v[28:29], v[40:41], -v[84:85]
	;; [unrolled: 1-line block ×3, first 2 shown]
	v_fma_f64 v[90:91], -v[74:75], v[94:95], 1.0
	v_add_f64 v[102:103], v[34:35], -v[102:103]
	v_fmac_f64_e32 v[82:83], v[26:27], v[82:83]
	v_fmac_f64_e32 v[88:89], v[30:31], v[88:89]
	;; [unrolled: 1-line block ×3, first 2 shown]
	v_add_f64 v[36:37], v[96:97], v[106:107]
	v_add_f64 v[26:27], v[32:33], -v[28:29]
	v_add_f64 v[28:29], v[104:105], -v[84:85]
	v_fmac_f64_e32 v[94:95], v[90:91], v[94:95]
	v_add_f64 v[32:33], v[108:109], -v[102:103]
	v_fma_f64 v[84:85], -v[66:67], v[82:83], 1.0
	v_fma_f64 v[90:91], -v[70:71], v[88:89], 1.0
	;; [unrolled: 1-line block ×3, first 2 shown]
	v_add_f64 v[96:97], v[36:37], -v[96:97]
	v_fmac_f64_e32 v[82:83], v[84:85], v[82:83]
	v_fmac_f64_e32 v[88:89], v[90:91], v[88:89]
	;; [unrolled: 1-line block ×3, first 2 shown]
	v_add_f64 v[30:31], v[106:107], -v[96:97]
	v_fma_f64 v[96:97], -v[74:75], v[94:95], 1.0
	v_mul_f64 v[84:85], v[64:65], v[82:83]
	v_mul_f64 v[90:91], v[68:69], v[88:89]
	v_mul_f64 v[102:103], v[76:77], v[100:101]
	v_fmac_f64_e32 v[94:95], v[96:97], v[94:95]
	v_mul_f64 v[104:105], v[66:67], v[84:85]
	v_mul_f64 v[106:107], v[70:71], v[90:91]
	;; [unrolled: 1-line block ×4, first 2 shown]
	v_fma_f64 v[66:67], v[84:85], v[66:67], -v[104:105]
	v_fma_f64 v[70:71], v[90:91], v[70:71], -v[106:107]
	;; [unrolled: 1-line block ×3, first 2 shown]
	v_mul_f64 v[108:109], v[74:75], v[96:97]
	v_fmac_f64_e32 v[66:67], v[84:85], v[80:81]
	v_fmac_f64_e32 v[70:71], v[90:91], v[86:87]
	;; [unrolled: 1-line block ×3, first 2 shown]
	v_fma_f64 v[74:75], v[96:97], v[74:75], -v[108:109]
	v_add_f64 v[80:81], v[104:105], v[66:67]
	v_add_f64 v[86:87], v[106:107], v[70:71]
	;; [unrolled: 1-line block ×3, first 2 shown]
	v_fmac_f64_e32 v[74:75], v[96:97], v[92:93]
	v_add_f64 v[112:113], v[64:65], -v[80:81]
	v_add_f64 v[114:115], v[68:69], -v[86:87]
	;; [unrolled: 1-line block ×3, first 2 shown]
	v_add_f64 v[92:93], v[108:109], v[74:75]
	v_add_f64 v[104:105], v[80:81], -v[104:105]
	v_add_f64 v[106:107], v[86:87], -v[106:107]
	v_add_f64 v[110:111], v[98:99], -v[110:111]
	v_add_f64 v[64:65], v[64:65], -v[112:113]
	v_add_f64 v[68:69], v[68:69], -v[114:115]
	v_add_f64 v[76:77], v[76:77], -v[118:119]
	v_add_f64 v[116:117], v[72:73], -v[92:93]
	v_add_f64 v[66:67], v[104:105], -v[66:67]
	v_add_f64 v[70:71], v[106:107], -v[70:71]
	v_add_f64 v[78:79], v[110:111], -v[78:79]
	v_add_f64 v[64:65], v[64:65], -v[80:81]
	v_add_f64 v[68:69], v[68:69], -v[86:87]
	v_add_f64 v[76:77], v[76:77], -v[98:99]
	v_add_f64 v[108:109], v[92:93], -v[108:109]
	v_add_f64 v[72:73], v[72:73], -v[116:117]
	v_add_f64 v[64:65], v[66:67], v[64:65]
	v_add_f64 v[66:67], v[70:71], v[68:69]
	;; [unrolled: 1-line block ×3, first 2 shown]
	v_add_f64 v[74:75], v[108:109], -v[74:75]
	v_add_f64 v[72:73], v[72:73], -v[92:93]
	v_add_f64 v[64:65], v[112:113], v[64:65]
	v_add_f64 v[70:71], v[118:119], v[70:71]
	;; [unrolled: 1-line block ×4, first 2 shown]
	v_mul_f64 v[64:65], v[82:83], v[64:65]
	v_mul_f64 v[70:71], v[100:101], v[70:71]
	v_add_f64 v[68:69], v[116:117], v[68:69]
	v_mul_f64 v[66:67], v[88:89], v[66:67]
	v_add_f64 v[72:73], v[84:85], v[64:65]
	v_add_f64 v[78:79], v[102:103], v[70:71]
	v_mul_f64 v[68:69], v[94:95], v[68:69]
	v_add_f64 v[74:75], v[90:91], v[66:67]
	v_add_f64 v[80:81], v[72:73], -v[84:85]
	v_add_f64 v[98:99], v[78:79], -v[102:103]
	v_add_f64 v[76:77], v[96:97], v[68:69]
	v_mul_f64 v[82:83], v[72:73], v[72:73]
	v_add_f64 v[86:87], v[74:75], -v[90:91]
	v_mul_f64 v[100:101], v[78:79], v[78:79]
	v_add_f64 v[64:65], v[64:65], -v[80:81]
	v_add_f64 v[70:71], v[70:71], -v[98:99]
	v_mul_f64 v[88:89], v[74:75], v[74:75]
	v_add_f64 v[92:93], v[76:77], -v[96:97]
	v_fma_f64 v[80:81], v[72:73], v[72:73], -v[82:83]
	v_add_f64 v[66:67], v[66:67], -v[86:87]
	v_fma_f64 v[98:99], v[78:79], v[78:79], -v[100:101]
	v_add_f64 v[104:105], v[64:65], v[64:65]
	v_add_f64 v[116:117], v[70:71], v[70:71]
	v_mul_f64 v[94:95], v[76:77], v[76:77]
	v_fma_f64 v[86:87], v[74:75], v[74:75], -v[88:89]
	v_add_f64 v[68:69], v[68:69], -v[92:93]
	v_add_f64 v[108:109], v[66:67], v[66:67]
	v_fmac_f64_e32 v[80:81], v[72:73], v[104:105]
	v_fmac_f64_e32 v[98:99], v[78:79], v[116:117]
	v_fma_f64 v[92:93], v[76:77], v[76:77], -v[94:95]
	v_add_f64 v[112:113], v[68:69], v[68:69]
	v_fmac_f64_e32 v[86:87], v[74:75], v[108:109]
	v_add_f64 v[104:105], v[82:83], v[80:81]
	v_add_f64 v[116:117], v[100:101], v[98:99]
	v_fmac_f64_e32 v[92:93], v[76:77], v[112:113]
	v_add_f64 v[108:109], v[88:89], v[86:87]
	v_add_f64 v[82:83], v[104:105], -v[82:83]
	v_mul_f64 v[122:123], v[72:73], v[104:105]
	v_add_f64 v[100:101], v[116:117], -v[100:101]
	v_add_f64 v[112:113], v[94:95], v[92:93]
	v_add_f64 v[88:89], v[108:109], -v[88:89]
	v_add_f64 v[80:81], v[80:81], -v[82:83]
	v_mul_f64 v[82:83], v[74:75], v[108:109]
	v_add_f64 v[98:99], v[98:99], -v[100:101]
	v_fma_f64 v[100:101], v[104:105], v[72:73], -v[122:123]
	v_ldexp_f64 v[106:107], v[64:65], 1
	v_add_f64 v[94:95], v[112:113], -v[94:95]
	v_add_f64 v[86:87], v[86:87], -v[88:89]
	v_mul_f64 v[88:89], v[76:77], v[112:113]
	v_fmac_f64_e32 v[100:101], v[104:105], v[64:65]
	v_fma_f64 v[64:65], v[108:109], v[74:75], -v[82:83]
	v_ldexp_f64 v[110:111], v[66:67], 1
	v_fma_f64 v[120:121], s[40:41], v[104:105], v[4:5]
	v_add_f64 v[92:93], v[92:93], -v[94:95]
	v_mul_f64 v[94:95], v[78:79], v[116:117]
	v_fmac_f64_e32 v[64:65], v[108:109], v[66:67]
	v_fma_f64 v[66:67], v[112:113], v[76:77], -v[88:89]
	v_ldexp_f64 v[114:115], v[68:69], 1
	v_fmac_f64_e32 v[66:67], v[112:113], v[68:69]
	v_fma_f64 v[68:69], v[116:117], v[78:79], -v[94:95]
	v_fma_f64 v[120:121], v[104:105], v[120:121], s[42:43]
	v_ldexp_f64 v[84:85], v[72:73], 1
	v_ldexp_f64 v[90:91], v[74:75], 1
	;; [unrolled: 1-line block ×3, first 2 shown]
	v_fmac_f64_e32 v[68:69], v[116:117], v[70:71]
	v_fma_f64 v[70:71], s[40:41], v[108:109], v[4:5]
	v_fmac_f64_e32 v[100:101], v[80:81], v[72:73]
	v_fma_f64 v[72:73], s[40:41], v[112:113], v[4:5]
	;; [unrolled: 2-line block ×3, first 2 shown]
	v_fma_f64 v[120:121], v[104:105], v[120:121], s[44:45]
	v_fma_f64 v[70:71], v[108:109], v[70:71], s[42:43]
	;; [unrolled: 1-line block ×5, first 2 shown]
	v_ldexp_f64 v[96:97], v[76:77], 1
	v_ldexp_f64 v[102:103], v[78:79], 1
	v_fma_f64 v[70:71], v[108:109], v[70:71], s[44:45]
	v_fma_f64 v[72:73], v[112:113], v[72:73], s[44:45]
	v_fma_f64 v[74:75], v[116:117], v[74:75], s[44:45]
	v_fmac_f64_e32 v[66:67], v[92:93], v[76:77]
	v_fmac_f64_e32 v[68:69], v[98:99], v[78:79]
	v_fma_f64 v[76:77], v[104:105], v[120:121], s[48:49]
	v_add_f64 v[78:79], v[122:123], v[100:101]
	v_fma_f64 v[70:71], v[108:109], v[70:71], s[46:47]
	v_fma_f64 v[72:73], v[112:113], v[72:73], s[46:47]
	;; [unrolled: 1-line block ×3, first 2 shown]
	v_add_f64 v[122:123], v[78:79], -v[122:123]
	v_fma_f64 v[76:77], v[104:105], v[76:77], s[50:51]
	v_fma_f64 v[70:71], v[108:109], v[70:71], s[48:49]
	v_add_f64 v[120:121], v[82:83], v[64:65]
	v_fma_f64 v[72:73], v[112:113], v[72:73], s[48:49]
	v_add_f64 v[100:101], v[100:101], -v[122:123]
	v_add_f64 v[122:123], v[88:89], v[66:67]
	v_fma_f64 v[74:75], v[116:117], v[74:75], s[48:49]
	v_fma_f64 v[76:77], v[104:105], v[76:77], s[52:53]
	v_add_f64 v[82:83], v[120:121], -v[82:83]
	v_fma_f64 v[70:71], v[108:109], v[70:71], s[50:51]
	v_fma_f64 v[72:73], v[112:113], v[72:73], s[50:51]
	v_add_f64 v[88:89], v[122:123], -v[88:89]
	;; [unrolled: 3-line block ×3, first 2 shown]
	v_add_f64 v[82:83], v[94:95], v[68:69]
	v_fma_f64 v[70:71], v[108:109], v[70:71], s[52:53]
	v_fma_f64 v[72:73], v[112:113], v[72:73], s[52:53]
	v_add_f64 v[66:67], v[66:67], -v[88:89]
	v_fma_f64 v[74:75], v[116:117], v[74:75], s[52:53]
	v_mul_f64 v[88:89], v[104:105], v[76:77]
	v_add_f64 v[94:95], v[82:83], -v[94:95]
	v_fma_f64 v[70:71], v[108:109], v[70:71], s[54:55]
	v_fma_f64 v[72:73], v[112:113], v[72:73], s[54:55]
	;; [unrolled: 1-line block ×3, first 2 shown]
	v_fma_f64 v[104:105], v[104:105], v[76:77], -v[88:89]
	v_add_f64 v[68:69], v[68:69], -v[94:95]
	v_mul_f64 v[94:95], v[108:109], v[70:71]
	v_fmac_f64_e32 v[104:105], v[80:81], v[76:77]
	v_mul_f64 v[76:77], v[112:113], v[72:73]
	v_mul_f64 v[80:81], v[116:117], v[74:75]
	v_fma_f64 v[108:109], v[108:109], v[70:71], -v[94:95]
	v_fma_f64 v[112:113], v[112:113], v[72:73], -v[76:77]
	;; [unrolled: 1-line block ×3, first 2 shown]
	v_fmac_f64_e32 v[108:109], v[86:87], v[70:71]
	v_fmac_f64_e32 v[112:113], v[92:93], v[72:73]
	;; [unrolled: 1-line block ×3, first 2 shown]
	v_add_f64 v[70:71], v[88:89], v[104:105]
	v_add_f64 v[72:73], v[94:95], v[108:109]
	;; [unrolled: 1-line block ×4, first 2 shown]
	v_add_f64 v[88:89], v[70:71], -v[88:89]
	v_add_f64 v[92:93], v[70:71], s[36:37]
	v_add_f64 v[94:95], v[72:73], -v[94:95]
	v_add_f64 v[98:99], v[72:73], s[36:37]
	v_add_f64 v[76:77], v[74:75], -v[76:77]
	v_add_f64 v[80:81], v[86:87], -v[80:81]
	;; [unrolled: 1-line block ×3, first 2 shown]
	v_add_f64 v[104:105], v[74:75], s[36:37]
	v_add_f64 v[94:95], v[108:109], -v[94:95]
	v_add_f64 v[108:109], v[86:87], s[36:37]
	v_add_f64 v[76:77], v[112:113], -v[76:77]
	;; [unrolled: 2-line block ×5, first 2 shown]
	v_add_f64 v[116:117], v[108:109], s[38:39]
	v_add_f64 v[88:89], v[88:89], s[64:65]
	v_add_f64 v[74:75], v[74:75], -v[112:113]
	v_add_f64 v[76:77], v[76:77], s[64:65]
	v_add_f64 v[86:87], v[86:87], -v[116:117]
	v_add_f64 v[80:81], v[80:81], s[64:65]
	v_add_f64 v[70:71], v[88:89], v[70:71]
	;; [unrolled: 1-line block ×7, first 2 shown]
	v_add_f64 v[92:93], v[92:93], -v[80:81]
	v_mul_f64 v[112:113], v[78:79], v[80:81]
	v_add_f64 v[86:87], v[98:99], v[72:73]
	v_add_f64 v[88:89], v[104:105], v[74:75]
	;; [unrolled: 1-line block ×4, first 2 shown]
	v_fma_f64 v[92:93], v[78:79], v[80:81], -v[112:113]
	v_add_f64 v[98:99], v[98:99], -v[86:87]
	v_mul_f64 v[116:117], v[120:121], v[86:87]
	v_add_f64 v[104:105], v[104:105], -v[88:89]
	v_fmac_f64_e32 v[92:93], v[78:79], v[70:71]
	v_mul_f64 v[70:71], v[122:123], v[88:89]
	v_add_f64 v[78:79], v[108:109], -v[94:95]
	v_mul_f64 v[108:109], v[82:83], v[94:95]
	v_add_f64 v[72:73], v[72:73], v[98:99]
	v_fma_f64 v[98:99], v[120:121], v[86:87], -v[116:117]
	v_add_f64 v[74:75], v[74:75], v[104:105]
	v_fma_f64 v[104:105], v[122:123], v[88:89], -v[70:71]
	;; [unrolled: 2-line block ×3, first 2 shown]
	v_fmac_f64_e32 v[98:99], v[120:121], v[72:73]
	v_fmac_f64_e32 v[104:105], v[122:123], v[74:75]
	;; [unrolled: 1-line block ×7, first 2 shown]
	v_add_f64 v[64:65], v[112:113], v[92:93]
	v_add_f64 v[68:69], v[70:71], v[104:105]
	;; [unrolled: 1-line block ×3, first 2 shown]
	v_add_f64 v[74:75], v[64:65], -v[112:113]
	v_add_f64 v[76:77], v[84:85], v[64:65]
	v_add_f64 v[66:67], v[116:117], v[98:99]
	v_add_f64 v[70:71], v[68:69], -v[70:71]
	v_add_f64 v[86:87], v[96:97], v[68:69]
	v_add_f64 v[88:89], v[72:73], -v[108:109]
	;; [unrolled: 2-line block ×3, first 2 shown]
	v_add_f64 v[84:85], v[76:77], -v[84:85]
	v_add_f64 v[80:81], v[66:67], -v[116:117]
	v_add_f64 v[82:83], v[90:91], v[66:67]
	v_add_f64 v[70:71], v[104:105], -v[70:71]
	v_add_f64 v[92:93], v[86:87], -v[96:97]
	;; [unrolled: 1-line block ×5, first 2 shown]
	v_add_f64 v[74:75], v[106:107], v[74:75]
	v_add_f64 v[80:81], v[98:99], -v[80:81]
	v_add_f64 v[90:91], v[82:83], -v[90:91]
	;; [unrolled: 1-line block ×3, first 2 shown]
	v_add_f64 v[70:71], v[114:115], v[70:71]
	v_add_f64 v[72:73], v[72:73], -v[88:89]
	v_add_f64 v[78:79], v[118:119], v[78:79]
	v_add_f64 v[64:65], v[74:75], v[64:65]
	v_add_f64 v[66:67], v[66:67], -v[90:91]
	v_add_f64 v[80:81], v[110:111], v[80:81]
	v_add_f64 v[68:69], v[70:71], v[68:69]
	;; [unrolled: 1-line block ×6, first 2 shown]
	v_add_f64 v[76:77], v[72:73], -v[76:77]
	v_add_f64 v[84:85], v[40:41], v[72:73]
	v_add_f64 v[74:75], v[82:83], v[66:67]
	v_add_f64 v[92:93], v[80:81], -v[94:95]
	v_add_f64 v[94:95], v[34:35], v[80:81]
	v_add_f64 v[64:65], v[64:65], -v[76:77]
	v_add_f64 v[76:77], v[84:85], -v[40:41]
	v_add_f64 v[78:79], v[86:87], v[68:69]
	v_add_f64 v[82:83], v[74:75], -v[82:83]
	v_add_f64 v[88:89], v[38:39], v[74:75]
	v_add_f64 v[70:71], v[70:71], -v[92:93]
	v_add_f64 v[92:93], v[94:95], -v[34:35]
	;; [unrolled: 1-line block ×4, first 2 shown]
	v_add_f64 v[76:77], v[26:27], v[64:65]
	v_add_f64 v[86:87], v[78:79], -v[86:87]
	v_add_f64 v[90:91], v[36:37], v[78:79]
	v_add_f64 v[66:67], v[66:67], -v[82:83]
	v_add_f64 v[82:83], v[88:89], -v[38:39]
	;; [unrolled: 1-line block ×4, first 2 shown]
	v_add_f64 v[92:93], v[32:33], v[70:71]
	v_add_f64 v[40:41], v[40:41], -v[96:97]
	v_add_f64 v[96:97], v[76:77], -v[26:27]
	v_add_f64 v[68:69], v[68:69], -v[86:87]
	v_add_f64 v[86:87], v[90:91], -v[36:37]
	v_add_f64 v[98:99], v[88:89], -v[82:83]
	v_add_f64 v[74:75], v[74:75], -v[82:83]
	v_add_f64 v[82:83], v[28:29], v[66:67]
	v_add_f64 v[34:35], v[34:35], -v[102:103]
	v_add_f64 v[102:103], v[92:93], -v[32:33]
	v_add_f64 v[40:41], v[72:73], v[40:41]
	v_add_f64 v[72:73], v[76:77], -v[96:97]
	v_add_f64 v[100:101], v[90:91], -v[86:87]
	v_add_f64 v[78:79], v[78:79], -v[86:87]
	v_add_f64 v[86:87], v[30:31], v[68:69]
	v_add_f64 v[38:39], v[38:39], -v[98:99]
	;; [unrolled: 4-line block ×3, first 2 shown]
	v_add_f64 v[26:27], v[26:27], -v[72:73]
	v_add_f64 v[40:41], v[76:77], v[40:41]
	v_add_f64 v[36:37], v[36:37], -v[100:101]
	v_add_f64 v[100:101], v[86:87], -v[30:31]
	v_add_f64 v[38:39], v[74:75], v[38:39]
	v_add_f64 v[74:75], v[82:83], -v[98:99]
	v_add_f64 v[70:71], v[70:71], -v[102:103]
	;; [unrolled: 1-line block ×3, first 2 shown]
	v_add_f64 v[34:35], v[92:93], v[34:35]
	v_add_f64 v[26:27], v[64:65], v[26:27]
	;; [unrolled: 1-line block ×3, first 2 shown]
	v_add_f64 v[66:67], v[66:67], -v[98:99]
	v_add_f64 v[36:37], v[78:79], v[36:37]
	v_add_f64 v[78:79], v[86:87], -v[100:101]
	v_add_f64 v[28:29], v[28:29], -v[74:75]
	v_add_f64 v[38:39], v[82:83], v[38:39]
	v_add_f64 v[32:33], v[70:71], v[32:33]
	v_add_f64 v[70:71], v[94:95], v[34:35]
	v_add_f64 v[72:73], v[64:65], -v[84:85]
	v_add_f64 v[68:69], v[68:69], -v[100:101]
	;; [unrolled: 1-line block ×3, first 2 shown]
	v_add_f64 v[36:37], v[86:87], v[36:37]
	v_add_f64 v[28:29], v[66:67], v[28:29]
	;; [unrolled: 1-line block ×3, first 2 shown]
	v_add_f64 v[78:79], v[70:71], -v[94:95]
	v_add_f64 v[40:41], v[40:41], -v[72:73]
	v_add_f64 v[30:31], v[68:69], v[30:31]
	v_add_f64 v[68:69], v[90:91], v[36:37]
	v_add_f64 v[74:75], v[66:67], -v[88:89]
	v_add_f64 v[34:35], v[34:35], -v[78:79]
	v_add_f64 v[26:27], v[26:27], v[40:41]
	v_add_f64 v[76:77], v[68:69], -v[90:91]
	v_add_f64 v[38:39], v[38:39], -v[74:75]
	v_add_f64 v[32:33], v[32:33], v[34:35]
	v_add_f64 v[34:35], v[64:65], v[26:27]
	v_add_f64 v[36:37], v[36:37], -v[76:77]
	v_add_f64 v[28:29], v[28:29], v[38:39]
	v_add_f64 v[64:65], v[34:35], -v[64:65]
	v_mul_f64 v[72:73], v[8:9], v[34:35]
	v_add_f64 v[30:31], v[30:31], v[36:37]
	v_add_f64 v[36:37], v[66:67], v[28:29]
	v_add_f64 v[26:27], v[26:27], -v[64:65]
	v_fma_f64 v[34:35], v[8:9], v[34:35], -v[72:73]
	s_and_b64 s[20:21], s[16:17], s[20:21]
	v_add_f64 v[66:67], v[36:37], -v[66:67]
	v_mul_f64 v[74:75], v[18:19], v[36:37]
	v_fmac_f64_e32 v[34:35], v[8:9], v[26:27]
	v_cndmask_b32_e64 v61, v42, v25, s[20:21]
	v_cndmask_b32_e64 v62, 0, v25, s[20:21]
	v_add_f64 v[38:39], v[68:69], v[30:31]
	v_add_f64 v[28:29], v[28:29], -v[66:67]
	v_fma_f64 v[36:37], v[18:19], v[36:37], -v[74:75]
	v_add_f64 v[26:27], v[72:73], v[34:35]
	v_cmp_class_f64_e64 s[20:21], v[72:73], s33
	v_add_f64 v[68:69], v[38:39], -v[68:69]
	v_mul_f64 v[76:77], v[14:15], v[38:39]
	v_fmac_f64_e32 v[36:37], v[18:19], v[28:29]
	v_cndmask_b32_e64 v65, v27, v73, s[20:21]
	v_cndmask_b32_e64 v64, v26, v72, s[20:21]
	v_add_f64 v[26:27], v[26:27], -v[72:73]
	v_add_f64 v[40:41], v[70:71], v[32:33]
	v_add_f64 v[30:31], v[30:31], -v[68:69]
	v_fma_f64 v[38:39], v[14:15], v[38:39], -v[76:77]
	v_add_f64 v[28:29], v[74:75], v[36:37]
	v_cmp_class_f64_e64 s[20:21], v[74:75], s33
	v_add_f64 v[26:27], v[34:35], -v[26:27]
	v_mul_f64 v[34:35], v[64:65], s[68:69]
	v_add_f64 v[70:71], v[40:41], -v[70:71]
	v_mul_f64 v[78:79], v[12:13], v[40:41]
	v_fmac_f64_e32 v[38:39], v[14:15], v[30:31]
	v_cndmask_b32_e64 v67, v29, v75, s[20:21]
	v_cndmask_b32_e64 v66, v28, v74, s[20:21]
	v_add_f64 v[28:29], v[28:29], -v[74:75]
	v_rndne_f64_e32 v[34:35], v[34:35]
	v_add_f64 v[32:33], v[32:33], -v[70:71]
	v_fma_f64 v[40:41], v[12:13], v[40:41], -v[78:79]
	v_add_f64 v[30:31], v[76:77], v[38:39]
	v_cmp_class_f64_e64 s[18:19], v[76:77], s33
	v_add_f64 v[28:29], v[36:37], -v[28:29]
	v_mul_f64 v[36:37], v[66:67], s[68:69]
	v_fma_f64 v[72:73], s[58:59], v[34:35], v[64:65]
	v_fmac_f64_e32 v[40:41], v[12:13], v[32:33]
	v_add_f64 v[68:69], v[30:31], -v[76:77]
	v_cndmask_b32_e64 v31, v31, v77, s[18:19]
	v_cndmask_b32_e64 v30, v30, v76, s[18:19]
	v_rndne_f64_e32 v[36:37], v[36:37]
	v_fmac_f64_e32 v[72:73], s[62:63], v[34:35]
	v_add_f64 v[32:33], v[78:79], v[40:41]
	v_cmp_class_f64_e64 s[20:21], v[78:79], s33
	v_add_f64 v[38:39], v[38:39], -v[68:69]
	v_mul_f64 v[68:69], v[30:31], s[68:69]
	v_cvt_i32_f64_e32 v63, v[34:35]
	v_fma_f64 v[74:75], s[58:59], v[36:37], v[66:67]
	v_fma_f64 v[34:35], s[70:71], v[72:73], v[6:7]
	v_add_f64 v[70:71], v[32:33], -v[78:79]
	v_cndmask_b32_e64 v33, v33, v79, s[20:21]
	v_cndmask_b32_e64 v32, v32, v78, s[20:21]
	v_rndne_f64_e32 v[68:69], v[68:69]
	v_fmac_f64_e32 v[74:75], s[62:63], v[36:37]
	v_fma_f64 v[34:35], v[72:73], v[34:35], s[72:73]
	v_add_f64 v[40:41], v[40:41], -v[70:71]
	v_mul_f64 v[70:71], v[32:33], s[68:69]
	v_cvt_i32_f64_e32 v80, v[36:37]
	v_fma_f64 v[76:77], s[58:59], v[68:69], v[30:31]
	v_fma_f64 v[36:37], s[70:71], v[74:75], v[6:7]
	;; [unrolled: 1-line block ×3, first 2 shown]
	v_rndne_f64_e32 v[70:71], v[70:71]
	v_fmac_f64_e32 v[76:77], s[62:63], v[68:69]
	v_fma_f64 v[36:37], v[74:75], v[36:37], s[72:73]
	v_fma_f64 v[34:35], v[72:73], v[34:35], s[76:77]
	v_cvt_i32_f64_e32 v81, v[68:69]
	v_fma_f64 v[78:79], s[58:59], v[70:71], v[32:33]
	v_fma_f64 v[68:69], s[70:71], v[76:77], v[6:7]
	;; [unrolled: 1-line block ×4, first 2 shown]
	v_fmac_f64_e32 v[78:79], s[62:63], v[70:71]
	v_fma_f64 v[68:69], v[76:77], v[68:69], s[72:73]
	v_fma_f64 v[36:37], v[74:75], v[36:37], s[76:77]
	v_fma_f64 v[34:35], v[72:73], v[34:35], s[80:81]
	v_cvt_i32_f64_e32 v82, v[70:71]
	v_fma_f64 v[70:71], s[70:71], v[78:79], v[6:7]
	v_fma_f64 v[68:69], v[76:77], v[68:69], s[74:75]
	;; [unrolled: 1-line block ×12, first 2 shown]
	v_cmp_neq_f64_e64 s[20:21], |v[64:65]|, s[66:67]
	v_fma_f64 v[70:71], v[78:79], v[70:71], s[76:77]
	v_fma_f64 v[68:69], v[76:77], v[68:69], s[80:81]
	;; [unrolled: 1-line block ×3, first 2 shown]
	v_fma_f64 v[34:35], v[72:73], v[34:35], 1.0
	v_cmp_neq_f64_e64 s[18:19], |v[30:31]|, s[66:67]
	v_cndmask_b32_e64 v27, 0, v27, s[20:21]
	v_cndmask_b32_e64 v26, 0, v26, s[20:21]
	v_cmp_neq_f64_e64 s[20:21], |v[66:67]|, s[66:67]
	v_fma_f64 v[70:71], v[78:79], v[70:71], s[78:79]
	v_fma_f64 v[68:69], v[76:77], v[68:69], s[82:83]
	;; [unrolled: 1-line block ×3, first 2 shown]
	v_fma_f64 v[34:35], v[72:73], v[34:35], 1.0
	v_cndmask_b32_e64 v29, 0, v29, s[20:21]
	v_cndmask_b32_e64 v28, 0, v28, s[20:21]
	v_cmp_neq_f64_e64 s[20:21], |v[32:33]|, s[66:67]
	v_cndmask_b32_e64 v39, 0, v39, s[18:19]
	v_cndmask_b32_e64 v38, 0, v38, s[18:19]
	v_fma_f64 v[70:71], v[78:79], v[70:71], s[80:81]
	v_fma_f64 v[68:69], v[76:77], v[68:69], s[84:85]
	v_fma_f64 v[36:37], v[74:75], v[36:37], 1.0
	v_ldexp_f64 v[34:35], v[34:35], v63
	v_cmp_nlt_f64_e64 s[18:19], s[88:89], v[64:65]
	v_cndmask_b32_e64 v41, 0, v41, s[20:21]
	v_cndmask_b32_e64 v40, 0, v40, s[20:21]
	v_fma_f64 v[70:71], v[78:79], v[70:71], s[82:83]
	v_fma_f64 v[68:69], v[76:77], v[68:69], s[86:87]
	v_fma_f64 v[36:37], v[74:75], v[36:37], 1.0
	v_cndmask_b32_e64 v35, v45, v35, s[18:19]
	v_cmp_ngt_f64_e64 s[20:21], s[90:91], v[64:65]
	v_fma_f64 v[70:71], v[78:79], v[70:71], s[84:85]
	v_fma_f64 v[68:69], v[76:77], v[68:69], 1.0
	v_ldexp_f64 v[36:37], v[36:37], v80
	v_cndmask_b32_e64 v35, 0, v35, s[20:21]
	s_and_b64 s[18:19], s[20:21], s[18:19]
	v_cmp_nlt_f64_e64 s[20:21], s[88:89], v[66:67]
	v_fma_f64 v[70:71], v[78:79], v[70:71], s[86:87]
	v_fma_f64 v[68:69], v[76:77], v[68:69], 1.0
	v_cndmask_b32_e64 v37, v45, v37, s[20:21]
	v_cndmask_b32_e64 v34, 0, v34, s[18:19]
	v_cmp_ngt_f64_e64 s[18:19], s[90:91], v[66:67]
	v_fma_f64 v[70:71], v[78:79], v[70:71], 1.0
	v_ldexp_f64 v[68:69], v[68:69], v81
	v_cndmask_b32_e64 v37, 0, v37, s[18:19]
	s_and_b64 s[18:19], s[18:19], s[20:21]
	v_cmp_nlt_f64_e64 s[20:21], s[88:89], v[30:31]
	v_fma_f64 v[70:71], v[78:79], v[70:71], 1.0
	v_cndmask_b32_e64 v36, 0, v36, s[18:19]
	v_cndmask_b32_e64 v63, v45, v69, s[20:21]
	v_cmp_ngt_f64_e64 s[18:19], s[90:91], v[30:31]
	v_ldexp_f64 v[70:71], v[70:71], v82
	v_mov_b64_e32 v[64:65], v[34:35]
	v_cndmask_b32_e64 v31, 0, v63, s[18:19]
	s_and_b64 s[18:19], s[18:19], s[20:21]
	v_cmp_nlt_f64_e64 s[20:21], s[88:89], v[32:33]
	v_cndmask_b32_e64 v30, 0, v68, s[18:19]
	v_cmp_ngt_f64_e64 s[18:19], s[90:91], v[32:33]
	v_cndmask_b32_e64 v63, v45, v71, s[20:21]
	v_mov_b64_e32 v[66:67], v[36:37]
	v_cndmask_b32_e64 v33, 0, v63, s[18:19]
	s_and_b64 s[18:19], s[18:19], s[20:21]
	v_cndmask_b32_e64 v32, 0, v70, s[18:19]
	v_fmac_f64_e32 v[64:65], v[64:65], v[26:27]
	v_cmp_class_f64_e64 s[18:19], v[34:35], s33
	v_mov_b64_e32 v[68:69], v[30:31]
	v_fmac_f64_e32 v[66:67], v[66:67], v[28:29]
	v_cndmask_b32_e64 v26, v64, v34, s[18:19]
	v_cndmask_b32_e64 v27, v65, v35, s[18:19]
	v_cmp_class_f64_e64 s[18:19], v[36:37], s33
	v_mov_b64_e32 v[70:71], v[32:33]
	v_fmac_f64_e32 v[68:69], v[68:69], v[38:39]
	v_cndmask_b32_e64 v28, v66, v36, s[18:19]
	v_cndmask_b32_e64 v29, v67, v37, s[18:19]
	v_cmp_class_f64_e64 s[18:19], v[30:31], s33
	v_fmac_f64_e32 v[70:71], v[70:71], v[40:41]
	v_bfi_b32 v27, s92, v27, v56
	v_cndmask_b32_e64 v30, v68, v30, s[18:19]
	v_cndmask_b32_e64 v31, v69, v31, s[18:19]
	v_cmp_class_f64_e64 s[18:19], v[32:33], s33
	v_bfi_b32 v31, s92, v31, v59
	v_cndmask_b32_e64 v34, v46, v27, s[10:11]
	v_cndmask_b32_e64 v33, v71, v33, s[18:19]
	v_cndmask_b32_e64 v32, v70, v32, s[18:19]
	v_cndmask_b32_e64 v35, 0, v26, s[10:11]
	v_bfi_b32 v29, s92, v29, v58
	v_bfi_b32 v38, s92, v47, v54
	;; [unrolled: 1-line block ×4, first 2 shown]
	v_cndmask_b32_e64 v47, v46, v31, s[12:13]
	v_cndmask_b32_e64 v49, 0, v30, s[12:13]
	v_cmp_gt_f64_e64 s[12:13], 0, v[16:17]
	v_cmp_class_f64_e64 s[20:21], v[16:17], s33
	v_cndmask_b32_e64 v36, v46, v29, s[14:15]
	v_cndmask_b32_e64 v37, 0, v28, s[14:15]
	v_bfi_b32 v40, s92, v50, v60
	v_bfi_b32 v41, s92, v52, v62
	v_cndmask_b32_e64 v50, v46, v33, s[16:17]
	v_cndmask_b32_e64 v52, 0, v32, s[16:17]
	;; [unrolled: 1-line block ×4, first 2 shown]
	v_cmp_gt_f64_e64 s[12:13], 0, v[20:21]
	v_cmp_class_f64_e64 s[16:17], v[8:9], s33
	v_cmp_class_f64_e64 s[18:19], v[20:21], s33
	v_cmp_gt_f64_e64 s[10:11], 0, v[24:25]
	v_cndmask_b32_e64 v28, v28, v37, s[12:13]
	v_cndmask_b32_e64 v29, v29, v36, s[12:13]
	v_cmp_gt_f64_e64 s[12:13], 0, v[22:23]
	v_cndmask_b32_e64 v27, v27, v48, s[16:17]
	s_or_b64 s[2:3], s[2:3], s[20:21]
	v_cmp_class_f64_e64 s[94:95], v[22:23], s33
	v_cmp_class_f64_e64 s[96:97], v[24:25], s33
	v_cndmask_b32_e64 v30, v30, v49, s[12:13]
	v_cndmask_b32_e64 v31, v31, v47, s[12:13]
	;; [unrolled: 1-line block ×4, first 2 shown]
	v_cmp_class_f64_e64 s[10:11], v[12:13], s33
	v_cmp_class_f64_e64 s[12:13], v[18:19], s33
	s_or_b64 s[4:5], s[4:5], s[18:19]
	v_cmp_class_f64_e64 s[14:15], v[14:15], s33
	v_cndmask_b32_e64 v27, v27, v38, s[2:3]
	s_or_b64 s[2:3], s[2:3], s[16:17]
	v_cndmask_b32_e64 v29, v29, v51, s[12:13]
	v_cndmask_b32_e64 v31, v31, v53, s[14:15]
	s_or_b64 s[6:7], s[6:7], s[94:95]
	v_cndmask_b32_e64 v33, v33, v55, s[10:11]
	s_or_b64 s[8:9], s[8:9], s[96:97]
	;; [unrolled: 2-line block ×3, first 2 shown]
	v_cndmask_b32_e64 v29, v29, v39, s[4:5]
	v_cndmask_b32_e64 v28, v28, 0, s[2:3]
	v_cmp_o_f64_e64 s[2:3], v[20:21], v[18:19]
	v_cndmask_b32_e64 v18, v31, v40, s[6:7]
	s_or_b64 s[4:5], s[6:7], s[14:15]
	v_cndmask_b32_e64 v20, v33, v41, s[8:9]
	s_or_b64 s[6:7], s[8:9], s[10:11]
	v_cmp_o_f64_e64 s[8:9], v[16:17], v[8:9]
	v_cndmask_b32_e64 v19, v30, 0, s[4:5]
	v_cmp_o_f64_e64 s[4:5], v[22:23], v[14:15]
	v_cndmask_b32_e64 v21, v32, 0, s[6:7]
	;; [unrolled: 2-line block ×3, first 2 shown]
	v_cndmask_b32_e64 v13, v46, v27, s[8:9]
	v_cndmask_b32_e64 v14, 0, v28, s[2:3]
	;; [unrolled: 1-line block ×3, first 2 shown]
	s_or_b64 s[34:35], s[0:1], s[34:35]
	v_cndmask_b32_e64 v16, 0, v19, s[4:5]
	v_cndmask_b32_e64 v17, v46, v18, s[4:5]
	v_cndmask_b32_e64 v18, 0, v21, s[6:7]
	v_cndmask_b32_e64 v19, v46, v20, s[6:7]
	global_store_dwordx4 v[10:11], v[12:15], off
	global_store_dwordx4 v[10:11], v[16:19], off offset:16
	s_andn2_b64 exec, exec, s[34:35]
	s_cbranch_execnz .LBB77_24
.LBB77_25:
	s_endpgm
	.section	.rodata,"a",@progbits
	.p2align	6, 0x0
	.amdhsa_kernel _ZN2at6native12_GLOBAL__N_125multi_tensor_apply_kernelINS1_18TensorListMetadataILi2EEENS1_21BinaryOpScalarFunctorIdLi2ELi1ELi1EEEJNS1_21reverse_power_functorIdEEdEEEvT_T0_DpT1_
		.amdhsa_group_segment_fixed_size 0
		.amdhsa_private_segment_fixed_size 0
		.amdhsa_kernarg_size 3416
		.amdhsa_user_sgpr_count 2
		.amdhsa_user_sgpr_dispatch_ptr 0
		.amdhsa_user_sgpr_queue_ptr 0
		.amdhsa_user_sgpr_kernarg_segment_ptr 1
		.amdhsa_user_sgpr_dispatch_id 0
		.amdhsa_user_sgpr_kernarg_preload_length 0
		.amdhsa_user_sgpr_kernarg_preload_offset 0
		.amdhsa_user_sgpr_private_segment_size 0
		.amdhsa_uses_dynamic_stack 0
		.amdhsa_enable_private_segment 0
		.amdhsa_system_sgpr_workgroup_id_x 1
		.amdhsa_system_sgpr_workgroup_id_y 0
		.amdhsa_system_sgpr_workgroup_id_z 0
		.amdhsa_system_sgpr_workgroup_info 0
		.amdhsa_system_vgpr_workitem_id 0
		.amdhsa_next_free_vgpr 124
		.amdhsa_next_free_sgpr 98
		.amdhsa_accum_offset 124
		.amdhsa_reserve_vcc 1
		.amdhsa_float_round_mode_32 0
		.amdhsa_float_round_mode_16_64 0
		.amdhsa_float_denorm_mode_32 3
		.amdhsa_float_denorm_mode_16_64 3
		.amdhsa_dx10_clamp 1
		.amdhsa_ieee_mode 1
		.amdhsa_fp16_overflow 0
		.amdhsa_tg_split 0
		.amdhsa_exception_fp_ieee_invalid_op 0
		.amdhsa_exception_fp_denorm_src 0
		.amdhsa_exception_fp_ieee_div_zero 0
		.amdhsa_exception_fp_ieee_overflow 0
		.amdhsa_exception_fp_ieee_underflow 0
		.amdhsa_exception_fp_ieee_inexact 0
		.amdhsa_exception_int_div_zero 0
	.end_amdhsa_kernel
	.section	.text._ZN2at6native12_GLOBAL__N_125multi_tensor_apply_kernelINS1_18TensorListMetadataILi2EEENS1_21BinaryOpScalarFunctorIdLi2ELi1ELi1EEEJNS1_21reverse_power_functorIdEEdEEEvT_T0_DpT1_,"axG",@progbits,_ZN2at6native12_GLOBAL__N_125multi_tensor_apply_kernelINS1_18TensorListMetadataILi2EEENS1_21BinaryOpScalarFunctorIdLi2ELi1ELi1EEEJNS1_21reverse_power_functorIdEEdEEEvT_T0_DpT1_,comdat
.Lfunc_end77:
	.size	_ZN2at6native12_GLOBAL__N_125multi_tensor_apply_kernelINS1_18TensorListMetadataILi2EEENS1_21BinaryOpScalarFunctorIdLi2ELi1ELi1EEEJNS1_21reverse_power_functorIdEEdEEEvT_T0_DpT1_, .Lfunc_end77-_ZN2at6native12_GLOBAL__N_125multi_tensor_apply_kernelINS1_18TensorListMetadataILi2EEENS1_21BinaryOpScalarFunctorIdLi2ELi1ELi1EEEJNS1_21reverse_power_functorIdEEdEEEvT_T0_DpT1_
                                        ; -- End function
	.set _ZN2at6native12_GLOBAL__N_125multi_tensor_apply_kernelINS1_18TensorListMetadataILi2EEENS1_21BinaryOpScalarFunctorIdLi2ELi1ELi1EEEJNS1_21reverse_power_functorIdEEdEEEvT_T0_DpT1_.num_vgpr, 124
	.set _ZN2at6native12_GLOBAL__N_125multi_tensor_apply_kernelINS1_18TensorListMetadataILi2EEENS1_21BinaryOpScalarFunctorIdLi2ELi1ELi1EEEJNS1_21reverse_power_functorIdEEdEEEvT_T0_DpT1_.num_agpr, 0
	.set _ZN2at6native12_GLOBAL__N_125multi_tensor_apply_kernelINS1_18TensorListMetadataILi2EEENS1_21BinaryOpScalarFunctorIdLi2ELi1ELi1EEEJNS1_21reverse_power_functorIdEEdEEEvT_T0_DpT1_.numbered_sgpr, 98
	.set _ZN2at6native12_GLOBAL__N_125multi_tensor_apply_kernelINS1_18TensorListMetadataILi2EEENS1_21BinaryOpScalarFunctorIdLi2ELi1ELi1EEEJNS1_21reverse_power_functorIdEEdEEEvT_T0_DpT1_.num_named_barrier, 0
	.set _ZN2at6native12_GLOBAL__N_125multi_tensor_apply_kernelINS1_18TensorListMetadataILi2EEENS1_21BinaryOpScalarFunctorIdLi2ELi1ELi1EEEJNS1_21reverse_power_functorIdEEdEEEvT_T0_DpT1_.private_seg_size, 0
	.set _ZN2at6native12_GLOBAL__N_125multi_tensor_apply_kernelINS1_18TensorListMetadataILi2EEENS1_21BinaryOpScalarFunctorIdLi2ELi1ELi1EEEJNS1_21reverse_power_functorIdEEdEEEvT_T0_DpT1_.uses_vcc, 1
	.set _ZN2at6native12_GLOBAL__N_125multi_tensor_apply_kernelINS1_18TensorListMetadataILi2EEENS1_21BinaryOpScalarFunctorIdLi2ELi1ELi1EEEJNS1_21reverse_power_functorIdEEdEEEvT_T0_DpT1_.uses_flat_scratch, 0
	.set _ZN2at6native12_GLOBAL__N_125multi_tensor_apply_kernelINS1_18TensorListMetadataILi2EEENS1_21BinaryOpScalarFunctorIdLi2ELi1ELi1EEEJNS1_21reverse_power_functorIdEEdEEEvT_T0_DpT1_.has_dyn_sized_stack, 0
	.set _ZN2at6native12_GLOBAL__N_125multi_tensor_apply_kernelINS1_18TensorListMetadataILi2EEENS1_21BinaryOpScalarFunctorIdLi2ELi1ELi1EEEJNS1_21reverse_power_functorIdEEdEEEvT_T0_DpT1_.has_recursion, 0
	.set _ZN2at6native12_GLOBAL__N_125multi_tensor_apply_kernelINS1_18TensorListMetadataILi2EEENS1_21BinaryOpScalarFunctorIdLi2ELi1ELi1EEEJNS1_21reverse_power_functorIdEEdEEEvT_T0_DpT1_.has_indirect_call, 0
	.section	.AMDGPU.csdata,"",@progbits
; Kernel info:
; codeLenInByte = 13456
; TotalNumSgprs: 104
; NumVgprs: 124
; NumAgprs: 0
; TotalNumVgprs: 124
; ScratchSize: 0
; MemoryBound: 0
; FloatMode: 240
; IeeeMode: 1
; LDSByteSize: 0 bytes/workgroup (compile time only)
; SGPRBlocks: 12
; VGPRBlocks: 15
; NumSGPRsForWavesPerEU: 104
; NumVGPRsForWavesPerEU: 124
; AccumOffset: 124
; Occupancy: 4
; WaveLimiterHint : 0
; COMPUTE_PGM_RSRC2:SCRATCH_EN: 0
; COMPUTE_PGM_RSRC2:USER_SGPR: 2
; COMPUTE_PGM_RSRC2:TRAP_HANDLER: 0
; COMPUTE_PGM_RSRC2:TGID_X_EN: 1
; COMPUTE_PGM_RSRC2:TGID_Y_EN: 0
; COMPUTE_PGM_RSRC2:TGID_Z_EN: 0
; COMPUTE_PGM_RSRC2:TIDIG_COMP_CNT: 0
; COMPUTE_PGM_RSRC3_GFX90A:ACCUM_OFFSET: 30
; COMPUTE_PGM_RSRC3_GFX90A:TG_SPLIT: 0
	.section	.text._ZN2at6native12_GLOBAL__N_125multi_tensor_apply_kernelINS1_18TensorListMetadataILi2EEENS1_21BinaryOpScalarFunctorIfLi2ELi1ELi1EEEJNS1_21reverse_power_functorIfEEfEEEvT_T0_DpT1_,"axG",@progbits,_ZN2at6native12_GLOBAL__N_125multi_tensor_apply_kernelINS1_18TensorListMetadataILi2EEENS1_21BinaryOpScalarFunctorIfLi2ELi1ELi1EEEJNS1_21reverse_power_functorIfEEfEEEvT_T0_DpT1_,comdat
	.globl	_ZN2at6native12_GLOBAL__N_125multi_tensor_apply_kernelINS1_18TensorListMetadataILi2EEENS1_21BinaryOpScalarFunctorIfLi2ELi1ELi1EEEJNS1_21reverse_power_functorIfEEfEEEvT_T0_DpT1_ ; -- Begin function _ZN2at6native12_GLOBAL__N_125multi_tensor_apply_kernelINS1_18TensorListMetadataILi2EEENS1_21BinaryOpScalarFunctorIfLi2ELi1ELi1EEEJNS1_21reverse_power_functorIfEEfEEEvT_T0_DpT1_
	.p2align	8
	.type	_ZN2at6native12_GLOBAL__N_125multi_tensor_apply_kernelINS1_18TensorListMetadataILi2EEENS1_21BinaryOpScalarFunctorIfLi2ELi1ELi1EEEJNS1_21reverse_power_functorIfEEfEEEvT_T0_DpT1_,@function
_ZN2at6native12_GLOBAL__N_125multi_tensor_apply_kernelINS1_18TensorListMetadataILi2EEENS1_21BinaryOpScalarFunctorIfLi2ELi1ELi1EEEJNS1_21reverse_power_functorIfEEfEEEvT_T0_DpT1_: ; @_ZN2at6native12_GLOBAL__N_125multi_tensor_apply_kernelINS1_18TensorListMetadataILi2EEENS1_21BinaryOpScalarFunctorIfLi2ELi1ELi1EEEJNS1_21reverse_power_functorIfEEfEEEvT_T0_DpT1_
; %bb.0:
	v_mov_b32_e32 v1, s2
	global_load_ubyte v1, v1, s[0:1] offset:1536
	s_add_u32 s4, s0, s2
	s_mul_hi_u32 s7, s2, 3
	s_mul_i32 s2, s2, 3
	s_addc_u32 s8, s1, 0
	s_add_u32 s6, s4, s2
	s_addc_u32 s7, s8, s7
	s_load_dword s6, s[6:7], 0x740
	s_mov_b32 s3, 0
	s_mov_b32 s5, s3
	s_waitcnt lgkmcnt(0)
	s_ashr_i32 s7, s6, 31
	s_lshl_b64 s[18:19], s[6:7], 18
	s_lshl_b64 s[6:7], s[6:7], 16
	s_waitcnt vmcnt(0)
	v_readfirstlane_b32 s2, v1
	s_lshl_b32 s2, s2, 3
	s_load_dword s33, s[0:1], 0xc4c
	s_load_dwordx2 s[8:9], s[0:1], s2 offset:0x400
	s_load_dwordx2 s[16:17], s[0:1], s2 offset:0x0
	;; [unrolled: 1-line block ×3, first 2 shown]
	s_waitcnt lgkmcnt(0)
	s_add_u32 s2, s16, s18
	s_and_b32 s4, s46, 15
	s_and_b32 s2, s2, 15
	s_sub_u32 s20, s8, s6
	s_subb_u32 s21, s9, s7
	s_and_b32 s6, s8, 3
	s_mov_b32 s7, s3
	s_or_b64 s[4:5], s[4:5], s[6:7]
	s_or_b64 s[2:3], s[4:5], s[2:3]
	s_cmp_eq_u64 s[2:3], 0
	s_mov_b64 s[2:3], -1
	s_cbranch_scc1 .LBB78_21
; %bb.1:
	v_cmp_lt_i64_e64 s[2:3], s[20:21], 1
	s_and_b64 vcc, exec, s[2:3]
	s_cbranch_vccnz .LBB78_20
; %bb.2:
	s_load_dword s2, s[0:1], 0xc5c
	v_mov_b64_e32 v[2:3], 0x10000
	v_cmp_lt_i64_e32 vcc, s[20:21], v[2:3]
	s_and_b64 s[4:5], vcc, exec
	s_mov_b32 s3, 0
	s_cselect_b32 s23, s21, 0
	s_cselect_b32 s22, s20, 0x10000
	s_waitcnt lgkmcnt(0)
	s_and_b32 s2, s2, 0xffff
	v_cmp_lt_u64_e32 vcc, s[20:21], v[2:3]
	v_mov_b32_e32 v1, 0
	s_and_b64 s[4:5], vcc, exec
	s_mul_i32 s6, s2, 3
	s_mov_b32 s7, s3
	s_cselect_b32 s25, s21, 0
	s_cselect_b32 s24, s20, 0x10000
	v_lshlrev_b32_e32 v12, 2, v0
	v_mov_b32_e32 v13, v1
	v_lshl_add_u64 v[10:11], s[6:7], 0, v[0:1]
	s_lshl_b32 s6, s2, 3
	v_lshl_add_u64 v[18:19], v[0:1], 0, s[2:3]
	s_lshl_b32 s4, s2, 1
	s_mov_b32 s5, s3
	v_mad_u64_u32 v[8:9], s[8:9], s2, 12, v[12:13]
	v_lshl_add_u64 v[14:15], s[6:7], 0, v[12:13]
	v_lshlrev_b32_e32 v22, 2, v18
	v_mov_b32_e32 v23, v1
                                        ; implicit-def: $vgpr25
	v_cmp_eq_f32_e64 s[26:27], s33, 1.0
	s_lshl_b32 s40, s2, 2
	v_lshl_add_u64 v[2:3], s[16:17], 0, v[12:13]
	s_lshl_b32 s28, s2, 4
	s_mov_b32 s29, s3
	v_lshl_add_u64 v[4:5], s[46:47], 0, v[12:13]
	v_lshl_add_u64 v[6:7], s[16:17], 0, v[8:9]
	;; [unrolled: 1-line block ×8, first 2 shown]
	s_mov_b64 s[30:31], 0
	s_movk_i32 s41, 0x204
	s_mov_b32 s42, 0x7f800000
	s_brev_b32 s43, -2
	s_mov_b32 s44, 0x3f2aaaab
	s_mov_b32 s45, 0x3f317218
	v_mov_b32_e32 v24, 0x3e91f4c4
	s_mov_b32 s48, 0x42b17218
	s_mov_b32 s49, 0x3fb8aa3b
	;; [unrolled: 1-line block ×3, first 2 shown]
	v_mov_b32_e32 v25, 0x7f800000
	v_mov_b32_e32 v26, 0x37000000
	;; [unrolled: 1-line block ×3, first 2 shown]
	s_branch .LBB78_4
.LBB78_3:                               ;   in Loop: Header=BB78_4 Depth=1
	s_or_b64 exec, exec, s[6:7]
	s_add_u32 s30, s30, s40
	s_addc_u32 s31, s31, 0
	s_waitcnt vmcnt(0)
	v_mov_b64_e32 v[28:29], s[22:23]
	v_cmp_lt_i64_e32 vcc, s[30:31], v[28:29]
	v_lshl_add_u64 v[2:3], v[2:3], 0, s[28:29]
	v_lshl_add_u64 v[4:5], v[4:5], 0, s[28:29]
	;; [unrolled: 1-line block ×8, first 2 shown]
	s_cbranch_vccz .LBB78_20
.LBB78_4:                               ; =>This Inner Loop Header: Depth=1
	v_lshl_add_u64 v[28:29], v[0:1], 0, s[30:31]
	v_cmp_gt_u64_e64 s[6:7], s[24:25], v[28:29]
	v_mov_b32_e32 v31, 0
	s_and_saveexec_b64 s[2:3], s[6:7]
	s_cbranch_execz .LBB78_6
; %bb.5:                                ;   in Loop: Header=BB78_4 Depth=1
	v_lshl_add_u64 v[28:29], v[2:3], 0, s[18:19]
	global_load_dword v31, v[28:29], off
.LBB78_6:                               ;   in Loop: Header=BB78_4 Depth=1
	s_or_b64 exec, exec, s[2:3]
	v_lshl_add_u64 v[28:29], v[18:19], 0, s[30:31]
	v_cmp_gt_u64_e64 s[4:5], s[24:25], v[28:29]
	v_mov_b32_e32 v29, 0
	v_mov_b32_e32 v30, 0
	s_and_saveexec_b64 s[2:3], s[4:5]
	s_cbranch_execz .LBB78_8
; %bb.7:                                ;   in Loop: Header=BB78_4 Depth=1
	v_lshl_add_u64 v[32:33], v[20:21], 0, s[18:19]
	global_load_dword v30, v[32:33], off
.LBB78_8:                               ;   in Loop: Header=BB78_4 Depth=1
	s_or_b64 exec, exec, s[2:3]
	v_lshl_add_u64 v[32:33], v[16:17], 0, s[30:31]
	v_cmp_gt_u64_e64 s[2:3], s[24:25], v[32:33]
	s_and_saveexec_b64 s[8:9], s[2:3]
	s_cbranch_execz .LBB78_10
; %bb.9:                                ;   in Loop: Header=BB78_4 Depth=1
	v_lshl_add_u64 v[28:29], v[12:13], 0, s[18:19]
	global_load_dword v29, v[28:29], off
.LBB78_10:                              ;   in Loop: Header=BB78_4 Depth=1
	s_or_b64 exec, exec, s[8:9]
	v_lshl_add_u64 v[32:33], v[10:11], 0, s[30:31]
	v_cmp_gt_u64_e32 vcc, s[24:25], v[32:33]
	v_mov_b32_e32 v28, 0
	s_and_saveexec_b64 s[8:9], vcc
	s_cbranch_execnz .LBB78_15
; %bb.11:                               ;   in Loop: Header=BB78_4 Depth=1
	s_or_b64 exec, exec, s[8:9]
	s_and_saveexec_b64 s[34:35], s[6:7]
	s_cbranch_execnz .LBB78_16
.LBB78_12:                              ;   in Loop: Header=BB78_4 Depth=1
	s_or_b64 exec, exec, s[34:35]
	s_and_saveexec_b64 s[10:11], s[4:5]
	s_cbranch_execnz .LBB78_17
.LBB78_13:                              ;   in Loop: Header=BB78_4 Depth=1
	s_or_b64 exec, exec, s[10:11]
	s_and_saveexec_b64 s[8:9], s[2:3]
	s_cbranch_execnz .LBB78_18
.LBB78_14:                              ;   in Loop: Header=BB78_4 Depth=1
	s_or_b64 exec, exec, s[8:9]
	s_and_saveexec_b64 s[6:7], vcc
	s_cbranch_execz .LBB78_3
	s_branch .LBB78_19
.LBB78_15:                              ;   in Loop: Header=BB78_4 Depth=1
	v_lshl_add_u64 v[32:33], v[6:7], 0, s[18:19]
	global_load_dword v28, v[32:33], off
	s_or_b64 exec, exec, s[8:9]
	s_and_saveexec_b64 s[34:35], s[6:7]
	s_cbranch_execz .LBB78_12
.LBB78_16:                              ;   in Loop: Header=BB78_4 Depth=1
	s_waitcnt vmcnt(0)
	v_cndmask_b32_e64 v31, v31, 1.0, s[26:27]
	v_mov_b32_e32 v34, s33
	v_cmp_neq_f32_e64 s[6:7], 0, v31
	v_cmp_gt_f32_e64 s[8:9], 0, v31
	v_lshl_add_u64 v[32:33], v[4:5], 0, s[18:19]
	v_cndmask_b32_e64 v48, 1.0, v34, s[6:7]
	v_cmp_eq_f32_e64 s[6:7], 0, v48
	s_xor_b64 s[8:9], s[8:9], s[6:7]
	v_trunc_f32_e32 v34, v31
	v_cndmask_b32_e64 v36, v25, 0, s[8:9]
	v_cmp_eq_f32_e64 s[8:9], v34, v31
	v_mul_f32_e32 v34, 0.5, v31
	v_trunc_f32_e32 v35, v34
	v_cmp_neq_f32_e64 s[10:11], v35, v34
	v_cvt_f64_f32_e64 v[34:35], |v48|
	v_frexp_exp_i32_f64_e32 v34, v[34:35]
	v_frexp_mant_f32_e64 v35, |v48|
	s_and_b64 s[10:11], s[8:9], s[10:11]
	v_cmp_gt_f32_e64 s[12:13], s44, v35
	v_cndmask_b32_e64 v37, 0, v48, s[10:11]
	v_bfi_b32 v49, s43, v36, v37
	v_subbrev_co_u32_e64 v34, s[14:15], 0, v34, s[12:13]
	v_cvt_f32_i32_e32 v38, v34
	v_cndmask_b32_e64 v37, 1.0, 2.0, s[12:13]
	v_mul_f32_e32 v35, v35, v37
	v_add_f32_e32 v37, 1.0, v35
	v_rcp_f32_e32 v46, v37
	v_mul_f32_e32 v34, 0x3f317218, v38
	v_fma_f32 v36, v38, s45, -v34
	v_fmac_f32_e32 v36, 0xb102e308, v38
	v_add_f32_e32 v38, -1.0, v37
	v_add_f32_e32 v39, -1.0, v35
	v_sub_f32_e32 v38, v35, v38
	v_mul_f32_e32 v35, v39, v46
	v_mul_f32_e32 v40, v37, v35
	v_fma_f32 v42, v35, v37, -v40
	v_fmac_f32_e32 v42, v35, v38
	v_add_f32_e32 v38, v40, v42
	v_sub_f32_e32 v41, v39, v38
	v_pk_add_f32 v[44:45], v[38:39], v[40:41] neg_lo:[0,1] neg_hi:[0,1]
	v_mov_b32_e32 v43, v38
	v_pk_add_f32 v[38:39], v[44:45], v[42:43] neg_lo:[0,1] neg_hi:[0,1]
	v_cmp_neq_f32_e64 s[14:15], v31, |v31|
	v_add_f32_e32 v37, v38, v39
	v_add_f32_e32 v37, v41, v37
	v_mul_f32_e32 v39, v46, v37
	v_add_f32_e32 v38, v35, v39
	v_sub_f32_e32 v35, v38, v35
	v_mul_f32_e32 v41, v38, v38
	v_sub_f32_e32 v50, v39, v35
	v_add_f32_e32 v35, v50, v50
	v_fma_f32 v39, v38, v38, -v41
	v_fmac_f32_e32 v39, v38, v35
	v_add_f32_e32 v40, v41, v39
	v_sub_f32_e32 v35, v40, v41
	v_sub_f32_e32 v35, v39, v35
	v_fmamk_f32 v39, v40, 0x3e76c4e1, v24
	v_fmaak_f32 v39, v40, v39, 0x3ecccdef
	v_mul_f32_e32 v41, v40, v39
	v_fma_f32 v42, v40, v39, -v41
	v_fmac_f32_e32 v42, v35, v39
	v_add_f32_e32 v44, v41, v42
	v_add_f32_e32 v43, 0x3f2aaaaa, v44
	v_sub_f32_e32 v39, v44, v41
	v_sub_f32_e32 v39, v42, v39
	v_add_f32_e32 v41, 0xbf2aaaaa, v43
	v_add_f32_e32 v39, 0x31739010, v39
	v_sub_f32_e32 v41, v44, v41
	v_pk_mul_f32 v[44:45], v[38:39], v[40:41]
	v_pk_add_f32 v[46:47], v[38:39], v[40:41]
	v_fma_f32 v42, v40, v38, -v44
	v_fmac_f32_e32 v42, v40, v50
	v_mov_b32_e32 v45, v47
	v_fmac_f32_e32 v42, v35, v38
	v_ldexp_f32 v37, v38, 1
	v_pk_add_f32 v[38:39], v[44:45], v[42:43]
	v_ldexp_f32 v46, v50, 1
	v_pk_mul_f32 v[40:41], v[38:39], v[38:39] op_sel:[0,1] op_sel_hi:[1,0]
	v_sub_f32_e32 v35, v38, v44
	v_sub_f32_e32 v41, v43, v39
	v_sub_f32_e32 v35, v42, v35
	v_add_f32_e32 v41, v47, v41
	v_fma_f32 v42, v38, v39, -v40
	v_fmac_f32_e32 v42, v38, v41
	v_fmac_f32_e32 v42, v35, v39
	v_add_f32_e32 v35, v40, v42
	v_pk_add_f32 v[38:39], v[34:35], v[36:37]
	v_mov_b32_e32 v44, v35
	v_mov_b32_e32 v45, v39
	;; [unrolled: 1-line block ×3, first 2 shown]
	v_pk_add_f32 v[40:41], v[44:45], v[40:41] neg_lo:[0,1] neg_hi:[0,1]
	v_mov_b32_e32 v43, v35
	v_pk_add_f32 v[40:41], v[42:43], v[40:41] neg_lo:[0,1] neg_hi:[0,1]
	v_mov_b32_e32 v37, v38
	v_add_f32_e32 v35, v46, v40
	v_add_f32_e32 v35, v35, v41
	v_pk_add_f32 v[40:41], v[38:39], v[34:35] neg_lo:[0,1] neg_hi:[0,1]
	v_pk_add_f32 v[42:43], v[38:39], v[34:35]
	v_mov_b32_e32 v34, v35
	v_mov_b32_e32 v41, v43
	v_pk_add_f32 v[44:45], v[36:37], v[40:41] neg_lo:[0,1] neg_hi:[0,1]
	v_pk_add_f32 v[36:37], v[36:37], v[40:41]
	v_mov_b32_e32 v35, v38
	v_pk_add_f32 v[40:41], v[36:37], v[38:39] op_sel:[1,0] op_sel_hi:[0,1] neg_lo:[0,1] neg_hi:[0,1]
	v_pk_add_f32 v[46:47], v[42:43], v[40:41] op_sel_hi:[1,0] neg_lo:[0,1] neg_hi:[0,1]
	v_mov_b32_e32 v42, v43
	v_mov_b32_e32 v43, v37
	v_pk_mov_b32 v[40:41], v[38:39], v[40:41] op_sel:[1,0]
	v_mov_b32_e32 v46, v44
	v_pk_add_f32 v[40:41], v[42:43], v[40:41] neg_lo:[0,1] neg_hi:[0,1]
	v_mov_b32_e32 v45, v37
	v_pk_add_f32 v[34:35], v[34:35], v[40:41] neg_lo:[0,1] neg_hi:[0,1]
	v_cmp_lt_f32_e64 s[38:39], |v48|, 1.0
	v_pk_add_f32 v[38:39], v[46:47], v[34:35]
	v_cmp_class_f32_e64 s[36:37], v48, s41
	v_pk_add_f32 v[40:41], v[38:39], v[38:39] op_sel:[0,1] op_sel_hi:[1,0]
	s_or_b64 s[6:7], s[6:7], s[36:37]
	v_pk_add_f32 v[36:37], v[36:37], v[40:41] op_sel:[1,0] op_sel_hi:[0,1]
	v_mov_b32_e32 v39, v36
	v_pk_add_f32 v[42:43], v[38:39], v[44:45] neg_lo:[0,1] neg_hi:[0,1]
	v_mov_b32_e32 v35, v40
	v_sub_f32_e32 v37, v38, v42
	v_pk_add_f32 v[34:35], v[34:35], v[42:43] neg_lo:[0,1] neg_hi:[0,1]
	v_sub_f32_e32 v37, v44, v37
	v_add_f32_e32 v34, v34, v37
	v_add_f32_e32 v34, v34, v35
	v_add_f32_e32 v35, v36, v34
	v_mul_f32_e32 v37, v31, v35
	v_sub_f32_e32 v36, v35, v36
	v_sub_f32_e32 v34, v34, v36
	v_fma_f32 v35, v31, v35, -v37
	v_fmac_f32_e32 v35, v31, v34
	v_add_f32_e32 v34, v37, v35
	v_cmp_class_f32_e64 s[12:13], v37, s41
	s_nop 1
	v_cndmask_b32_e64 v36, v34, v37, s[12:13]
	v_cmp_eq_f32_e64 s[12:13], s48, v36
	v_sub_f32_e32 v34, v34, v37
	v_sub_f32_e32 v34, v35, v34
	v_cndmask_b32_e64 v38, 0, v26, s[12:13]
	v_sub_f32_e32 v39, v36, v38
	v_mul_f32_e32 v40, 0x3fb8aa3b, v39
	v_fma_f32 v41, v39, s49, -v40
	v_rndne_f32_e32 v42, v40
	v_fmac_f32_e32 v41, 0x32a5705f, v39
	v_sub_f32_e32 v40, v40, v42
	v_add_f32_e32 v40, v40, v41
	v_exp_f32_e32 v40, v40
	v_cvt_i32_f32_e32 v41, v42
	s_xor_b64 s[12:13], s[14:15], s[38:39]
	v_cndmask_b32_e64 v42, v25, 0, s[12:13]
	v_cmp_neq_f32_e64 s[12:13], |v48|, 1.0
	v_ldexp_f32 v40, v40, v41
	v_cndmask_b32_e64 v35, 1.0, v48, s[10:11]
	v_cndmask_b32_e64 v42, 1.0, v42, s[12:13]
	v_cmp_ngt_f32_e64 s[12:13], s50, v39
	s_nop 1
	v_cndmask_b32_e64 v40, 0, v40, s[12:13]
	v_cmp_nlt_f32_e64 s[12:13], s48, v39
	s_nop 1
	v_cndmask_b32_e64 v39, v25, v40, s[12:13]
	v_cmp_neq_f32_e64 s[12:13], |v36|, s42
	s_nop 1
	v_cndmask_b32_e64 v34, 0, v34, s[12:13]
	v_add_f32_e32 v34, v38, v34
	v_fma_f32 v34, v39, v34, v39
	v_cmp_class_f32_e64 s[12:13], v39, s41
	s_nop 1
	v_cndmask_b32_e64 v34, v34, v39, s[12:13]
	v_bfi_b32 v34, s43, v34, v35
	v_cndmask_b32_e64 v35, v27, v34, s[8:9]
	v_cmp_gt_f32_e64 s[8:9], 0, v48
	s_nop 1
	v_cndmask_b32_e64 v34, v34, v35, s[8:9]
	v_cmp_class_f32_e64 s[8:9], v31, s41
	s_nop 1
	v_cndmask_b32_e64 v34, v34, v42, s[8:9]
	v_cndmask_b32_e64 v34, v34, v49, s[6:7]
	v_cmp_o_f32_e64 s[6:7], v48, v31
	s_nop 1
	v_cndmask_b32_e64 v31, v27, v34, s[6:7]
	global_store_dword v[32:33], v31, off
	s_or_b64 exec, exec, s[34:35]
	s_and_saveexec_b64 s[10:11], s[4:5]
	s_cbranch_execz .LBB78_13
.LBB78_17:                              ;   in Loop: Header=BB78_4 Depth=1
	s_waitcnt vmcnt(0)
	v_cndmask_b32_e64 v44, v30, 1.0, s[26:27]
	v_mov_b32_e32 v30, s33
	v_cmp_neq_f32_e64 s[4:5], 0, v44
	s_nop 1
	v_cndmask_b32_e64 v45, 1.0, v30, s[4:5]
	v_frexp_mant_f32_e64 v30, |v45|
	v_cmp_gt_f32_e64 s[4:5], s44, v30
	v_cmp_lt_f32_e64 s[8:9], |v45|, 1.0
	v_cmp_class_f32_e64 s[12:13], v45, s41
	v_cndmask_b32_e64 v31, 1.0, 2.0, s[4:5]
	v_mul_f32_e32 v30, v30, v31
	v_add_f32_e32 v33, 1.0, v30
	v_rcp_f32_e32 v38, v33
	v_add_f32_e32 v31, -1.0, v33
	v_sub_f32_e32 v35, v30, v31
	v_add_f32_e32 v31, -1.0, v30
	v_mul_f32_e32 v39, v31, v38
	v_mul_f32_e32 v32, v33, v39
	v_fma_f32 v34, v39, v33, -v32
	v_fmac_f32_e32 v34, v39, v35
	v_add_f32_e32 v30, v32, v34
	v_sub_f32_e32 v33, v31, v30
	v_pk_add_f32 v[36:37], v[30:31], v[32:33] neg_lo:[0,1] neg_hi:[0,1]
	v_mov_b32_e32 v35, v30
	v_pk_add_f32 v[30:31], v[36:37], v[34:35] neg_lo:[0,1] neg_hi:[0,1]
	s_nop 0
	v_add_f32_e32 v30, v30, v31
	v_add_f32_e32 v30, v33, v30
	v_mul_f32_e32 v31, v38, v30
	v_add_f32_e32 v30, v39, v31
	v_sub_f32_e32 v32, v30, v39
	v_sub_f32_e32 v40, v31, v32
	v_mul_f32_e32 v31, v30, v30
	v_fma_f32 v33, v30, v30, -v31
	v_add_f32_e32 v32, v40, v40
	v_fmac_f32_e32 v33, v30, v32
	v_add_f32_e32 v32, v31, v33
	v_fmamk_f32 v34, v32, 0x3e76c4e1, v24
	v_fmaak_f32 v34, v32, v34, 0x3ecccdef
	v_sub_f32_e32 v31, v32, v31
	v_sub_f32_e32 v41, v33, v31
	v_mul_f32_e32 v31, v32, v34
	v_fma_f32 v33, v32, v34, -v31
	v_fmac_f32_e32 v33, v41, v34
	v_add_f32_e32 v34, v31, v33
	v_add_f32_e32 v35, 0x3f2aaaaa, v34
	v_sub_f32_e32 v31, v34, v31
	v_sub_f32_e32 v31, v33, v31
	v_add_f32_e32 v33, 0xbf2aaaaa, v35
	v_add_f32_e32 v31, 0x31739010, v31
	v_sub_f32_e32 v33, v34, v33
	v_pk_mul_f32 v[36:37], v[30:31], v[32:33]
	v_pk_add_f32 v[38:39], v[30:31], v[32:33]
	v_fma_f32 v34, v32, v30, -v36
	v_fmac_f32_e32 v34, v32, v40
	v_mov_b32_e32 v37, v39
	v_fmac_f32_e32 v34, v41, v30
	v_pk_add_f32 v[32:33], v[36:37], v[34:35]
	v_ldexp_f32 v42, v40, 1
	v_sub_f32_e32 v31, v32, v36
	v_sub_f32_e32 v31, v34, v31
	;; [unrolled: 1-line block ×3, first 2 shown]
	v_add_f32_e32 v38, v39, v34
	v_pk_mul_f32 v[34:35], v[32:33], v[32:33] op_sel:[0,1] op_sel_hi:[1,0]
	v_cvt_f64_f32_e64 v[36:37], |v45|
	v_frexp_exp_i32_f64_e32 v35, v[36:37]
	v_subbrev_co_u32_e64 v35, s[4:5], 0, v35, s[4:5]
	v_cvt_f32_i32_e32 v35, v35
	v_fma_f32 v36, v32, v33, -v34
	v_fmac_f32_e32 v36, v32, v38
	v_fmac_f32_e32 v36, v31, v33
	v_mul_f32_e32 v32, 0x3f317218, v35
	v_fma_f32 v38, v35, s45, -v32
	v_fmac_f32_e32 v38, 0xb102e308, v35
	v_ldexp_f32 v39, v30, 1
	v_add_f32_e32 v33, v34, v36
	v_pk_add_f32 v[30:31], v[32:33], v[38:39]
	v_mov_b32_e32 v40, v33
	v_mov_b32_e32 v41, v31
	;; [unrolled: 1-line block ×3, first 2 shown]
	v_pk_add_f32 v[34:35], v[40:41], v[34:35] neg_lo:[0,1] neg_hi:[0,1]
	v_mov_b32_e32 v37, v33
	v_pk_add_f32 v[34:35], v[36:37], v[34:35] neg_lo:[0,1] neg_hi:[0,1]
	v_mov_b32_e32 v39, v30
	v_add_f32_e32 v33, v42, v34
	v_add_f32_e32 v33, v33, v35
	v_pk_add_f32 v[34:35], v[30:31], v[32:33] neg_lo:[0,1] neg_hi:[0,1]
	v_pk_add_f32 v[36:37], v[30:31], v[32:33]
	v_mov_b32_e32 v32, v33
	v_mov_b32_e32 v35, v37
	v_pk_add_f32 v[40:41], v[38:39], v[34:35] neg_lo:[0,1] neg_hi:[0,1]
	v_pk_add_f32 v[34:35], v[38:39], v[34:35]
	v_mov_b32_e32 v33, v30
	v_pk_add_f32 v[38:39], v[34:35], v[30:31] op_sel:[1,0] op_sel_hi:[0,1] neg_lo:[0,1] neg_hi:[0,1]
	v_pk_add_f32 v[42:43], v[36:37], v[38:39] op_sel_hi:[1,0] neg_lo:[0,1] neg_hi:[0,1]
	v_mov_b32_e32 v36, v37
	v_mov_b32_e32 v37, v35
	v_pk_mov_b32 v[38:39], v[30:31], v[38:39] op_sel:[1,0]
	v_mov_b32_e32 v42, v40
	v_pk_add_f32 v[36:37], v[36:37], v[38:39] neg_lo:[0,1] neg_hi:[0,1]
	v_mov_b32_e32 v41, v35
	v_pk_add_f32 v[30:31], v[32:33], v[36:37] neg_lo:[0,1] neg_hi:[0,1]
	s_nop 0
	v_pk_add_f32 v[32:33], v[42:43], v[30:31]
	s_nop 0
	v_pk_add_f32 v[36:37], v[32:33], v[32:33] op_sel:[0,1] op_sel_hi:[1,0]
	s_nop 0
	v_pk_add_f32 v[34:35], v[34:35], v[36:37] op_sel:[1,0] op_sel_hi:[0,1]
	v_mov_b32_e32 v33, v34
	v_pk_add_f32 v[38:39], v[32:33], v[40:41] neg_lo:[0,1] neg_hi:[0,1]
	v_mov_b32_e32 v31, v36
	v_sub_f32_e32 v32, v32, v38
	v_pk_add_f32 v[30:31], v[30:31], v[38:39] neg_lo:[0,1] neg_hi:[0,1]
	v_sub_f32_e32 v32, v40, v32
	v_add_f32_e32 v30, v30, v32
	v_add_f32_e32 v30, v30, v31
	;; [unrolled: 1-line block ×3, first 2 shown]
	v_sub_f32_e32 v32, v31, v34
	v_sub_f32_e32 v30, v30, v32
	v_mul_f32_e32 v32, v44, v31
	v_fma_f32 v31, v44, v31, -v32
	v_fmac_f32_e32 v31, v44, v30
	v_add_f32_e32 v30, v32, v31
	v_cmp_class_f32_e64 s[4:5], v32, s41
	v_sub_f32_e32 v33, v30, v32
	v_sub_f32_e32 v31, v31, v33
	v_cndmask_b32_e64 v30, v30, v32, s[4:5]
	v_cmp_eq_f32_e64 s[4:5], s48, v30
	s_nop 1
	v_cndmask_b32_e64 v32, 0, v26, s[4:5]
	v_sub_f32_e32 v33, v30, v32
	v_mul_f32_e32 v34, 0x3fb8aa3b, v33
	v_fma_f32 v35, v33, s49, -v34
	v_rndne_f32_e32 v36, v34
	v_fmac_f32_e32 v35, 0x32a5705f, v33
	v_sub_f32_e32 v34, v34, v36
	v_add_f32_e32 v34, v34, v35
	v_exp_f32_e32 v34, v34
	v_cvt_i32_f32_e32 v35, v36
	v_cmp_neq_f32_e64 s[4:5], |v30|, s42
	s_nop 1
	v_cndmask_b32_e64 v30, 0, v31, s[4:5]
	v_ldexp_f32 v31, v34, v35
	v_cmp_ngt_f32_e64 s[4:5], s50, v33
	v_add_f32_e32 v30, v32, v30
	s_nop 0
	v_cndmask_b32_e64 v31, 0, v31, s[4:5]
	v_cmp_nlt_f32_e64 s[4:5], s48, v33
	s_nop 1
	v_cndmask_b32_e64 v31, v25, v31, s[4:5]
	v_fma_f32 v30, v31, v30, v31
	v_cmp_class_f32_e64 s[4:5], v31, s41
	s_nop 1
	v_cndmask_b32_e64 v30, v30, v31, s[4:5]
	v_trunc_f32_e32 v31, v44
	v_cmp_eq_f32_e64 s[4:5], v31, v44
	v_mul_f32_e32 v31, 0.5, v44
	v_trunc_f32_e32 v32, v31
	v_cmp_neq_f32_e64 s[6:7], v32, v31
	s_and_b64 s[6:7], s[4:5], s[6:7]
	s_nop 0
	v_cndmask_b32_e64 v31, 1.0, v45, s[6:7]
	v_bfi_b32 v30, s43, v30, v31
	v_cndmask_b32_e64 v31, v27, v30, s[4:5]
	v_cmp_gt_f32_e64 s[4:5], 0, v45
	v_cndmask_b32_e64 v32, 0, v45, s[6:7]
	s_nop 0
	v_cndmask_b32_e64 v30, v30, v31, s[4:5]
	v_cmp_neq_f32_e64 s[4:5], v44, |v44|
	s_xor_b64 s[4:5], s[4:5], s[8:9]
	v_cmp_gt_f32_e64 s[8:9], 0, v44
	v_cndmask_b32_e64 v31, v25, 0, s[4:5]
	v_cmp_neq_f32_e64 s[4:5], |v45|, 1.0
	s_nop 1
	v_cndmask_b32_e64 v31, 1.0, v31, s[4:5]
	v_cmp_class_f32_e64 s[4:5], v44, s41
	s_nop 1
	v_cndmask_b32_e64 v30, v30, v31, s[4:5]
	v_cmp_eq_f32_e64 s[4:5], 0, v45
	s_xor_b64 s[8:9], s[8:9], s[4:5]
	v_cndmask_b32_e64 v31, v25, 0, s[8:9]
	v_bfi_b32 v31, s43, v31, v32
	s_or_b64 s[4:5], s[4:5], s[12:13]
	v_cndmask_b32_e64 v30, v30, v31, s[4:5]
	v_cmp_o_f32_e64 s[4:5], v45, v44
	s_nop 1
	v_cndmask_b32_e64 v32, v27, v30, s[4:5]
	v_lshl_add_u64 v[30:31], v[22:23], 0, s[18:19]
	global_store_dword v[30:31], v32, off
	s_or_b64 exec, exec, s[10:11]
	s_and_saveexec_b64 s[8:9], s[2:3]
	s_cbranch_execz .LBB78_14
.LBB78_18:                              ;   in Loop: Header=BB78_4 Depth=1
	s_waitcnt vmcnt(0)
	v_cndmask_b32_e64 v29, v29, 1.0, s[26:27]
	v_mov_b32_e32 v30, s33
	v_cmp_neq_f32_e64 s[2:3], 0, v29
	s_nop 1
	v_cndmask_b32_e64 v44, 1.0, v30, s[2:3]
	v_frexp_mant_f32_e64 v30, |v44|
	v_cmp_gt_f32_e64 s[2:3], s44, v30
	v_cmp_lt_f32_e64 s[6:7], |v44|, 1.0
	v_cmp_class_f32_e64 s[10:11], v44, s41
	v_cndmask_b32_e64 v31, 1.0, 2.0, s[2:3]
	v_mul_f32_e32 v30, v30, v31
	v_add_f32_e32 v33, 1.0, v30
	v_rcp_f32_e32 v38, v33
	v_add_f32_e32 v31, -1.0, v33
	v_sub_f32_e32 v35, v30, v31
	v_add_f32_e32 v31, -1.0, v30
	v_mul_f32_e32 v39, v31, v38
	v_mul_f32_e32 v32, v33, v39
	v_fma_f32 v34, v39, v33, -v32
	v_fmac_f32_e32 v34, v39, v35
	v_add_f32_e32 v30, v32, v34
	v_sub_f32_e32 v33, v31, v30
	v_pk_add_f32 v[36:37], v[30:31], v[32:33] neg_lo:[0,1] neg_hi:[0,1]
	v_mov_b32_e32 v35, v30
	v_pk_add_f32 v[30:31], v[36:37], v[34:35] neg_lo:[0,1] neg_hi:[0,1]
	s_nop 0
	v_add_f32_e32 v30, v30, v31
	v_add_f32_e32 v30, v33, v30
	v_mul_f32_e32 v31, v38, v30
	v_add_f32_e32 v30, v39, v31
	v_sub_f32_e32 v32, v30, v39
	v_sub_f32_e32 v40, v31, v32
	v_mul_f32_e32 v31, v30, v30
	v_fma_f32 v33, v30, v30, -v31
	v_add_f32_e32 v32, v40, v40
	v_fmac_f32_e32 v33, v30, v32
	v_add_f32_e32 v32, v31, v33
	v_fmamk_f32 v34, v32, 0x3e76c4e1, v24
	v_fmaak_f32 v34, v32, v34, 0x3ecccdef
	v_sub_f32_e32 v31, v32, v31
	v_sub_f32_e32 v41, v33, v31
	v_mul_f32_e32 v31, v32, v34
	v_fma_f32 v33, v32, v34, -v31
	v_fmac_f32_e32 v33, v41, v34
	v_add_f32_e32 v34, v31, v33
	v_add_f32_e32 v35, 0x3f2aaaaa, v34
	v_sub_f32_e32 v31, v34, v31
	v_sub_f32_e32 v31, v33, v31
	v_add_f32_e32 v33, 0xbf2aaaaa, v35
	v_add_f32_e32 v31, 0x31739010, v31
	v_sub_f32_e32 v33, v34, v33
	v_pk_mul_f32 v[36:37], v[30:31], v[32:33]
	v_pk_add_f32 v[38:39], v[30:31], v[32:33]
	v_fma_f32 v34, v32, v30, -v36
	v_fmac_f32_e32 v34, v32, v40
	v_mov_b32_e32 v37, v39
	v_fmac_f32_e32 v34, v41, v30
	v_pk_add_f32 v[32:33], v[36:37], v[34:35]
	v_ldexp_f32 v42, v40, 1
	v_sub_f32_e32 v31, v32, v36
	v_sub_f32_e32 v31, v34, v31
	;; [unrolled: 1-line block ×3, first 2 shown]
	v_add_f32_e32 v38, v39, v34
	v_pk_mul_f32 v[34:35], v[32:33], v[32:33] op_sel:[0,1] op_sel_hi:[1,0]
	v_cvt_f64_f32_e64 v[36:37], |v44|
	v_frexp_exp_i32_f64_e32 v35, v[36:37]
	v_subbrev_co_u32_e64 v35, s[2:3], 0, v35, s[2:3]
	v_cvt_f32_i32_e32 v35, v35
	v_fma_f32 v36, v32, v33, -v34
	v_fmac_f32_e32 v36, v32, v38
	v_fmac_f32_e32 v36, v31, v33
	v_mul_f32_e32 v32, 0x3f317218, v35
	v_fma_f32 v38, v35, s45, -v32
	v_fmac_f32_e32 v38, 0xb102e308, v35
	v_ldexp_f32 v39, v30, 1
	v_add_f32_e32 v33, v34, v36
	v_pk_add_f32 v[30:31], v[32:33], v[38:39]
	v_mov_b32_e32 v40, v33
	v_mov_b32_e32 v41, v31
	;; [unrolled: 1-line block ×3, first 2 shown]
	v_pk_add_f32 v[34:35], v[40:41], v[34:35] neg_lo:[0,1] neg_hi:[0,1]
	v_mov_b32_e32 v37, v33
	v_pk_add_f32 v[34:35], v[36:37], v[34:35] neg_lo:[0,1] neg_hi:[0,1]
	v_mov_b32_e32 v39, v30
	v_add_f32_e32 v33, v42, v34
	v_add_f32_e32 v33, v33, v35
	v_pk_add_f32 v[34:35], v[30:31], v[32:33] neg_lo:[0,1] neg_hi:[0,1]
	v_pk_add_f32 v[36:37], v[30:31], v[32:33]
	v_mov_b32_e32 v32, v33
	v_mov_b32_e32 v35, v37
	v_pk_add_f32 v[40:41], v[38:39], v[34:35] neg_lo:[0,1] neg_hi:[0,1]
	v_pk_add_f32 v[34:35], v[38:39], v[34:35]
	v_mov_b32_e32 v33, v30
	v_pk_add_f32 v[38:39], v[34:35], v[30:31] op_sel:[1,0] op_sel_hi:[0,1] neg_lo:[0,1] neg_hi:[0,1]
	v_pk_add_f32 v[42:43], v[36:37], v[38:39] op_sel_hi:[1,0] neg_lo:[0,1] neg_hi:[0,1]
	v_mov_b32_e32 v36, v37
	v_mov_b32_e32 v37, v35
	v_pk_mov_b32 v[38:39], v[30:31], v[38:39] op_sel:[1,0]
	v_mov_b32_e32 v42, v40
	v_pk_add_f32 v[36:37], v[36:37], v[38:39] neg_lo:[0,1] neg_hi:[0,1]
	v_mov_b32_e32 v41, v35
	v_pk_add_f32 v[30:31], v[32:33], v[36:37] neg_lo:[0,1] neg_hi:[0,1]
	s_nop 0
	v_pk_add_f32 v[32:33], v[42:43], v[30:31]
	s_nop 0
	v_pk_add_f32 v[36:37], v[32:33], v[32:33] op_sel:[0,1] op_sel_hi:[1,0]
	s_nop 0
	v_pk_add_f32 v[34:35], v[34:35], v[36:37] op_sel:[1,0] op_sel_hi:[0,1]
	v_mov_b32_e32 v33, v34
	v_pk_add_f32 v[38:39], v[32:33], v[40:41] neg_lo:[0,1] neg_hi:[0,1]
	v_mov_b32_e32 v31, v36
	v_sub_f32_e32 v32, v32, v38
	v_pk_add_f32 v[30:31], v[30:31], v[38:39] neg_lo:[0,1] neg_hi:[0,1]
	v_sub_f32_e32 v32, v40, v32
	v_add_f32_e32 v30, v30, v32
	v_add_f32_e32 v30, v30, v31
	;; [unrolled: 1-line block ×3, first 2 shown]
	v_sub_f32_e32 v32, v31, v34
	v_sub_f32_e32 v30, v30, v32
	v_mul_f32_e32 v32, v29, v31
	v_fma_f32 v31, v29, v31, -v32
	v_fmac_f32_e32 v31, v29, v30
	v_add_f32_e32 v30, v32, v31
	v_cmp_class_f32_e64 s[2:3], v32, s41
	v_sub_f32_e32 v33, v30, v32
	v_sub_f32_e32 v31, v31, v33
	v_cndmask_b32_e64 v30, v30, v32, s[2:3]
	v_cmp_eq_f32_e64 s[2:3], s48, v30
	s_nop 1
	v_cndmask_b32_e64 v32, 0, v26, s[2:3]
	v_sub_f32_e32 v33, v30, v32
	v_mul_f32_e32 v34, 0x3fb8aa3b, v33
	v_fma_f32 v35, v33, s49, -v34
	v_rndne_f32_e32 v36, v34
	v_fmac_f32_e32 v35, 0x32a5705f, v33
	v_sub_f32_e32 v34, v34, v36
	v_add_f32_e32 v34, v34, v35
	v_exp_f32_e32 v34, v34
	v_cvt_i32_f32_e32 v35, v36
	v_cmp_neq_f32_e64 s[2:3], |v30|, s42
	s_nop 1
	v_cndmask_b32_e64 v30, 0, v31, s[2:3]
	v_ldexp_f32 v31, v34, v35
	v_cmp_ngt_f32_e64 s[2:3], s50, v33
	v_add_f32_e32 v30, v32, v30
	s_nop 0
	v_cndmask_b32_e64 v31, 0, v31, s[2:3]
	v_cmp_nlt_f32_e64 s[2:3], s48, v33
	s_nop 1
	v_cndmask_b32_e64 v31, v25, v31, s[2:3]
	v_fma_f32 v30, v31, v30, v31
	v_cmp_class_f32_e64 s[2:3], v31, s41
	s_nop 1
	v_cndmask_b32_e64 v30, v30, v31, s[2:3]
	v_trunc_f32_e32 v31, v29
	v_cmp_eq_f32_e64 s[2:3], v31, v29
	v_mul_f32_e32 v31, 0.5, v29
	v_trunc_f32_e32 v32, v31
	v_cmp_neq_f32_e64 s[4:5], v32, v31
	s_and_b64 s[4:5], s[2:3], s[4:5]
	s_nop 0
	v_cndmask_b32_e64 v31, 1.0, v44, s[4:5]
	v_bfi_b32 v30, s43, v30, v31
	v_cndmask_b32_e64 v31, v27, v30, s[2:3]
	v_cmp_gt_f32_e64 s[2:3], 0, v44
	v_cndmask_b32_e64 v32, 0, v44, s[4:5]
	s_nop 0
	v_cndmask_b32_e64 v30, v30, v31, s[2:3]
	v_cmp_neq_f32_e64 s[2:3], v29, |v29|
	s_xor_b64 s[2:3], s[2:3], s[6:7]
	v_cmp_gt_f32_e64 s[6:7], 0, v29
	v_cndmask_b32_e64 v31, v25, 0, s[2:3]
	v_cmp_neq_f32_e64 s[2:3], |v44|, 1.0
	s_nop 1
	v_cndmask_b32_e64 v31, 1.0, v31, s[2:3]
	v_cmp_class_f32_e64 s[2:3], v29, s41
	s_nop 1
	v_cndmask_b32_e64 v30, v30, v31, s[2:3]
	v_cmp_eq_f32_e64 s[2:3], 0, v44
	s_xor_b64 s[6:7], s[6:7], s[2:3]
	v_cndmask_b32_e64 v31, v25, 0, s[6:7]
	v_bfi_b32 v31, s43, v31, v32
	s_or_b64 s[2:3], s[2:3], s[10:11]
	v_cndmask_b32_e64 v30, v30, v31, s[2:3]
	v_cmp_o_f32_e64 s[2:3], v44, v29
	s_nop 1
	v_cndmask_b32_e64 v29, v27, v30, s[2:3]
	v_lshl_add_u64 v[30:31], v[14:15], 0, s[18:19]
	global_store_dword v[30:31], v29, off
	s_or_b64 exec, exec, s[8:9]
	s_and_saveexec_b64 s[6:7], vcc
	s_cbranch_execz .LBB78_3
.LBB78_19:                              ;   in Loop: Header=BB78_4 Depth=1
	s_waitcnt vmcnt(0)
	v_cndmask_b32_e64 v42, v28, 1.0, s[26:27]
	v_mov_b32_e32 v28, s33
	v_cmp_neq_f32_e32 vcc, 0, v42
	v_cmp_neq_f32_e64 s[4:5], v42, |v42|
	s_nop 0
	v_cndmask_b32_e32 v43, 1.0, v28, vcc
	v_frexp_mant_f32_e64 v28, |v43|
	v_cmp_gt_f32_e32 vcc, s44, v28
	v_cmp_lt_f32_e64 s[8:9], |v43|, 1.0
	s_xor_b64 s[4:5], s[4:5], s[8:9]
	v_cndmask_b32_e64 v29, 1.0, 2.0, vcc
	v_mul_f32_e32 v28, v28, v29
	v_add_f32_e32 v31, 1.0, v28
	v_rcp_f32_e32 v36, v31
	v_add_f32_e32 v29, -1.0, v31
	v_sub_f32_e32 v33, v28, v29
	v_add_f32_e32 v29, -1.0, v28
	v_mul_f32_e32 v37, v29, v36
	v_mul_f32_e32 v30, v31, v37
	v_fma_f32 v32, v37, v31, -v30
	v_fmac_f32_e32 v32, v37, v33
	v_add_f32_e32 v28, v30, v32
	v_sub_f32_e32 v31, v29, v28
	v_pk_add_f32 v[34:35], v[28:29], v[30:31] neg_lo:[0,1] neg_hi:[0,1]
	v_mov_b32_e32 v33, v28
	v_pk_add_f32 v[28:29], v[34:35], v[32:33] neg_lo:[0,1] neg_hi:[0,1]
	v_cmp_class_f32_e64 s[8:9], v43, s41
	v_add_f32_e32 v28, v28, v29
	v_add_f32_e32 v28, v31, v28
	v_mul_f32_e32 v29, v36, v28
	v_add_f32_e32 v28, v37, v29
	v_sub_f32_e32 v30, v28, v37
	v_sub_f32_e32 v38, v29, v30
	v_mul_f32_e32 v29, v28, v28
	v_fma_f32 v31, v28, v28, -v29
	v_add_f32_e32 v30, v38, v38
	v_fmac_f32_e32 v31, v28, v30
	v_add_f32_e32 v30, v29, v31
	v_fmamk_f32 v32, v30, 0x3e76c4e1, v24
	v_fmaak_f32 v32, v30, v32, 0x3ecccdef
	v_sub_f32_e32 v29, v30, v29
	v_sub_f32_e32 v39, v31, v29
	v_mul_f32_e32 v29, v30, v32
	v_fma_f32 v31, v30, v32, -v29
	v_fmac_f32_e32 v31, v39, v32
	v_add_f32_e32 v32, v29, v31
	v_add_f32_e32 v33, 0x3f2aaaaa, v32
	v_sub_f32_e32 v29, v32, v29
	v_sub_f32_e32 v29, v31, v29
	v_add_f32_e32 v31, 0xbf2aaaaa, v33
	v_add_f32_e32 v29, 0x31739010, v29
	v_sub_f32_e32 v31, v32, v31
	v_pk_mul_f32 v[34:35], v[28:29], v[30:31]
	v_pk_add_f32 v[36:37], v[28:29], v[30:31]
	v_fma_f32 v32, v30, v28, -v34
	v_fmac_f32_e32 v32, v30, v38
	v_mov_b32_e32 v35, v37
	v_fmac_f32_e32 v32, v39, v28
	v_pk_add_f32 v[30:31], v[34:35], v[32:33]
	v_ldexp_f32 v40, v38, 1
	v_sub_f32_e32 v29, v30, v34
	v_sub_f32_e32 v29, v32, v29
	;; [unrolled: 1-line block ×3, first 2 shown]
	v_add_f32_e32 v36, v37, v32
	v_pk_mul_f32 v[32:33], v[30:31], v[30:31] op_sel:[0,1] op_sel_hi:[1,0]
	v_cvt_f64_f32_e64 v[34:35], |v43|
	v_frexp_exp_i32_f64_e32 v33, v[34:35]
	v_subbrev_co_u32_e32 v33, vcc, 0, v33, vcc
	v_cvt_f32_i32_e32 v33, v33
	v_fma_f32 v34, v30, v31, -v32
	v_fmac_f32_e32 v34, v30, v36
	v_fmac_f32_e32 v34, v29, v31
	v_mul_f32_e32 v30, 0x3f317218, v33
	v_fma_f32 v36, v33, s45, -v30
	v_fmac_f32_e32 v36, 0xb102e308, v33
	v_ldexp_f32 v37, v28, 1
	v_add_f32_e32 v31, v32, v34
	v_pk_add_f32 v[28:29], v[30:31], v[36:37]
	v_mov_b32_e32 v38, v31
	v_mov_b32_e32 v39, v29
	;; [unrolled: 1-line block ×3, first 2 shown]
	v_pk_add_f32 v[32:33], v[38:39], v[32:33] neg_lo:[0,1] neg_hi:[0,1]
	v_mov_b32_e32 v35, v31
	v_pk_add_f32 v[32:33], v[34:35], v[32:33] neg_lo:[0,1] neg_hi:[0,1]
	v_mov_b32_e32 v37, v28
	v_add_f32_e32 v31, v40, v32
	v_add_f32_e32 v31, v31, v33
	v_pk_add_f32 v[32:33], v[28:29], v[30:31] neg_lo:[0,1] neg_hi:[0,1]
	v_pk_add_f32 v[34:35], v[28:29], v[30:31]
	v_mov_b32_e32 v30, v31
	v_mov_b32_e32 v33, v35
	v_pk_add_f32 v[38:39], v[36:37], v[32:33] neg_lo:[0,1] neg_hi:[0,1]
	v_pk_add_f32 v[32:33], v[36:37], v[32:33]
	v_mov_b32_e32 v31, v28
	v_pk_add_f32 v[36:37], v[32:33], v[28:29] op_sel:[1,0] op_sel_hi:[0,1] neg_lo:[0,1] neg_hi:[0,1]
	v_pk_add_f32 v[40:41], v[34:35], v[36:37] op_sel_hi:[1,0] neg_lo:[0,1] neg_hi:[0,1]
	v_mov_b32_e32 v34, v35
	v_mov_b32_e32 v35, v33
	v_pk_mov_b32 v[36:37], v[28:29], v[36:37] op_sel:[1,0]
	v_mov_b32_e32 v40, v38
	v_pk_add_f32 v[34:35], v[34:35], v[36:37] neg_lo:[0,1] neg_hi:[0,1]
	v_mov_b32_e32 v39, v33
	v_pk_add_f32 v[28:29], v[30:31], v[34:35] neg_lo:[0,1] neg_hi:[0,1]
	s_nop 0
	v_pk_add_f32 v[30:31], v[40:41], v[28:29]
	s_nop 0
	v_pk_add_f32 v[34:35], v[30:31], v[30:31] op_sel:[0,1] op_sel_hi:[1,0]
	s_nop 0
	v_pk_add_f32 v[32:33], v[32:33], v[34:35] op_sel:[1,0] op_sel_hi:[0,1]
	v_mov_b32_e32 v31, v32
	v_pk_add_f32 v[36:37], v[30:31], v[38:39] neg_lo:[0,1] neg_hi:[0,1]
	v_mov_b32_e32 v29, v34
	v_sub_f32_e32 v30, v30, v36
	v_pk_add_f32 v[28:29], v[28:29], v[36:37] neg_lo:[0,1] neg_hi:[0,1]
	v_sub_f32_e32 v30, v38, v30
	v_add_f32_e32 v28, v28, v30
	v_add_f32_e32 v28, v28, v29
	;; [unrolled: 1-line block ×3, first 2 shown]
	v_sub_f32_e32 v30, v29, v32
	v_sub_f32_e32 v28, v28, v30
	v_mul_f32_e32 v30, v42, v29
	v_fma_f32 v29, v42, v29, -v30
	v_fmac_f32_e32 v29, v42, v28
	v_add_f32_e32 v28, v30, v29
	v_cmp_class_f32_e64 vcc, v30, s41
	v_sub_f32_e32 v31, v28, v30
	v_sub_f32_e32 v29, v29, v31
	v_cndmask_b32_e32 v28, v28, v30, vcc
	v_cmp_eq_f32_e32 vcc, s48, v28
	s_nop 1
	v_cndmask_b32_e32 v30, 0, v26, vcc
	v_sub_f32_e32 v31, v28, v30
	v_mul_f32_e32 v32, 0x3fb8aa3b, v31
	v_fma_f32 v33, v31, s49, -v32
	v_rndne_f32_e32 v34, v32
	v_fmac_f32_e32 v33, 0x32a5705f, v31
	v_sub_f32_e32 v32, v32, v34
	v_add_f32_e32 v32, v32, v33
	v_exp_f32_e32 v32, v32
	v_cvt_i32_f32_e32 v33, v34
	v_cmp_neq_f32_e64 vcc, |v28|, s42
	s_nop 1
	v_cndmask_b32_e32 v28, 0, v29, vcc
	v_ldexp_f32 v29, v32, v33
	v_cmp_ngt_f32_e32 vcc, s50, v31
	v_add_f32_e32 v28, v30, v28
	s_nop 0
	v_cndmask_b32_e32 v29, 0, v29, vcc
	v_cmp_nlt_f32_e32 vcc, s48, v31
	s_nop 1
	v_cndmask_b32_e32 v29, v25, v29, vcc
	v_fma_f32 v28, v29, v28, v29
	v_cmp_class_f32_e64 vcc, v29, s41
	s_nop 1
	v_cndmask_b32_e32 v28, v28, v29, vcc
	v_trunc_f32_e32 v29, v42
	v_cmp_eq_f32_e32 vcc, v29, v42
	v_mul_f32_e32 v29, 0.5, v42
	v_trunc_f32_e32 v30, v29
	v_cmp_neq_f32_e64 s[2:3], v30, v29
	s_and_b64 s[2:3], vcc, s[2:3]
	s_nop 0
	v_cndmask_b32_e64 v29, 1.0, v43, s[2:3]
	v_bfi_b32 v28, s43, v28, v29
	v_cndmask_b32_e32 v29, v27, v28, vcc
	v_cmp_gt_f32_e32 vcc, 0, v43
	v_cndmask_b32_e64 v30, 0, v43, s[2:3]
	s_nop 0
	v_cndmask_b32_e32 v28, v28, v29, vcc
	v_cndmask_b32_e64 v29, v25, 0, s[4:5]
	v_cmp_neq_f32_e64 vcc, |v43|, 1.0
	v_cmp_gt_f32_e64 s[4:5], 0, v42
	s_nop 0
	v_cndmask_b32_e32 v29, 1.0, v29, vcc
	v_cmp_class_f32_e64 vcc, v42, s41
	s_nop 1
	v_cndmask_b32_e32 v28, v28, v29, vcc
	v_cmp_eq_f32_e32 vcc, 0, v43
	s_xor_b64 s[4:5], s[4:5], vcc
	v_cndmask_b32_e64 v29, v25, 0, s[4:5]
	v_bfi_b32 v29, s43, v29, v30
	s_or_b64 vcc, vcc, s[8:9]
	v_cndmask_b32_e32 v28, v28, v29, vcc
	v_cmp_o_f32_e32 vcc, v43, v42
	s_nop 1
	v_cndmask_b32_e32 v30, v27, v28, vcc
	v_lshl_add_u64 v[28:29], v[8:9], 0, s[18:19]
	global_store_dword v[28:29], v30, off
	s_branch .LBB78_3
.LBB78_20:
	s_mov_b64 s[2:3], 0
.LBB78_21:
	s_andn2_b64 vcc, exec, s[2:3]
	s_cbranch_vccnz .LBB78_25
; %bb.22:
	v_mov_b64_e32 v[4:5], 0x10000
	v_cmp_lt_i64_e32 vcc, s[20:21], v[4:5]
	s_and_b64 s[2:3], vcc, exec
	v_mov_b32_e32 v3, 0
	s_cselect_b32 s51, s21, 0
	s_cselect_b32 s50, s20, 0x10000
	v_lshlrev_b32_e32 v2, 2, v0
	s_mov_b32 s49, 0
	v_cmp_gt_i64_e32 vcc, s[50:51], v[2:3]
	s_and_saveexec_b64 s[2:3], vcc
	s_cbranch_execz .LBB78_25
; %bb.23:
	s_load_dword s0, s[0:1], 0xc5c
	v_lshlrev_b32_e32 v2, 4, v0
	v_mov_b32_e32 v1, v3
	v_cmp_eq_f32_e64 s[52:53], s33, 1.0
	v_lshl_add_u64 v[2:3], s[18:19], 0, v[2:3]
	s_waitcnt lgkmcnt(0)
	s_and_b32 s48, s0, 0xffff
	s_lshl_b32 s54, s48, 4
	s_add_u32 s56, s16, 8
	s_mov_b32 s55, s49
	s_addc_u32 s57, s17, 0
	s_mov_b64 s[58:59], 0
	v_mov_b32_e32 v20, s33
	v_mov_b32_e32 v21, s33
	s_mov_b32 s33, 0x3f2aaaab
	v_mov_b32_e32 v22, 0x3e91f4c4
	s_mov_b32 s60, 0x3f317218
	;; [unrolled: 2-line block ×3, first 2 shown]
	s_movk_i32 s62, 0x204
	v_mov_b32_e32 v24, 0x37000000
	s_mov_b32 s63, 0x3fb8aa3b
	s_mov_b32 s64, 0xc2ce8ed0
	v_mov_b32_e32 v25, 0x7f800000
	s_brev_b32 s65, -2
	v_mov_b32_e32 v26, 0x7fc00000
                                        ; implicit-def: $vgpr4
.LBB78_24:                              ; =>This Inner Loop Header: Depth=1
	v_lshl_add_u64 v[4:5], s[56:57], 0, v[2:3]
	global_load_dwordx4 v[4:7], v[4:5], off offset:-8
	v_lshl_add_u64 v[0:1], v[0:1], 0, s[48:49]
	v_lshlrev_b64 v[8:9], 2, v[0:1]
	v_cmp_le_i64_e32 vcc, s[50:51], v[8:9]
	s_waitcnt vmcnt(0)
	v_cndmask_b32_e64 v5, v5, 1.0, s[52:53]
	v_cndmask_b32_e64 v4, v4, 1.0, s[52:53]
	v_cmp_neq_f32_e64 s[0:1], 0, v5
	v_cndmask_b32_e64 v7, v7, 1.0, s[52:53]
	v_cndmask_b32_e64 v6, v6, 1.0, s[52:53]
	v_cndmask_b32_e64 v27, 1.0, v20, s[0:1]
	v_cmp_neq_f32_e64 s[0:1], 0, v4
	v_frexp_mant_f32_e64 v19, |v27|
	v_pk_mul_f32 v[10:11], v[6:7], 0.5 op_sel_hi:[1,0]
	v_cndmask_b32_e64 v28, 1.0, v21, s[0:1]
	v_cmp_neq_f32_e64 s[0:1], 0, v7
	v_frexp_mant_f32_e64 v18, |v28|
	v_cvt_f64_f32_e64 v[12:13], |v28|
	v_cndmask_b32_e64 v29, 1.0, v20, s[0:1]
	v_cmp_neq_f32_e64 s[0:1], 0, v6
	v_cmp_gt_f32_e64 s[12:13], s33, v19
	v_pk_mul_f32 v[8:9], v[4:5], 0.5 op_sel_hi:[1,0]
	v_cndmask_b32_e64 v30, 1.0, v21, s[0:1]
	v_frexp_mant_f32_e64 v34, |v29|
	v_trunc_f32_e32 v36, v11
	v_cmp_gt_f32_e64 s[10:11], s33, v18
	v_frexp_exp_i32_f64_e32 v12, v[12:13]
	v_cndmask_b32_e64 v13, 1.0, 2.0, s[12:13]
	v_cvt_f64_f32_e64 v[14:15], |v27|
	v_trunc_f32_e32 v32, v9
	v_cvt_f64_f32_e64 v[16:17], |v30|
	v_trunc_f32_e32 v35, v10
	v_cndmask_b32_e64 v37, 1.0, 2.0, s[10:11]
	v_cmp_gt_f32_e64 s[8:9], s33, v34
	v_cmp_neq_f32_e64 s[0:1], v36, v11
	v_subbrev_co_u32_e64 v11, s[10:11], 0, v12, s[10:11]
	v_mul_f32_e32 v12, v19, v13
	v_frexp_exp_i32_f64_e32 v14, v[14:15]
	v_cmp_neq_f32_e64 s[4:5], v32, v9
	v_frexp_exp_i32_f64_e32 v9, v[16:17]
	v_cndmask_b32_e64 v15, 1.0, 2.0, s[8:9]
	v_cmp_neq_f32_e64 s[2:3], v35, v10
	v_mul_f32_e32 v10, v18, v37
	v_add_f32_e32 v17, 1.0, v12
	v_subbrev_co_u32_e64 v13, s[10:11], 0, v14, s[12:13]
	v_mul_f32_e32 v14, v34, v15
	v_add_f32_e32 v15, 1.0, v10
	v_rcp_f32_e32 v53, v17
	v_frexp_mant_f32_e64 v33, |v30|
	v_rcp_f32_e32 v52, v15
	v_trunc_f32_e32 v31, v8
	v_cmp_gt_f32_e64 s[14:15], s33, v33
	v_cmp_neq_f32_e64 s[6:7], v31, v8
	v_add_f32_e32 v35, -1.0, v12
	v_cndmask_b32_e64 v8, 1.0, 2.0, s[14:15]
	v_mul_f32_e32 v8, v33, v8
	v_add_f32_e32 v33, -1.0, v10
	v_mul_f32_e32 v57, v35, v53
	v_add_f32_e32 v31, 1.0, v14
	v_add_f32_e32 v18, -1.0, v17
	v_mul_f32_e32 v56, v33, v52
	v_mul_f32_e32 v44, v17, v57
	v_add_f32_e32 v19, 1.0, v8
	v_add_f32_e32 v16, -1.0, v15
	v_rcp_f32_e32 v55, v31
	v_sub_f32_e32 v38, v12, v18
	v_mul_f32_e32 v40, v15, v56
	v_fma_f32 v46, v57, v17, -v44
	v_rcp_f32_e32 v54, v19
	v_add_f32_e32 v34, -1.0, v31
	v_sub_f32_e32 v36, v10, v16
	v_fma_f32 v42, v56, v15, -v40
	v_fmac_f32_e32 v46, v57, v38
	v_add_f32_e32 v32, -1.0, v19
	v_sub_f32_e32 v51, v14, v34
	v_fmac_f32_e32 v42, v56, v36
	v_add_f32_e32 v34, v44, v46
	v_add_f32_e32 v39, -1.0, v14
	v_sub_f32_e32 v49, v8, v32
	v_add_f32_e32 v32, v40, v42
	v_sub_f32_e32 v45, v35, v34
	v_subbrev_co_u32_e64 v9, s[10:11], 0, v9, s[14:15]
	v_add_f32_e32 v37, -1.0, v8
	v_mul_f32_e32 v59, v39, v55
	v_sub_f32_e32 v41, v33, v32
	v_mov_b32_e32 v47, v34
	v_pk_add_f32 v[34:35], v[34:35], v[44:45] neg_lo:[0,1] neg_hi:[0,1]
	v_cvt_f32_i32_e32 v9, v9
	v_mul_f32_e32 v58, v37, v54
	v_mov_b32_e32 v43, v32
	v_pk_add_f32 v[32:33], v[32:33], v[40:41] neg_lo:[0,1] neg_hi:[0,1]
	v_pk_add_f32 v[34:35], v[34:35], v[46:47] neg_lo:[0,1] neg_hi:[0,1]
	v_mul_f32_e32 v46, v31, v59
	v_cvt_f32_i32_e32 v11, v11
	v_pk_add_f32 v[32:33], v[32:33], v[42:43] neg_lo:[0,1] neg_hi:[0,1]
	v_mul_f32_e32 v42, v19, v58
	v_fma_f32 v50, v59, v31, -v46
	v_cvt_f32_i32_e32 v13, v13
	v_fma_f32 v48, v58, v19, -v42
	v_fmac_f32_e32 v50, v59, v51
	v_fmac_f32_e32 v48, v58, v49
	v_add_f32_e32 v38, v46, v50
	v_mul_f32_e32 v8, 0x3f317218, v9
	v_add_f32_e32 v36, v42, v48
	v_sub_f32_e32 v47, v39, v38
	v_mul_f32_e32 v12, 0x3f317218, v11
	v_fma_f32 v14, v9, s60, -v8
	v_sub_f32_e32 v43, v37, v36
	v_mov_b32_e32 v51, v38
	v_pk_add_f32 v[38:39], v[38:39], v[46:47] neg_lo:[0,1] neg_hi:[0,1]
	v_mul_f32_e32 v10, 0x3f317218, v13
	v_fma_f32 v18, v11, s60, -v12
	v_fmac_f32_e32 v14, 0xb102e308, v9
	v_mov_b32_e32 v49, v36
	v_pk_add_f32 v[36:37], v[36:37], v[42:43] neg_lo:[0,1] neg_hi:[0,1]
	v_pk_add_f32 v[38:39], v[38:39], v[50:51] neg_lo:[0,1] neg_hi:[0,1]
	v_add_f32_e32 v9, v32, v33
	v_fma_f32 v16, v13, s60, -v10
	v_fmac_f32_e32 v18, 0xb102e308, v11
	v_pk_add_f32 v[36:37], v[36:37], v[48:49] neg_lo:[0,1] neg_hi:[0,1]
	v_add_f32_e32 v11, v34, v35
	v_add_f32_e32 v15, v38, v39
	;; [unrolled: 1-line block ×3, first 2 shown]
	v_fmac_f32_e32 v16, 0xb102e308, v13
	v_add_f32_e32 v13, v36, v37
	v_add_f32_e32 v11, v45, v11
	;; [unrolled: 1-line block ×3, first 2 shown]
	v_mul_f32_e32 v9, v52, v9
	v_add_f32_e32 v13, v43, v13
	v_mul_f32_e32 v11, v53, v11
	v_mul_f32_e32 v15, v55, v15
	v_add_f32_e32 v32, v56, v9
	v_mul_f32_e32 v13, v54, v13
	v_add_f32_e32 v34, v57, v11
	v_add_f32_e32 v38, v59, v15
	v_sub_f32_e32 v17, v32, v56
	v_add_f32_e32 v36, v58, v13
	v_mul_f32_e32 v31, v32, v32
	v_sub_f32_e32 v33, v34, v57
	v_sub_f32_e32 v40, v38, v59
	;; [unrolled: 1-line block ×3, first 2 shown]
	v_mul_f32_e32 v35, v34, v34
	v_sub_f32_e32 v37, v36, v58
	v_fma_f32 v9, v32, v32, -v31
	v_sub_f32_e32 v63, v11, v33
	v_sub_f32_e32 v65, v15, v40
	v_add_f32_e32 v15, v62, v62
	v_mul_f32_e32 v39, v36, v36
	v_fma_f32 v11, v34, v34, -v35
	v_sub_f32_e32 v64, v13, v37
	v_add_f32_e32 v17, v63, v63
	v_fmac_f32_e32 v9, v32, v15
	v_fma_f32 v13, v36, v36, -v39
	v_add_f32_e32 v33, v64, v64
	v_fmac_f32_e32 v11, v34, v17
	v_add_f32_e32 v40, v31, v9
	v_fmac_f32_e32 v13, v36, v33
	v_add_f32_e32 v42, v35, v11
	v_fmamk_f32 v15, v40, 0x3e76c4e1, v22
	v_add_f32_e32 v44, v39, v13
	v_sub_f32_e32 v33, v42, v35
	v_fmaak_f32 v15, v40, v15, 0x3ecccdef
	v_sub_f32_e32 v17, v40, v31
	v_fmamk_f32 v31, v42, 0x3e76c4e1, v22
	v_fmamk_f32 v35, v44, 0x3e76c4e1, v22
	v_sub_f32_e32 v11, v11, v33
	v_mul_f32_e32 v33, v40, v15
	v_sub_f32_e32 v9, v9, v17
	v_fmaak_f32 v17, v42, v31, 0x3ecccdef
	v_fmaak_f32 v31, v44, v35, 0x3ecccdef
	v_fma_f32 v35, v40, v15, -v33
	v_fmac_f32_e32 v35, v9, v15
	v_add_f32_e32 v15, v33, v35
	v_sub_f32_e32 v33, v15, v33
	v_add_f32_e32 v47, 0x3f2aaaaa, v15
	v_sub_f32_e32 v33, v35, v33
	v_add_f32_e32 v35, 0xbf2aaaaa, v47
	v_add_f32_e32 v33, 0x31739010, v33
	v_sub_f32_e32 v41, v15, v35
	v_pk_mul_f32 v[48:49], v[32:33], v[40:41]
	v_mul_f32_e32 v54, v38, v38
	v_fma_f32 v46, v40, v32, -v48
	v_fmac_f32_e32 v46, v40, v62
	v_ldexp_f32 v19, v32, 1
	v_fma_f32 v55, v38, v38, -v54
	v_add_f32_e32 v37, v65, v65
	v_fmac_f32_e32 v46, v9, v32
	v_mul_f32_e32 v9, v42, v17
	v_pk_add_f32 v[32:33], v[32:33], v[40:41]
	v_fmac_f32_e32 v55, v38, v37
	v_sub_f32_e32 v37, v44, v39
	v_mul_f32_e32 v15, v44, v31
	v_fma_f32 v32, v42, v17, -v9
	v_sub_f32_e32 v13, v13, v37
	v_fmac_f32_e32 v32, v11, v17
	v_fma_f32 v17, v44, v31, -v15
	v_fmac_f32_e32 v17, v13, v31
	v_add_f32_e32 v31, v9, v32
	v_add_f32_e32 v41, 0x3f2aaaaa, v31
	;; [unrolled: 1-line block ×3, first 2 shown]
	v_sub_f32_e32 v43, v31, v35
	v_sub_f32_e32 v9, v31, v9
	v_add_f32_e32 v31, v15, v17
	v_add_f32_e32 v51, 0x3f2aaaaa, v31
	;; [unrolled: 1-line block ×3, first 2 shown]
	v_sub_f32_e32 v9, v32, v9
	v_sub_f32_e32 v45, v31, v35
	v_add_f32_e32 v35, 0x31739010, v9
	v_sub_f32_e32 v15, v31, v15
	v_pk_mul_f32 v[52:53], v[34:35], v[42:43]
	v_sub_f32_e32 v15, v17, v15
	v_fma_f32 v40, v42, v34, -v52
	v_add_f32_e32 v37, 0x31739010, v15
	v_fmac_f32_e32 v40, v42, v63
	v_fmac_f32_e32 v40, v11, v34
	v_ldexp_f32 v17, v34, 1
	v_pk_add_f32 v[34:35], v[34:35], v[42:43]
	v_pk_mul_f32 v[42:43], v[36:37], v[44:45]
	v_ldexp_f32 v15, v36, 1
	v_fma_f32 v50, v44, v36, -v42
	v_fmac_f32_e32 v50, v44, v64
	v_pk_add_f32 v[44:45], v[36:37], v[44:45]
	v_fmac_f32_e32 v50, v13, v36
	v_add_f32_e32 v36, v54, v55
	v_fmamk_f32 v9, v36, 0x3e76c4e1, v22
	v_fmaak_f32 v9, v36, v9, 0x3ecccdef
	v_sub_f32_e32 v11, v36, v54
	v_mul_f32_e32 v13, v36, v9
	v_sub_f32_e32 v11, v55, v11
	v_fma_f32 v31, v36, v9, -v13
	v_fmac_f32_e32 v31, v11, v9
	v_add_f32_e32 v9, v13, v31
	v_add_f32_e32 v55, 0x3f2aaaaa, v9
	;; [unrolled: 1-line block ×3, first 2 shown]
	v_sub_f32_e32 v37, v9, v32
	v_sub_f32_e32 v9, v9, v13
	v_mov_b32_e32 v49, v33
	v_sub_f32_e32 v9, v31, v9
	v_pk_add_f32 v[56:57], v[48:49], v[46:47]
	v_add_f32_e32 v39, 0x31739010, v9
	v_sub_f32_e32 v13, v47, v57
	v_add_f32_e32 v13, v33, v13
	v_pk_mul_f32 v[32:33], v[38:39], v[36:37]
	v_sub_f32_e32 v9, v56, v48
	v_mov_b32_e32 v53, v35
	v_fma_f32 v54, v36, v38, -v32
	v_sub_f32_e32 v9, v46, v9
	v_fmac_f32_e32 v54, v36, v65
	v_pk_add_f32 v[46:47], v[52:53], v[40:41]
	v_fmac_f32_e32 v54, v11, v38
	v_sub_f32_e32 v11, v46, v52
	v_mov_b32_e32 v43, v45
	v_pk_add_f32 v[36:37], v[38:39], v[36:37]
	v_sub_f32_e32 v11, v40, v11
	v_sub_f32_e32 v31, v41, v47
	v_pk_add_f32 v[40:41], v[42:43], v[50:51]
	v_mov_b32_e32 v33, v37
	v_sub_f32_e32 v42, v40, v42
	v_add_f32_e32 v31, v35, v31
	v_pk_add_f32 v[34:35], v[32:33], v[54:55]
	v_sub_f32_e32 v39, v51, v41
	v_sub_f32_e32 v36, v34, v32
	;; [unrolled: 1-line block ×3, first 2 shown]
	v_pk_mul_f32 v[32:33], v[56:57], v[56:57] op_sel:[0,1] op_sel_hi:[1,0]
	v_pk_mul_f32 v[42:43], v[46:47], v[46:47] op_sel:[0,1] op_sel_hi:[1,0]
	v_add_f32_e32 v39, v45, v39
	v_sub_f32_e32 v52, v54, v36
	v_fma_f32 v36, v56, v57, -v32
	v_pk_mul_f32 v[44:45], v[40:41], v[40:41] op_sel:[0,1] op_sel_hi:[1,0]
	v_fma_f32 v48, v46, v47, -v42
	v_sub_f32_e32 v33, v55, v35
	v_fmac_f32_e32 v36, v56, v13
	v_fmac_f32_e32 v48, v46, v31
	v_pk_mul_f32 v[50:51], v[34:35], v[34:35] op_sel:[0,1] op_sel_hi:[1,0]
	v_fma_f32 v46, v40, v41, -v44
	v_add_f32_e32 v37, v37, v33
	v_fmac_f32_e32 v36, v9, v57
	v_fmac_f32_e32 v46, v40, v39
	v_fma_f32 v40, v34, v35, -v50
	v_fmac_f32_e32 v48, v11, v47
	v_fmac_f32_e32 v40, v34, v37
	v_add_f32_e32 v13, v32, v36
	v_fmac_f32_e32 v40, v52, v35
	v_add_f32_e32 v11, v42, v48
	v_pk_add_f32 v[34:35], v[12:13], v[18:19]
	v_mov_b32_e32 v33, v19
	v_fmac_f32_e32 v46, v49, v41
	v_mov_b32_e32 v52, v13
	v_pk_add_f32 v[54:55], v[10:11], v[16:17]
	v_mov_b32_e32 v53, v35
	v_mov_b32_e32 v43, v17
	v_add_f32_e32 v9, v44, v46
	v_pk_add_f32 v[32:33], v[52:53], v[32:33] neg_lo:[0,1] neg_hi:[0,1]
	v_mov_b32_e32 v52, v11
	v_mov_b32_e32 v53, v55
	v_pk_add_f32 v[42:43], v[52:53], v[42:43] neg_lo:[0,1] neg_hi:[0,1]
	v_pk_add_f32 v[52:53], v[8:9], v[14:15]
	v_mov_b32_e32 v45, v15
	v_mov_b32_e32 v56, v9
	;; [unrolled: 1-line block ×3, first 2 shown]
	v_pk_add_f32 v[44:45], v[56:57], v[44:45] neg_lo:[0,1] neg_hi:[0,1]
	v_cvt_f64_f32_e64 v[56:57], |v29|
	v_frexp_exp_i32_f64_e32 v15, v[56:57]
	v_subbrev_co_u32_e64 v15, s[8:9], 0, v15, s[8:9]
	v_cvt_f32_i32_e32 v15, v15
	v_ldexp_f32 v39, v38, 1
	v_add_f32_e32 v57, v50, v40
	v_mov_b32_e32 v51, v39
	v_mul_f32_e32 v56, 0x3f317218, v15
	v_fma_f32 v38, v15, s60, -v56
	v_fmac_f32_e32 v38, 0xb102e308, v15
	v_pk_add_f32 v[58:59], v[56:57], v[38:39]
	v_mov_b32_e32 v60, v57
	v_mov_b32_e32 v61, v59
	;; [unrolled: 1-line block ×5, first 2 shown]
	v_pk_add_f32 v[50:51], v[60:61], v[50:51] neg_lo:[0,1] neg_hi:[0,1]
	v_pk_add_f32 v[32:33], v[36:37], v[32:33] neg_lo:[0,1] neg_hi:[0,1]
	;; [unrolled: 1-line block ×3, first 2 shown]
	v_ldexp_f32 v11, v62, 1
	v_ldexp_f32 v13, v63, 1
	v_ldexp_f32 v31, v64, 1
	v_mov_b32_e32 v41, v57
	v_pk_add_f32 v[42:43], v[46:47], v[44:45] neg_lo:[0,1] neg_hi:[0,1]
	v_ldexp_f32 v48, v65, 1
	v_pk_add_f32 v[40:41], v[40:41], v[50:51] neg_lo:[0,1] neg_hi:[0,1]
	v_add_f32_e32 v9, v11, v32
	v_add_f32_e32 v11, v13, v36
	;; [unrolled: 1-line block ×8, first 2 shown]
	v_pk_add_f32 v[32:33], v[34:35], v[12:13] neg_lo:[0,1] neg_hi:[0,1]
	v_pk_add_f32 v[36:37], v[34:35], v[12:13]
	v_pk_add_f32 v[40:41], v[54:55], v[10:11] neg_lo:[0,1] neg_hi:[0,1]
	v_pk_add_f32 v[42:43], v[54:55], v[10:11]
	;; [unrolled: 2-line block ×3, first 2 shown]
	v_mov_b32_e32 v19, v34
	v_mov_b32_e32 v17, v54
	;; [unrolled: 1-line block ×6, first 2 shown]
	v_pk_add_f32 v[48:49], v[58:59], v[56:57] neg_lo:[0,1] neg_hi:[0,1]
	v_pk_add_f32 v[50:51], v[18:19], v[32:33] neg_lo:[0,1] neg_hi:[0,1]
	v_pk_add_f32 v[18:19], v[18:19], v[32:33]
	v_pk_add_f32 v[32:33], v[16:17], v[40:41] neg_lo:[0,1] neg_hi:[0,1]
	v_pk_add_f32 v[16:17], v[16:17], v[40:41]
	v_pk_add_f32 v[40:41], v[14:15], v[44:45] neg_lo:[0,1] neg_hi:[0,1]
	v_pk_add_f32 v[14:15], v[14:15], v[44:45]
	v_pk_add_f32 v[44:45], v[58:59], v[56:57]
	v_mov_b32_e32 v39, v58
	v_mov_b32_e32 v49, v45
	v_pk_add_f32 v[60:61], v[38:39], v[48:49] neg_lo:[0,1] neg_hi:[0,1]
	v_pk_add_f32 v[38:39], v[38:39], v[48:49]
	v_pk_add_f32 v[48:49], v[18:19], v[34:35] op_sel:[1,0] op_sel_hi:[0,1] neg_lo:[0,1] neg_hi:[0,1]
	v_mov_b32_e32 v12, v13
	v_mov_b32_e32 v13, v34
	;; [unrolled: 1-line block ×3, first 2 shown]
	v_pk_mov_b32 v[34:35], v[34:35], v[48:49] op_sel:[1,0]
	v_pk_add_f32 v[36:37], v[36:37], v[48:49] op_sel_hi:[1,0] neg_lo:[0,1] neg_hi:[0,1]
	v_pk_add_f32 v[34:35], v[18:19], v[34:35] neg_lo:[0,1] neg_hi:[0,1]
	v_trunc_f32_e32 v18, v5
	v_pk_add_f32 v[48:49], v[16:17], v[54:55] op_sel:[1,0] op_sel_hi:[0,1] neg_lo:[0,1] neg_hi:[0,1]
	v_cmp_eq_f32_e64 s[14:15], v18, v5
	v_trunc_f32_e32 v18, v4
	v_mov_b32_e32 v10, v11
	v_mov_b32_e32 v11, v54
	;; [unrolled: 1-line block ×3, first 2 shown]
	v_pk_add_f32 v[42:43], v[42:43], v[48:49] op_sel_hi:[1,0] neg_lo:[0,1] neg_hi:[0,1]
	v_pk_mov_b32 v[48:49], v[54:55], v[48:49] op_sel:[1,0]
	v_mov_b32_e32 v54, v9
	v_pk_add_f32 v[8:9], v[14:15], v[52:53] op_sel:[1,0] op_sel_hi:[0,1] neg_lo:[0,1] neg_hi:[0,1]
	v_cmp_eq_f32_e64 s[22:23], v18, v4
	v_trunc_f32_e32 v18, v7
	v_mov_b32_e32 v55, v52
	v_mov_b32_e32 v14, v47
	v_pk_add_f32 v[46:47], v[46:47], v[8:9] op_sel_hi:[1,0] neg_lo:[0,1] neg_hi:[0,1]
	v_pk_mov_b32 v[52:53], v[52:53], v[8:9] op_sel:[1,0]
	v_pk_add_f32 v[8:9], v[38:39], v[58:59] op_sel:[1,0] op_sel_hi:[0,1] neg_lo:[0,1] neg_hi:[0,1]
	v_pk_add_f32 v[48:49], v[16:17], v[48:49] neg_lo:[0,1] neg_hi:[0,1]
	v_cmp_eq_f32_e64 s[26:27], v18, v7
	v_trunc_f32_e32 v18, v6
	v_mov_b32_e32 v56, v57
	v_mov_b32_e32 v57, v58
	;; [unrolled: 1-line block ×3, first 2 shown]
	v_pk_mov_b32 v[58:59], v[58:59], v[8:9] op_sel:[1,0]
	v_mov_b32_e32 v51, v19
	v_mov_b32_e32 v16, v19
	v_cmp_eq_f32_e64 s[30:31], v18, v6
	v_pk_add_f32 v[18:19], v[14:15], v[52:53] neg_lo:[0,1] neg_hi:[0,1]
	v_pk_add_f32 v[12:13], v[12:13], v[34:35] neg_lo:[0,1] neg_hi:[0,1]
	v_mov_b32_e32 v36, v50
	v_mov_b32_e32 v42, v32
	v_pk_add_f32 v[10:11], v[10:11], v[48:49] neg_lo:[0,1] neg_hi:[0,1]
	v_pk_add_f32 v[44:45], v[44:45], v[8:9] op_sel_hi:[1,0] neg_lo:[0,1] neg_hi:[0,1]
	v_mov_b32_e32 v41, v15
	v_pk_add_f32 v[52:53], v[38:39], v[58:59] neg_lo:[0,1] neg_hi:[0,1]
	v_mov_b32_e32 v38, v15
	v_mov_b32_e32 v46, v40
	v_pk_add_f32 v[14:15], v[54:55], v[18:19] neg_lo:[0,1] neg_hi:[0,1]
	v_pk_add_f32 v[34:35], v[36:37], v[12:13]
	v_pk_add_f32 v[36:37], v[42:43], v[10:11]
	v_mov_b32_e32 v44, v60
	v_pk_add_f32 v[18:19], v[56:57], v[52:53] neg_lo:[0,1] neg_hi:[0,1]
	v_pk_add_f32 v[42:43], v[46:47], v[14:15]
	v_mov_b32_e32 v46, v34
	v_mov_b32_e32 v47, v36
	;; [unrolled: 1-line block ×4, first 2 shown]
	v_pk_add_f32 v[44:45], v[44:45], v[18:19]
	v_pk_add_f32 v[48:49], v[46:47], v[48:49]
	v_mov_b32_e32 v33, v17
	v_mov_b32_e32 v52, v42
	;; [unrolled: 1-line block ×3, first 2 shown]
	v_pk_add_f32 v[16:17], v[16:17], v[48:49]
	v_mov_b32_e32 v13, v48
	v_mov_b32_e32 v11, v49
	v_mov_b32_e32 v48, v43
	v_mov_b32_e32 v49, v45
	v_cmp_gt_f32_e64 s[36:37], 0, v5
	v_cmp_eq_f32_e64 s[16:17], 0, v27
	v_pk_add_f32 v[48:49], v[52:53], v[48:49]
	v_mov_b32_e32 v35, v16
	v_mov_b32_e32 v37, v17
	v_cmp_neq_f32_e64 s[28:29], v5, |v5|
	v_cmp_gt_f32_e64 s[34:35], 0, v4
	v_cmp_lt_f32_e64 s[42:43], |v27|, 1.0
	v_cmp_eq_f32_e64 s[10:11], 0, v28
	s_xor_b64 s[36:37], s[36:37], s[16:17]
	v_mov_b32_e32 v61, v39
	v_pk_add_f32 v[38:39], v[38:39], v[48:49]
	v_pk_add_f32 v[34:35], v[34:35], v[50:51] neg_lo:[0,1] neg_hi:[0,1]
	v_pk_add_f32 v[36:37], v[36:37], v[32:33] neg_lo:[0,1] neg_hi:[0,1]
	s_and_b64 s[4:5], s[14:15], s[4:5]
	v_cmp_neq_f32_e64 s[24:25], v4, |v4|
	v_cmp_gt_f32_e64 s[40:41], 0, v7
	v_cmp_lt_f32_e64 s[44:45], |v28|, 1.0
	s_xor_b64 s[42:43], s[28:29], s[42:43]
	v_cmp_eq_f32_e64 s[28:29], 0, v29
	s_xor_b64 s[34:35], s[34:35], s[10:11]
	v_cndmask_b32_e64 v62, v25, 0, s[36:37]
	s_and_b64 s[6:7], s[22:23], s[6:7]
	v_mov_b32_e32 v43, v38
	v_mov_b32_e32 v45, v39
	v_pk_add_f32 v[12:13], v[12:13], v[34:35] neg_lo:[0,1] neg_hi:[0,1]
	v_mov_b32_e32 v35, v36
	v_pk_add_f32 v[10:11], v[10:11], v[36:37] neg_lo:[0,1] neg_hi:[0,1]
	v_cndmask_b32_e64 v36, 0, v27, s[4:5]
	v_cmp_gt_f32_e64 s[38:39], 0, v6
	s_xor_b64 s[44:45], s[24:25], s[44:45]
	v_cmp_eq_f32_e64 s[24:25], 0, v30
	v_cndmask_b32_e64 v59, v25, 0, s[34:35]
	s_xor_b64 s[40:41], s[40:41], s[28:29]
	v_mov_b32_e32 v51, v32
	v_pk_add_f32 v[32:33], v[42:43], v[40:41] neg_lo:[0,1] neg_hi:[0,1]
	v_pk_add_f32 v[42:43], v[44:45], v[60:61] neg_lo:[0,1] neg_hi:[0,1]
	v_mov_b32_e32 v41, v60
	s_and_b64 s[0:1], s[26:27], s[0:1]
	v_bfi_b32 v60, s65, v62, v36
	v_cndmask_b32_e64 v36, 0, v28, s[6:7]
	v_mov_b32_e32 v15, v48
	v_mov_b32_e32 v19, v49
	s_xor_b64 s[38:39], s[38:39], s[24:25]
	v_cndmask_b32_e64 v54, v25, 0, s[40:41]
	s_and_b64 s[2:3], s[30:31], s[2:3]
	v_bfi_b32 v59, s65, v59, v36
	v_cndmask_b32_e64 v36, 0, v29, s[0:1]
	v_cndmask_b32_e64 v49, v25, 0, s[38:39]
	v_bfi_b32 v54, s65, v54, v36
	v_cndmask_b32_e64 v36, 0, v30, s[2:3]
	v_pk_add_f32 v[14:15], v[14:15], v[32:33] neg_lo:[0,1] neg_hi:[0,1]
	v_mov_b32_e32 v33, v42
	v_pk_add_f32 v[18:19], v[18:19], v[42:43] neg_lo:[0,1] neg_hi:[0,1]
	v_pk_add_f32 v[34:35], v[46:47], v[34:35] neg_lo:[0,1] neg_hi:[0,1]
	v_bfi_b32 v49, s65, v49, v36
	v_mov_b32_e32 v36, v12
	v_mov_b32_e32 v37, v10
	;; [unrolled: 1-line block ×3, first 2 shown]
	v_pk_add_f32 v[12:13], v[52:53], v[32:33] neg_lo:[0,1] neg_hi:[0,1]
	v_mov_b32_e32 v32, v14
	v_mov_b32_e32 v33, v18
	;; [unrolled: 1-line block ×3, first 2 shown]
	v_pk_add_f32 v[14:15], v[50:51], v[34:35] neg_lo:[0,1] neg_hi:[0,1]
	v_pk_add_f32 v[12:13], v[40:41], v[12:13] neg_lo:[0,1] neg_hi:[0,1]
	v_pk_add_f32 v[14:15], v[36:37], v[14:15]
	v_pk_add_f32 v[12:13], v[32:33], v[12:13]
	;; [unrolled: 1-line block ×6, first 2 shown]
	v_pk_add_f32 v[16:17], v[14:15], v[16:17] neg_lo:[0,1] neg_hi:[0,1]
	v_pk_mul_f32 v[32:33], v[4:5], v[14:15]
	v_pk_add_f32 v[10:11], v[10:11], v[16:17] neg_lo:[0,1] neg_hi:[0,1]
	v_fma_f32 v14, v4, v14, -v32
	v_pk_add_f32 v[34:35], v[18:19], v[38:39] neg_lo:[0,1] neg_hi:[0,1]
	v_pk_mul_f32 v[36:37], v[6:7], v[18:19]
	v_fma_f32 v15, v5, v15, -v33
	v_fmac_f32_e32 v14, v4, v10
	v_cndmask_b32_e64 v57, 1.0, v30, s[2:3]
	v_pk_add_f32 v[12:13], v[12:13], v[34:35] neg_lo:[0,1] neg_hi:[0,1]
	v_fma_f32 v16, v6, v18, -v36
	v_fmac_f32_e32 v15, v5, v11
	v_add_f32_e32 v10, v32, v14
	v_cmp_class_f32_e64 s[2:3], v32, v23
	v_cndmask_b32_e64 v56, 1.0, v29, s[0:1]
	v_fma_f32 v17, v7, v19, -v37
	v_fmac_f32_e32 v16, v6, v12
	v_add_f32_e32 v11, v33, v15
	v_cmp_class_f32_e64 s[0:1], v33, v23
	v_cndmask_b32_e64 v19, v10, v32, s[2:3]
	v_cndmask_b32_e64 v44, 1.0, v28, s[6:7]
	v_fmac_f32_e32 v17, v7, v13
	v_add_f32_e32 v12, v36, v16
	v_cmp_class_f32_e64 s[6:7], v36, v23
	v_sub_f32_e32 v18, v10, v32
	v_sub_f32_e32 v10, v11, v33
	v_cndmask_b32_e64 v32, v11, v33, s[0:1]
	v_cmp_eq_f32_e64 s[0:1], s61, v19
	v_cndmask_b32_e64 v55, 1.0, v27, s[4:5]
	v_add_f32_e32 v13, v37, v17
	v_cmp_class_f32_e64 s[4:5], v37, v23
	v_cndmask_b32_e64 v33, v12, v36, s[6:7]
	v_sub_f32_e32 v15, v15, v10
	v_cndmask_b32_e64 v10, 0, v24, s[0:1]
	v_cmp_eq_f32_e64 s[0:1], s61, v32
	v_sub_f32_e32 v11, v12, v36
	v_sub_f32_e32 v12, v13, v37
	v_cndmask_b32_e64 v34, v13, v37, s[4:5]
	v_cndmask_b32_e64 v13, 0, v24, s[0:1]
	v_cmp_eq_f32_e64 s[0:1], s61, v33
	v_sub_f32_e32 v18, v14, v18
	v_cmp_class_f32_e64 s[2:3], v19, s62
	v_cndmask_b32_e64 v14, 0, v24, s[0:1]
	v_cmp_eq_f32_e64 s[0:1], s61, v34
	v_sub_f32_e32 v16, v16, v11
	v_sub_f32_e32 v35, v17, v12
	v_cmp_class_f32_e64 s[4:5], v34, s62
	v_cmp_class_f32_e64 s[6:7], v33, s62
	v_cndmask_b32_e64 v17, 0, v24, s[0:1]
	v_cmp_class_f32_e64 s[0:1], v32, s62
	v_sub_f32_e32 v19, v19, v10
	v_cndmask_b32_e64 v12, v18, 0, s[2:3]
	v_cndmask_b32_e64 v11, v15, 0, s[0:1]
	v_sub_f32_e32 v18, v32, v13
	v_cndmask_b32_e64 v15, v35, 0, s[4:5]
	v_sub_f32_e32 v32, v33, v14
	;; [unrolled: 2-line block ×3, first 2 shown]
	v_mul_f32_e32 v34, 0x3fb8aa3b, v19
	v_pk_add_f32 v[10:11], v[12:13], v[10:11]
	v_mul_f32_e32 v35, 0x3fb8aa3b, v18
	v_mul_f32_e32 v36, 0x3fb8aa3b, v32
	v_pk_add_f32 v[12:13], v[16:17], v[14:15]
	v_mul_f32_e32 v14, 0x3fb8aa3b, v33
	v_fma_f32 v15, v19, s63, -v34
	v_rndne_f32_e32 v16, v34
	v_fma_f32 v17, v18, s63, -v35
	v_rndne_f32_e32 v37, v35
	;; [unrolled: 2-line block ×4, first 2 shown]
	v_fmac_f32_e32 v15, 0x32a5705f, v19
	v_sub_f32_e32 v34, v34, v16
	v_fmac_f32_e32 v17, 0x32a5705f, v18
	v_sub_f32_e32 v35, v35, v37
	;; [unrolled: 2-line block ×4, first 2 shown]
	v_add_f32_e32 v15, v34, v15
	v_add_f32_e32 v17, v35, v17
	;; [unrolled: 1-line block ×4, first 2 shown]
	v_cvt_i32_f32_e32 v16, v16
	v_cvt_i32_f32_e32 v37, v37
	;; [unrolled: 1-line block ×4, first 2 shown]
	v_exp_f32_e32 v15, v15
	v_exp_f32_e32 v17, v17
	;; [unrolled: 1-line block ×4, first 2 shown]
	v_ldexp_f32 v15, v15, v16
	v_ldexp_f32 v16, v17, v37
	v_cmp_ngt_f32_e64 s[0:1], s64, v18
	v_ldexp_f32 v17, v34, v39
	v_cmp_ngt_f32_e64 s[2:3], s64, v32
	;; [unrolled: 2-line block ×3, first 2 shown]
	v_cmp_ngt_f32_e64 s[6:7], s64, v19
	v_cndmask_b32_e64 v16, 0, v16, s[0:1]
	v_cmp_nlt_f32_e64 s[0:1], s61, v18
	v_cndmask_b32_e64 v15, 0, v15, s[6:7]
	v_cndmask_b32_e64 v17, 0, v17, s[2:3]
	v_cmp_nlt_f32_e64 s[2:3], s61, v32
	v_cndmask_b32_e64 v18, 0, v14, s[4:5]
	v_cmp_nlt_f32_e64 s[4:5], s61, v33
	v_cmp_nlt_f32_e64 s[6:7], s61, v19
	v_cmp_neq_f32_e64 s[66:67], v7, |v7|
	v_cmp_neq_f32_e64 s[68:69], v6, |v6|
	v_cndmask_b32_e64 v14, v25, v15, s[6:7]
	v_cndmask_b32_e64 v15, v25, v16, s[0:1]
	v_cndmask_b32_e64 v16, v25, v17, s[2:3]
	v_cndmask_b32_e64 v17, v25, v18, s[4:5]
	v_pk_fma_f32 v[10:11], v[14:15], v[10:11], v[14:15]
	v_cmp_class_f32_e64 s[0:1], v14, v23
	v_pk_fma_f32 v[12:13], v[16:17], v[12:13], v[16:17]
	v_cmp_class_f32_e64 s[2:3], v16, v23
	v_cmp_class_f32_e64 s[4:5], v17, v23
	;; [unrolled: 1-line block ×3, first 2 shown]
	v_cmp_lt_f32_e64 s[70:71], |v29|, 1.0
	v_cmp_lt_f32_e64 s[72:73], |v30|, 1.0
	v_cndmask_b32_e64 v11, v11, v15, s[6:7]
	v_cndmask_b32_e64 v10, v10, v14, s[0:1]
	;; [unrolled: 1-line block ×4, first 2 shown]
	s_xor_b64 s[34:35], s[68:69], s[72:73]
	s_xor_b64 s[36:37], s[66:67], s[70:71]
	v_bfi_b32 v10, s65, v10, v44
	v_bfi_b32 v11, s65, v11, v55
	;; [unrolled: 1-line block ×4, first 2 shown]
	v_cndmask_b32_e64 v31, v25, 0, s[42:43]
	v_cndmask_b32_e64 v58, v25, 0, s[44:45]
	v_cmp_neq_f32_e64 s[42:43], |v28|, 1.0
	v_cmp_neq_f32_e64 s[44:45], |v27|, 1.0
	v_cndmask_b32_e64 v63, v25, 0, s[36:37]
	v_cndmask_b32_e64 v48, v25, 0, s[34:35]
	v_cmp_neq_f32_e64 s[34:35], |v30|, 1.0
	v_cmp_neq_f32_e64 s[36:37], |v29|, 1.0
	v_cndmask_b32_e64 v14, v26, v11, s[14:15]
	v_cmp_gt_f32_e64 s[0:1], 0, v27
	v_cndmask_b32_e64 v15, v26, v10, s[22:23]
	v_cndmask_b32_e64 v16, v26, v13, s[26:27]
	v_cmp_gt_f32_e64 s[2:3], 0, v29
	v_cndmask_b32_e64 v17, v26, v12, s[30:31]
	v_cmp_gt_f32_e64 s[4:5], 0, v30
	v_cmp_gt_f32_e64 s[6:7], 0, v28
	v_cmp_class_f32_e64 s[8:9], v28, v23
	v_cmp_class_f32_e64 s[12:13], v27, v23
	;; [unrolled: 1-line block ×4, first 2 shown]
	v_cndmask_b32_e64 v45, 1.0, v58, s[42:43]
	v_cndmask_b32_e64 v31, 1.0, v31, s[44:45]
	;; [unrolled: 1-line block ×4, first 2 shown]
	v_cndmask_b32_e64 v10, v10, v15, s[6:7]
	v_cndmask_b32_e64 v11, v11, v14, s[0:1]
	v_cmp_class_f32_e64 s[0:1], v4, v23
	v_cndmask_b32_e64 v12, v12, v17, s[4:5]
	v_cndmask_b32_e64 v13, v13, v16, s[2:3]
	v_cmp_class_f32_e64 s[2:3], v6, v23
	v_cmp_class_f32_e64 s[4:5], v7, v23
	;; [unrolled: 1-line block ×3, first 2 shown]
	v_cndmask_b32_e64 v10, v10, v45, s[0:1]
	s_or_b64 s[0:1], s[16:17], s[12:13]
	v_cndmask_b32_e64 v11, v11, v31, s[6:7]
	v_cndmask_b32_e64 v13, v13, v58, s[4:5]
	v_cndmask_b32_e64 v12, v12, v48, s[2:3]
	s_or_b64 s[2:3], s[28:29], s[20:21]
	s_or_b64 s[4:5], s[24:25], s[18:19]
	;; [unrolled: 1-line block ×3, first 2 shown]
	v_cndmask_b32_e64 v10, v10, v59, s[6:7]
	v_cndmask_b32_e64 v11, v11, v60, s[0:1]
	v_cmp_o_f32_e64 s[0:1], v28, v4
	v_cndmask_b32_e64 v12, v12, v49, s[4:5]
	v_cndmask_b32_e64 v13, v13, v54, s[2:3]
	v_cmp_o_f32_e64 s[2:3], v29, v7
	v_cmp_o_f32_e64 s[4:5], v30, v6
	s_or_b64 s[58:59], vcc, s[58:59]
	v_cmp_o_f32_e32 vcc, v27, v5
	v_lshl_add_u64 v[8:9], s[46:47], 0, v[2:3]
	v_lshl_add_u64 v[2:3], v[2:3], 0, s[54:55]
	v_cndmask_b32_e32 v5, v26, v11, vcc
	v_cndmask_b32_e64 v4, v26, v10, s[0:1]
	v_cndmask_b32_e64 v7, v26, v13, s[2:3]
	;; [unrolled: 1-line block ×3, first 2 shown]
	global_store_dwordx4 v[8:9], v[4:7], off
	s_andn2_b64 exec, exec, s[58:59]
	s_cbranch_execnz .LBB78_24
.LBB78_25:
	s_endpgm
	.section	.rodata,"a",@progbits
	.p2align	6, 0x0
	.amdhsa_kernel _ZN2at6native12_GLOBAL__N_125multi_tensor_apply_kernelINS1_18TensorListMetadataILi2EEENS1_21BinaryOpScalarFunctorIfLi2ELi1ELi1EEEJNS1_21reverse_power_functorIfEEfEEEvT_T0_DpT1_
		.amdhsa_group_segment_fixed_size 0
		.amdhsa_private_segment_fixed_size 0
		.amdhsa_kernarg_size 3408
		.amdhsa_user_sgpr_count 2
		.amdhsa_user_sgpr_dispatch_ptr 0
		.amdhsa_user_sgpr_queue_ptr 0
		.amdhsa_user_sgpr_kernarg_segment_ptr 1
		.amdhsa_user_sgpr_dispatch_id 0
		.amdhsa_user_sgpr_kernarg_preload_length 0
		.amdhsa_user_sgpr_kernarg_preload_offset 0
		.amdhsa_user_sgpr_private_segment_size 0
		.amdhsa_uses_dynamic_stack 0
		.amdhsa_enable_private_segment 0
		.amdhsa_system_sgpr_workgroup_id_x 1
		.amdhsa_system_sgpr_workgroup_id_y 0
		.amdhsa_system_sgpr_workgroup_id_z 0
		.amdhsa_system_sgpr_workgroup_info 0
		.amdhsa_system_vgpr_workitem_id 0
		.amdhsa_next_free_vgpr 66
		.amdhsa_next_free_sgpr 74
		.amdhsa_accum_offset 68
		.amdhsa_reserve_vcc 1
		.amdhsa_float_round_mode_32 0
		.amdhsa_float_round_mode_16_64 0
		.amdhsa_float_denorm_mode_32 3
		.amdhsa_float_denorm_mode_16_64 3
		.amdhsa_dx10_clamp 1
		.amdhsa_ieee_mode 1
		.amdhsa_fp16_overflow 0
		.amdhsa_tg_split 0
		.amdhsa_exception_fp_ieee_invalid_op 0
		.amdhsa_exception_fp_denorm_src 0
		.amdhsa_exception_fp_ieee_div_zero 0
		.amdhsa_exception_fp_ieee_overflow 0
		.amdhsa_exception_fp_ieee_underflow 0
		.amdhsa_exception_fp_ieee_inexact 0
		.amdhsa_exception_int_div_zero 0
	.end_amdhsa_kernel
	.section	.text._ZN2at6native12_GLOBAL__N_125multi_tensor_apply_kernelINS1_18TensorListMetadataILi2EEENS1_21BinaryOpScalarFunctorIfLi2ELi1ELi1EEEJNS1_21reverse_power_functorIfEEfEEEvT_T0_DpT1_,"axG",@progbits,_ZN2at6native12_GLOBAL__N_125multi_tensor_apply_kernelINS1_18TensorListMetadataILi2EEENS1_21BinaryOpScalarFunctorIfLi2ELi1ELi1EEEJNS1_21reverse_power_functorIfEEfEEEvT_T0_DpT1_,comdat
.Lfunc_end78:
	.size	_ZN2at6native12_GLOBAL__N_125multi_tensor_apply_kernelINS1_18TensorListMetadataILi2EEENS1_21BinaryOpScalarFunctorIfLi2ELi1ELi1EEEJNS1_21reverse_power_functorIfEEfEEEvT_T0_DpT1_, .Lfunc_end78-_ZN2at6native12_GLOBAL__N_125multi_tensor_apply_kernelINS1_18TensorListMetadataILi2EEENS1_21BinaryOpScalarFunctorIfLi2ELi1ELi1EEEJNS1_21reverse_power_functorIfEEfEEEvT_T0_DpT1_
                                        ; -- End function
	.set _ZN2at6native12_GLOBAL__N_125multi_tensor_apply_kernelINS1_18TensorListMetadataILi2EEENS1_21BinaryOpScalarFunctorIfLi2ELi1ELi1EEEJNS1_21reverse_power_functorIfEEfEEEvT_T0_DpT1_.num_vgpr, 66
	.set _ZN2at6native12_GLOBAL__N_125multi_tensor_apply_kernelINS1_18TensorListMetadataILi2EEENS1_21BinaryOpScalarFunctorIfLi2ELi1ELi1EEEJNS1_21reverse_power_functorIfEEfEEEvT_T0_DpT1_.num_agpr, 0
	.set _ZN2at6native12_GLOBAL__N_125multi_tensor_apply_kernelINS1_18TensorListMetadataILi2EEENS1_21BinaryOpScalarFunctorIfLi2ELi1ELi1EEEJNS1_21reverse_power_functorIfEEfEEEvT_T0_DpT1_.numbered_sgpr, 74
	.set _ZN2at6native12_GLOBAL__N_125multi_tensor_apply_kernelINS1_18TensorListMetadataILi2EEENS1_21BinaryOpScalarFunctorIfLi2ELi1ELi1EEEJNS1_21reverse_power_functorIfEEfEEEvT_T0_DpT1_.num_named_barrier, 0
	.set _ZN2at6native12_GLOBAL__N_125multi_tensor_apply_kernelINS1_18TensorListMetadataILi2EEENS1_21BinaryOpScalarFunctorIfLi2ELi1ELi1EEEJNS1_21reverse_power_functorIfEEfEEEvT_T0_DpT1_.private_seg_size, 0
	.set _ZN2at6native12_GLOBAL__N_125multi_tensor_apply_kernelINS1_18TensorListMetadataILi2EEENS1_21BinaryOpScalarFunctorIfLi2ELi1ELi1EEEJNS1_21reverse_power_functorIfEEfEEEvT_T0_DpT1_.uses_vcc, 1
	.set _ZN2at6native12_GLOBAL__N_125multi_tensor_apply_kernelINS1_18TensorListMetadataILi2EEENS1_21BinaryOpScalarFunctorIfLi2ELi1ELi1EEEJNS1_21reverse_power_functorIfEEfEEEvT_T0_DpT1_.uses_flat_scratch, 0
	.set _ZN2at6native12_GLOBAL__N_125multi_tensor_apply_kernelINS1_18TensorListMetadataILi2EEENS1_21BinaryOpScalarFunctorIfLi2ELi1ELi1EEEJNS1_21reverse_power_functorIfEEfEEEvT_T0_DpT1_.has_dyn_sized_stack, 0
	.set _ZN2at6native12_GLOBAL__N_125multi_tensor_apply_kernelINS1_18TensorListMetadataILi2EEENS1_21BinaryOpScalarFunctorIfLi2ELi1ELi1EEEJNS1_21reverse_power_functorIfEEfEEEvT_T0_DpT1_.has_recursion, 0
	.set _ZN2at6native12_GLOBAL__N_125multi_tensor_apply_kernelINS1_18TensorListMetadataILi2EEENS1_21BinaryOpScalarFunctorIfLi2ELi1ELi1EEEJNS1_21reverse_power_functorIfEEfEEEvT_T0_DpT1_.has_indirect_call, 0
	.section	.AMDGPU.csdata,"",@progbits
; Kernel info:
; codeLenInByte = 9672
; TotalNumSgprs: 80
; NumVgprs: 66
; NumAgprs: 0
; TotalNumVgprs: 66
; ScratchSize: 0
; MemoryBound: 0
; FloatMode: 240
; IeeeMode: 1
; LDSByteSize: 0 bytes/workgroup (compile time only)
; SGPRBlocks: 9
; VGPRBlocks: 8
; NumSGPRsForWavesPerEU: 80
; NumVGPRsForWavesPerEU: 66
; AccumOffset: 68
; Occupancy: 7
; WaveLimiterHint : 0
; COMPUTE_PGM_RSRC2:SCRATCH_EN: 0
; COMPUTE_PGM_RSRC2:USER_SGPR: 2
; COMPUTE_PGM_RSRC2:TRAP_HANDLER: 0
; COMPUTE_PGM_RSRC2:TGID_X_EN: 1
; COMPUTE_PGM_RSRC2:TGID_Y_EN: 0
; COMPUTE_PGM_RSRC2:TGID_Z_EN: 0
; COMPUTE_PGM_RSRC2:TIDIG_COMP_CNT: 0
; COMPUTE_PGM_RSRC3_GFX90A:ACCUM_OFFSET: 16
; COMPUTE_PGM_RSRC3_GFX90A:TG_SPLIT: 0
	.section	.text._ZN2at6native12_GLOBAL__N_125multi_tensor_apply_kernelINS1_18TensorListMetadataILi2EEENS1_21BinaryOpScalarFunctorIN3c107complexIdEELi2ELi1ELi1EEEJNS1_21reverse_power_functorIS8_EES8_EEEvT_T0_DpT1_,"axG",@progbits,_ZN2at6native12_GLOBAL__N_125multi_tensor_apply_kernelINS1_18TensorListMetadataILi2EEENS1_21BinaryOpScalarFunctorIN3c107complexIdEELi2ELi1ELi1EEEJNS1_21reverse_power_functorIS8_EES8_EEEvT_T0_DpT1_,comdat
	.globl	_ZN2at6native12_GLOBAL__N_125multi_tensor_apply_kernelINS1_18TensorListMetadataILi2EEENS1_21BinaryOpScalarFunctorIN3c107complexIdEELi2ELi1ELi1EEEJNS1_21reverse_power_functorIS8_EES8_EEEvT_T0_DpT1_ ; -- Begin function _ZN2at6native12_GLOBAL__N_125multi_tensor_apply_kernelINS1_18TensorListMetadataILi2EEENS1_21BinaryOpScalarFunctorIN3c107complexIdEELi2ELi1ELi1EEEJNS1_21reverse_power_functorIS8_EES8_EEEvT_T0_DpT1_
	.p2align	8
	.type	_ZN2at6native12_GLOBAL__N_125multi_tensor_apply_kernelINS1_18TensorListMetadataILi2EEENS1_21BinaryOpScalarFunctorIN3c107complexIdEELi2ELi1ELi1EEEJNS1_21reverse_power_functorIS8_EES8_EEEvT_T0_DpT1_,@function
_ZN2at6native12_GLOBAL__N_125multi_tensor_apply_kernelINS1_18TensorListMetadataILi2EEENS1_21BinaryOpScalarFunctorIN3c107complexIdEELi2ELi1ELi1EEEJNS1_21reverse_power_functorIS8_EES8_EEEvT_T0_DpT1_: ; @_ZN2at6native12_GLOBAL__N_125multi_tensor_apply_kernelINS1_18TensorListMetadataILi2EEENS1_21BinaryOpScalarFunctorIN3c107complexIdEELi2ELi1ELi1EEEJNS1_21reverse_power_functorIS8_EES8_EEEvT_T0_DpT1_
; %bb.0:
	v_mov_b32_e32 v48, v0
	v_mov_b32_e32 v0, s2
	global_load_ubyte v0, v0, s[0:1] offset:1536
	s_mov_b64 s[34:35], s[0:1]
	s_add_u32 s0, s34, s2
	s_mul_hi_u32 s3, s2, 3
	s_mul_i32 s2, s2, 3
	s_addc_u32 s4, s35, 0
	s_add_u32 s2, s0, s2
	s_addc_u32 s3, s4, s3
	s_load_dwordx4 s[48:51], s[34:35], 0xc50
	s_load_dword s4, s[2:3], 0x740
	s_mov_b32 s1, 0
	s_mov_b32 s3, s1
	;; [unrolled: 1-line block ×3, first 2 shown]
	s_waitcnt lgkmcnt(0)
	s_ashr_i32 s5, s4, 31
	s_lshl_b64 s[12:13], s[4:5], 20
	s_waitcnt vmcnt(0)
	v_readfirstlane_b32 s0, v0
	s_lshl_b32 s0, s0, 3
	s_load_dwordx2 s[6:7], s[34:35], s0 offset:0x0
	s_load_dwordx2 s[8:9], s[34:35], s0 offset:0x400
	;; [unrolled: 1-line block ×3, first 2 shown]
	s_waitcnt lgkmcnt(0)
	s_add_u32 s46, s6, s12
	s_addc_u32 s47, s7, s13
	s_and_b32 s0, s46, 63
	s_add_u32 s52, s10, s12
	s_addc_u32 s53, s11, s13
	s_and_b32 s2, s52, 63
	s_lshl_b64 s[4:5], s[4:5], 16
	s_sub_u32 s54, s8, s4
	s_subb_u32 s55, s9, s5
	s_and_b32 s4, s8, 3
	s_mov_b32 s5, s1
	s_or_b64 s[2:3], s[2:3], s[4:5]
	s_or_b64 s[0:1], s[2:3], s[0:1]
	s_cmp_eq_u64 s[0:1], 0
	s_mov_b64 s[0:1], -1
	s_cbranch_scc1 .LBB79_21
; %bb.1:
	v_cmp_lt_i64_e64 s[0:1], s[54:55], 1
	s_and_b64 vcc, exec, s[0:1]
	s_cbranch_vccnz .LBB79_20
; %bb.2:
	s_load_dword s2, s[34:35], 0xc6c
	v_mov_b64_e32 v[0:1], 0x10000
	v_cmp_lt_i64_e32 vcc, s[54:55], v[0:1]
	s_and_b64 s[0:1], vcc, exec
	s_cselect_b32 s59, s55, 0
	s_cselect_b32 s58, s54, 0x10000
	s_waitcnt lgkmcnt(0)
	s_and_b32 s56, s2, 0xffff
	v_cmp_lt_u64_e32 vcc, s[54:55], v[0:1]
	s_mov_b32 s57, 0
	s_and_b64 s[0:1], vcc, exec
	v_mov_b32_e32 v49, 0
	s_cselect_b32 s61, s55, 0
	s_cselect_b32 s60, s54, 0x10000
	s_lshl_b32 s62, s56, 1
	s_mov_b32 s63, s57
	s_mul_i32 s64, s56, 3
	s_mov_b32 s65, s57
	s_lshl_b32 s33, s56, 2
	s_mov_b64 s[66:67], 0
	s_branch .LBB79_4
.LBB79_3:                               ;   in Loop: Header=BB79_4 Depth=1
	s_or_b64 exec, exec, s[38:39]
	s_add_u32 s66, s66, s33
	s_addc_u32 s67, s67, 0
	v_mov_b64_e32 v[0:1], s[58:59]
	v_cmp_lt_i64_e32 vcc, s[66:67], v[0:1]
	s_cbranch_vccz .LBB79_20
.LBB79_4:                               ; =>This Inner Loop Header: Depth=1
	v_lshl_add_u64 v[56:57], s[66:67], 0, v[48:49]
	v_cmp_gt_u64_e32 vcc, s[60:61], v[56:57]
	s_waitcnt vmcnt(0)
	v_mov_b64_e32 v[42:43], 0
	v_mov_b64_e32 v[6:7], 0
	;; [unrolled: 1-line block ×3, first 2 shown]
	s_and_saveexec_b64 s[0:1], vcc
	s_cbranch_execz .LBB79_6
; %bb.5:                                ;   in Loop: Header=BB79_4 Depth=1
	v_lshl_add_u64 v[0:1], v[56:57], 4, s[46:47]
	global_load_dwordx4 v[4:7], v[0:1], off
.LBB79_6:                               ;   in Loop: Header=BB79_4 Depth=1
	s_or_b64 exec, exec, s[0:1]
	v_lshl_add_u64 v[54:55], v[56:57], 0, s[56:57]
	v_cmp_gt_u64_e64 s[44:45], s[60:61], v[54:55]
	v_mov_b64_e32 v[40:41], 0
	s_and_saveexec_b64 s[0:1], s[44:45]
	s_cbranch_execz .LBB79_8
; %bb.7:                                ;   in Loop: Header=BB79_4 Depth=1
	v_lshl_add_u64 v[0:1], v[54:55], 4, s[46:47]
	global_load_dwordx4 v[40:43], v[0:1], off
.LBB79_8:                               ;   in Loop: Header=BB79_4 Depth=1
	s_or_b64 exec, exec, s[0:1]
	v_lshl_add_u64 v[52:53], v[56:57], 0, s[62:63]
	v_cmp_gt_u64_e64 s[38:39], s[60:61], v[52:53]
	v_mov_b64_e32 v[38:39], 0
	v_mov_b64_e32 v[46:47], 0
	;; [unrolled: 1-line block ×3, first 2 shown]
	s_and_saveexec_b64 s[0:1], s[38:39]
	s_cbranch_execz .LBB79_10
; %bb.9:                                ;   in Loop: Header=BB79_4 Depth=1
	v_lshl_add_u64 v[0:1], v[52:53], 4, s[46:47]
	global_load_dwordx4 v[44:47], v[0:1], off
.LBB79_10:                              ;   in Loop: Header=BB79_4 Depth=1
	s_or_b64 exec, exec, s[0:1]
	v_lshl_add_u64 v[50:51], v[56:57], 0, s[64:65]
	v_cmp_gt_u64_e64 s[36:37], s[60:61], v[50:51]
	v_mov_b64_e32 v[36:37], 0
	s_and_saveexec_b64 s[0:1], s[36:37]
	s_cbranch_execnz .LBB79_15
; %bb.11:                               ;   in Loop: Header=BB79_4 Depth=1
	s_or_b64 exec, exec, s[0:1]
	s_and_saveexec_b64 s[68:69], vcc
	s_cbranch_execnz .LBB79_16
.LBB79_12:                              ;   in Loop: Header=BB79_4 Depth=1
	s_or_b64 exec, exec, s[68:69]
	s_and_saveexec_b64 s[68:69], s[44:45]
	s_cbranch_execnz .LBB79_17
.LBB79_13:                              ;   in Loop: Header=BB79_4 Depth=1
	s_or_b64 exec, exec, s[68:69]
	s_and_saveexec_b64 s[44:45], s[38:39]
	s_cbranch_execnz .LBB79_18
.LBB79_14:                              ;   in Loop: Header=BB79_4 Depth=1
	s_or_b64 exec, exec, s[44:45]
	s_and_saveexec_b64 s[38:39], s[36:37]
	s_cbranch_execz .LBB79_3
	s_branch .LBB79_19
.LBB79_15:                              ;   in Loop: Header=BB79_4 Depth=1
	v_lshl_add_u64 v[0:1], v[50:51], 4, s[46:47]
	global_load_dwordx4 v[36:39], v[0:1], off
	s_or_b64 exec, exec, s[0:1]
	s_and_saveexec_b64 s[68:69], vcc
	s_cbranch_execz .LBB79_12
.LBB79_16:                              ;   in Loop: Header=BB79_4 Depth=1
	s_getpc_b64 s[0:1]
	s_add_u32 s0, s0, _ZN2at6native12_GLOBAL__N_14pow_IdEEN3c107complexIT_EES6_S6_@rel32@lo+4
	s_addc_u32 s1, s1, _ZN2at6native12_GLOBAL__N_14pow_IdEEN3c107complexIT_EES6_S6_@rel32@hi+12
	v_mov_b32_e32 v0, s48
	v_mov_b32_e32 v1, s49
	;; [unrolled: 1-line block ×4, first 2 shown]
	s_swappc_b64 s[30:31], s[0:1]
	v_lshl_add_u64 v[4:5], v[56:57], 4, s[52:53]
	global_store_dwordx4 v[4:5], v[0:3], off
	s_or_b64 exec, exec, s[68:69]
	s_and_saveexec_b64 s[68:69], s[44:45]
	s_cbranch_execz .LBB79_13
.LBB79_17:                              ;   in Loop: Header=BB79_4 Depth=1
	s_getpc_b64 s[0:1]
	s_add_u32 s0, s0, _ZN2at6native12_GLOBAL__N_14pow_IdEEN3c107complexIT_EES6_S6_@rel32@lo+4
	s_addc_u32 s1, s1, _ZN2at6native12_GLOBAL__N_14pow_IdEEN3c107complexIT_EES6_S6_@rel32@hi+12
	v_mov_b32_e32 v0, s48
	v_mov_b32_e32 v1, s49
	;; [unrolled: 1-line block ×4, first 2 shown]
	s_waitcnt vmcnt(0)
	v_mov_b32_e32 v4, v40
	v_mov_b32_e32 v5, v41
	v_mov_b32_e32 v6, v42
	v_mov_b32_e32 v7, v43
	s_swappc_b64 s[30:31], s[0:1]
	v_lshl_add_u64 v[4:5], v[54:55], 4, s[52:53]
	global_store_dwordx4 v[4:5], v[0:3], off
	s_or_b64 exec, exec, s[68:69]
	s_and_saveexec_b64 s[44:45], s[38:39]
	s_cbranch_execz .LBB79_14
.LBB79_18:                              ;   in Loop: Header=BB79_4 Depth=1
	s_getpc_b64 s[0:1]
	s_add_u32 s0, s0, _ZN2at6native12_GLOBAL__N_14pow_IdEEN3c107complexIT_EES6_S6_@rel32@lo+4
	s_addc_u32 s1, s1, _ZN2at6native12_GLOBAL__N_14pow_IdEEN3c107complexIT_EES6_S6_@rel32@hi+12
	v_mov_b32_e32 v0, s48
	v_mov_b32_e32 v1, s49
	;; [unrolled: 1-line block ×4, first 2 shown]
	s_waitcnt vmcnt(0)
	v_mov_b32_e32 v4, v44
	v_mov_b32_e32 v5, v45
	;; [unrolled: 1-line block ×4, first 2 shown]
	s_swappc_b64 s[30:31], s[0:1]
	v_lshl_add_u64 v[4:5], v[52:53], 4, s[52:53]
	global_store_dwordx4 v[4:5], v[0:3], off
	s_or_b64 exec, exec, s[44:45]
	s_and_saveexec_b64 s[38:39], s[36:37]
	s_cbranch_execz .LBB79_3
.LBB79_19:                              ;   in Loop: Header=BB79_4 Depth=1
	s_getpc_b64 s[0:1]
	s_add_u32 s0, s0, _ZN2at6native12_GLOBAL__N_14pow_IdEEN3c107complexIT_EES6_S6_@rel32@lo+4
	s_addc_u32 s1, s1, _ZN2at6native12_GLOBAL__N_14pow_IdEEN3c107complexIT_EES6_S6_@rel32@hi+12
	v_mov_b32_e32 v0, s48
	v_mov_b32_e32 v1, s49
	;; [unrolled: 1-line block ×4, first 2 shown]
	s_waitcnt vmcnt(0)
	v_mov_b32_e32 v4, v36
	v_mov_b32_e32 v5, v37
	;; [unrolled: 1-line block ×4, first 2 shown]
	s_swappc_b64 s[30:31], s[0:1]
	v_lshl_add_u64 v[4:5], v[50:51], 4, s[52:53]
	global_store_dwordx4 v[4:5], v[0:3], off
	s_branch .LBB79_3
.LBB79_20:
	s_mov_b64 s[0:1], 0
.LBB79_21:
	s_andn2_b64 vcc, exec, s[0:1]
	s_cbranch_vccnz .LBB79_25
; %bb.22:
	v_mov_b64_e32 v[0:1], 0x10000
	v_cmp_lt_i64_e32 vcc, s[54:55], v[0:1]
	s_and_b64 s[0:1], vcc, exec
	v_mov_b32_e32 v55, 0
	s_cselect_b32 s39, s55, 0
	s_cselect_b32 s38, s54, 0x10000
	v_lshlrev_b32_e32 v54, 2, v48
	s_mov_b32 s37, 0
	v_cmp_gt_i64_e32 vcc, s[38:39], v[54:55]
	s_and_saveexec_b64 s[0:1], vcc
	s_cbranch_execz .LBB79_25
; %bb.23:
	s_load_dword s0, s[34:35], 0xc6c
	v_mov_b32_e32 v49, v55
	v_lshlrev_b32_e32 v54, 6, v48
	s_mov_b64 s[34:35], 0
	s_waitcnt lgkmcnt(0)
	s_and_b32 s36, s0, 0xffff
	s_lshl_b32 s33, s36, 6
.LBB79_24:                              ; =>This Inner Loop Header: Depth=1
	v_lshl_add_u64 v[0:1], s[46:47], 0, v[54:55]
	global_load_dwordx4 v[4:7], v[0:1], off
	global_load_dwordx4 v[36:39], v[0:1], off offset:16
	global_load_dwordx4 v[40:43], v[0:1], off offset:48
	;; [unrolled: 1-line block ×3, first 2 shown]
	s_getpc_b64 s[44:45]
	s_add_u32 s44, s44, _ZN2at6native12_GLOBAL__N_14pow_IdEEN3c107complexIT_EES6_S6_@rel32@lo+4
	s_addc_u32 s45, s45, _ZN2at6native12_GLOBAL__N_14pow_IdEEN3c107complexIT_EES6_S6_@rel32@hi+12
	v_mov_b32_e32 v0, s48
	v_mov_b32_e32 v1, s49
	v_mov_b32_e32 v2, s50
	v_mov_b32_e32 v3, s51
	s_swappc_b64 s[30:31], s[44:45]
	v_mov_b32_e32 v50, v0
	v_mov_b32_e32 v51, v1
	v_mov_b32_e32 v52, v2
	v_mov_b32_e32 v53, v3
	v_mov_b32_e32 v0, s48
	v_mov_b32_e32 v1, s49
	v_mov_b32_e32 v2, s50
	v_mov_b32_e32 v3, s51
	v_mov_b32_e32 v4, v36
	v_mov_b32_e32 v5, v37
	v_mov_b32_e32 v6, v38
	v_mov_b32_e32 v7, v39
	s_swappc_b64 s[30:31], s[44:45]
	v_mov_b32_e32 v36, v0
	v_mov_b32_e32 v37, v1
	v_mov_b32_e32 v38, v2
	v_mov_b32_e32 v39, v3
	v_mov_b32_e32 v0, s48
	v_mov_b32_e32 v1, s49
	v_mov_b32_e32 v2, s50
	v_mov_b32_e32 v3, s51
	;; [unrolled: 13-line block ×3, first 2 shown]
	v_mov_b32_e32 v4, v40
	v_mov_b32_e32 v5, v41
	;; [unrolled: 1-line block ×4, first 2 shown]
	s_swappc_b64 s[30:31], s[44:45]
	v_lshl_add_u64 v[4:5], s[52:53], 0, v[54:55]
	s_add_u32 s52, s52, s33
	v_lshl_add_u64 v[48:49], v[48:49], 0, s[36:37]
	s_addc_u32 s53, s53, 0
	v_lshlrev_b64 v[6:7], 2, v[48:49]
	s_add_u32 s46, s46, s33
	v_cmp_le_i64_e32 vcc, s[38:39], v[6:7]
	s_addc_u32 s47, s47, 0
	s_or_b64 s[34:35], vcc, s[34:35]
	global_store_dwordx4 v[4:5], v[50:53], off
	global_store_dwordx4 v[4:5], v[36:39], off offset:16
	global_store_dwordx4 v[4:5], v[44:47], off offset:32
	;; [unrolled: 1-line block ×3, first 2 shown]
	s_andn2_b64 exec, exec, s[34:35]
	s_cbranch_execnz .LBB79_24
.LBB79_25:
	s_endpgm
	.section	.rodata,"a",@progbits
	.p2align	6, 0x0
	.amdhsa_kernel _ZN2at6native12_GLOBAL__N_125multi_tensor_apply_kernelINS1_18TensorListMetadataILi2EEENS1_21BinaryOpScalarFunctorIN3c107complexIdEELi2ELi1ELi1EEEJNS1_21reverse_power_functorIS8_EES8_EEEvT_T0_DpT1_
		.amdhsa_group_segment_fixed_size 0
		.amdhsa_private_segment_fixed_size 0
		.amdhsa_kernarg_size 3424
		.amdhsa_user_sgpr_count 2
		.amdhsa_user_sgpr_dispatch_ptr 0
		.amdhsa_user_sgpr_queue_ptr 0
		.amdhsa_user_sgpr_kernarg_segment_ptr 1
		.amdhsa_user_sgpr_dispatch_id 0
		.amdhsa_user_sgpr_kernarg_preload_length 0
		.amdhsa_user_sgpr_kernarg_preload_offset 0
		.amdhsa_user_sgpr_private_segment_size 0
		.amdhsa_uses_dynamic_stack 0
		.amdhsa_enable_private_segment 0
		.amdhsa_system_sgpr_workgroup_id_x 1
		.amdhsa_system_sgpr_workgroup_id_y 0
		.amdhsa_system_sgpr_workgroup_id_z 0
		.amdhsa_system_sgpr_workgroup_info 0
		.amdhsa_system_vgpr_workitem_id 0
		.amdhsa_next_free_vgpr 58
		.amdhsa_next_free_sgpr 70
		.amdhsa_accum_offset 60
		.amdhsa_reserve_vcc 1
		.amdhsa_float_round_mode_32 0
		.amdhsa_float_round_mode_16_64 0
		.amdhsa_float_denorm_mode_32 3
		.amdhsa_float_denorm_mode_16_64 3
		.amdhsa_dx10_clamp 1
		.amdhsa_ieee_mode 1
		.amdhsa_fp16_overflow 0
		.amdhsa_tg_split 0
		.amdhsa_exception_fp_ieee_invalid_op 0
		.amdhsa_exception_fp_denorm_src 0
		.amdhsa_exception_fp_ieee_div_zero 0
		.amdhsa_exception_fp_ieee_overflow 0
		.amdhsa_exception_fp_ieee_underflow 0
		.amdhsa_exception_fp_ieee_inexact 0
		.amdhsa_exception_int_div_zero 0
	.end_amdhsa_kernel
	.section	.text._ZN2at6native12_GLOBAL__N_125multi_tensor_apply_kernelINS1_18TensorListMetadataILi2EEENS1_21BinaryOpScalarFunctorIN3c107complexIdEELi2ELi1ELi1EEEJNS1_21reverse_power_functorIS8_EES8_EEEvT_T0_DpT1_,"axG",@progbits,_ZN2at6native12_GLOBAL__N_125multi_tensor_apply_kernelINS1_18TensorListMetadataILi2EEENS1_21BinaryOpScalarFunctorIN3c107complexIdEELi2ELi1ELi1EEEJNS1_21reverse_power_functorIS8_EES8_EEEvT_T0_DpT1_,comdat
.Lfunc_end79:
	.size	_ZN2at6native12_GLOBAL__N_125multi_tensor_apply_kernelINS1_18TensorListMetadataILi2EEENS1_21BinaryOpScalarFunctorIN3c107complexIdEELi2ELi1ELi1EEEJNS1_21reverse_power_functorIS8_EES8_EEEvT_T0_DpT1_, .Lfunc_end79-_ZN2at6native12_GLOBAL__N_125multi_tensor_apply_kernelINS1_18TensorListMetadataILi2EEENS1_21BinaryOpScalarFunctorIN3c107complexIdEELi2ELi1ELi1EEEJNS1_21reverse_power_functorIS8_EES8_EEEvT_T0_DpT1_
                                        ; -- End function
	.set _ZN2at6native12_GLOBAL__N_125multi_tensor_apply_kernelINS1_18TensorListMetadataILi2EEENS1_21BinaryOpScalarFunctorIN3c107complexIdEELi2ELi1ELi1EEEJNS1_21reverse_power_functorIS8_EES8_EEEvT_T0_DpT1_.num_vgpr, max(58, .L_ZN2at6native12_GLOBAL__N_14pow_IdEEN3c107complexIT_EES6_S6_.num_vgpr)
	.set _ZN2at6native12_GLOBAL__N_125multi_tensor_apply_kernelINS1_18TensorListMetadataILi2EEENS1_21BinaryOpScalarFunctorIN3c107complexIdEELi2ELi1ELi1EEEJNS1_21reverse_power_functorIS8_EES8_EEEvT_T0_DpT1_.num_agpr, max(0, .L_ZN2at6native12_GLOBAL__N_14pow_IdEEN3c107complexIT_EES6_S6_.num_agpr)
	.set _ZN2at6native12_GLOBAL__N_125multi_tensor_apply_kernelINS1_18TensorListMetadataILi2EEENS1_21BinaryOpScalarFunctorIN3c107complexIdEELi2ELi1ELi1EEEJNS1_21reverse_power_functorIS8_EES8_EEEvT_T0_DpT1_.numbered_sgpr, max(70, .L_ZN2at6native12_GLOBAL__N_14pow_IdEEN3c107complexIT_EES6_S6_.numbered_sgpr)
	.set _ZN2at6native12_GLOBAL__N_125multi_tensor_apply_kernelINS1_18TensorListMetadataILi2EEENS1_21BinaryOpScalarFunctorIN3c107complexIdEELi2ELi1ELi1EEEJNS1_21reverse_power_functorIS8_EES8_EEEvT_T0_DpT1_.num_named_barrier, max(0, .L_ZN2at6native12_GLOBAL__N_14pow_IdEEN3c107complexIT_EES6_S6_.num_named_barrier)
	.set _ZN2at6native12_GLOBAL__N_125multi_tensor_apply_kernelINS1_18TensorListMetadataILi2EEENS1_21BinaryOpScalarFunctorIN3c107complexIdEELi2ELi1ELi1EEEJNS1_21reverse_power_functorIS8_EES8_EEEvT_T0_DpT1_.private_seg_size, 0+max(.L_ZN2at6native12_GLOBAL__N_14pow_IdEEN3c107complexIT_EES6_S6_.private_seg_size)
	.set _ZN2at6native12_GLOBAL__N_125multi_tensor_apply_kernelINS1_18TensorListMetadataILi2EEENS1_21BinaryOpScalarFunctorIN3c107complexIdEELi2ELi1ELi1EEEJNS1_21reverse_power_functorIS8_EES8_EEEvT_T0_DpT1_.uses_vcc, or(1, .L_ZN2at6native12_GLOBAL__N_14pow_IdEEN3c107complexIT_EES6_S6_.uses_vcc)
	.set _ZN2at6native12_GLOBAL__N_125multi_tensor_apply_kernelINS1_18TensorListMetadataILi2EEENS1_21BinaryOpScalarFunctorIN3c107complexIdEELi2ELi1ELi1EEEJNS1_21reverse_power_functorIS8_EES8_EEEvT_T0_DpT1_.uses_flat_scratch, or(0, .L_ZN2at6native12_GLOBAL__N_14pow_IdEEN3c107complexIT_EES6_S6_.uses_flat_scratch)
	.set _ZN2at6native12_GLOBAL__N_125multi_tensor_apply_kernelINS1_18TensorListMetadataILi2EEENS1_21BinaryOpScalarFunctorIN3c107complexIdEELi2ELi1ELi1EEEJNS1_21reverse_power_functorIS8_EES8_EEEvT_T0_DpT1_.has_dyn_sized_stack, or(0, .L_ZN2at6native12_GLOBAL__N_14pow_IdEEN3c107complexIT_EES6_S6_.has_dyn_sized_stack)
	.set _ZN2at6native12_GLOBAL__N_125multi_tensor_apply_kernelINS1_18TensorListMetadataILi2EEENS1_21BinaryOpScalarFunctorIN3c107complexIdEELi2ELi1ELi1EEEJNS1_21reverse_power_functorIS8_EES8_EEEvT_T0_DpT1_.has_recursion, or(0, .L_ZN2at6native12_GLOBAL__N_14pow_IdEEN3c107complexIT_EES6_S6_.has_recursion)
	.set _ZN2at6native12_GLOBAL__N_125multi_tensor_apply_kernelINS1_18TensorListMetadataILi2EEENS1_21BinaryOpScalarFunctorIN3c107complexIdEELi2ELi1ELi1EEEJNS1_21reverse_power_functorIS8_EES8_EEEvT_T0_DpT1_.has_indirect_call, or(0, .L_ZN2at6native12_GLOBAL__N_14pow_IdEEN3c107complexIT_EES6_S6_.has_indirect_call)
	.section	.AMDGPU.csdata,"",@progbits
; Kernel info:
; codeLenInByte = 1352
; TotalNumSgprs: 76
; NumVgprs: 58
; NumAgprs: 0
; TotalNumVgprs: 58
; ScratchSize: 0
; MemoryBound: 1
; FloatMode: 240
; IeeeMode: 1
; LDSByteSize: 0 bytes/workgroup (compile time only)
; SGPRBlocks: 9
; VGPRBlocks: 7
; NumSGPRsForWavesPerEU: 76
; NumVGPRsForWavesPerEU: 58
; AccumOffset: 60
; Occupancy: 8
; WaveLimiterHint : 0
; COMPUTE_PGM_RSRC2:SCRATCH_EN: 0
; COMPUTE_PGM_RSRC2:USER_SGPR: 2
; COMPUTE_PGM_RSRC2:TRAP_HANDLER: 0
; COMPUTE_PGM_RSRC2:TGID_X_EN: 1
; COMPUTE_PGM_RSRC2:TGID_Y_EN: 0
; COMPUTE_PGM_RSRC2:TGID_Z_EN: 0
; COMPUTE_PGM_RSRC2:TIDIG_COMP_CNT: 0
; COMPUTE_PGM_RSRC3_GFX90A:ACCUM_OFFSET: 14
; COMPUTE_PGM_RSRC3_GFX90A:TG_SPLIT: 0
	.section	.text._ZN2at6native12_GLOBAL__N_125multi_tensor_apply_kernelINS1_18TensorListMetadataILi2EEENS1_21BinaryOpScalarFunctorIN3c107complexIfEELi2ELi1ELi1EEEJNS1_21reverse_power_functorIS8_EES8_EEEvT_T0_DpT1_,"axG",@progbits,_ZN2at6native12_GLOBAL__N_125multi_tensor_apply_kernelINS1_18TensorListMetadataILi2EEENS1_21BinaryOpScalarFunctorIN3c107complexIfEELi2ELi1ELi1EEEJNS1_21reverse_power_functorIS8_EES8_EEEvT_T0_DpT1_,comdat
	.globl	_ZN2at6native12_GLOBAL__N_125multi_tensor_apply_kernelINS1_18TensorListMetadataILi2EEENS1_21BinaryOpScalarFunctorIN3c107complexIfEELi2ELi1ELi1EEEJNS1_21reverse_power_functorIS8_EES8_EEEvT_T0_DpT1_ ; -- Begin function _ZN2at6native12_GLOBAL__N_125multi_tensor_apply_kernelINS1_18TensorListMetadataILi2EEENS1_21BinaryOpScalarFunctorIN3c107complexIfEELi2ELi1ELi1EEEJNS1_21reverse_power_functorIS8_EES8_EEEvT_T0_DpT1_
	.p2align	8
	.type	_ZN2at6native12_GLOBAL__N_125multi_tensor_apply_kernelINS1_18TensorListMetadataILi2EEENS1_21BinaryOpScalarFunctorIN3c107complexIfEELi2ELi1ELi1EEEJNS1_21reverse_power_functorIS8_EES8_EEEvT_T0_DpT1_,@function
_ZN2at6native12_GLOBAL__N_125multi_tensor_apply_kernelINS1_18TensorListMetadataILi2EEENS1_21BinaryOpScalarFunctorIN3c107complexIfEELi2ELi1ELi1EEEJNS1_21reverse_power_functorIS8_EES8_EEEvT_T0_DpT1_: ; @_ZN2at6native12_GLOBAL__N_125multi_tensor_apply_kernelINS1_18TensorListMetadataILi2EEENS1_21BinaryOpScalarFunctorIN3c107complexIfEELi2ELi1ELi1EEEJNS1_21reverse_power_functorIS8_EES8_EEEvT_T0_DpT1_
; %bb.0:
	v_mov_b32_e32 v22, v0
	v_mov_b32_e32 v0, s2
	global_load_ubyte v0, v0, s[0:1] offset:1536
	s_mov_b64 s[22:23], s[0:1]
	s_add_u32 s0, s22, s2
	s_mul_hi_u32 s1, s2, 3
	s_mul_i32 s2, s2, 3
	s_addc_u32 s3, s23, 0
	s_add_u32 s0, s0, s2
	s_addc_u32 s1, s3, s1
	s_load_dword s0, s[0:1], 0x740
	s_mov_b32 s3, 0
	s_mov_b32 s5, s3
	;; [unrolled: 1-line block ×3, first 2 shown]
	s_waitcnt lgkmcnt(0)
	s_ashr_i32 s1, s0, 31
	s_lshl_b64 s[12:13], s[0:1], 19
	s_waitcnt vmcnt(0)
	v_readfirstlane_b32 s2, v0
	s_lshl_b32 s2, s2, 3
	s_load_dwordx2 s[6:7], s[22:23], s2 offset:0x0
	s_load_dwordx2 s[36:37], s[22:23], 0xc50
	s_load_dwordx2 s[8:9], s[22:23], s2 offset:0x400
	s_load_dwordx2 s[10:11], s[22:23], s2 offset:0x200
	s_waitcnt lgkmcnt(0)
	s_add_u32 s38, s6, s12
	s_addc_u32 s39, s7, s13
	s_and_b32 s2, s38, 31
	s_add_u32 s40, s10, s12
	s_addc_u32 s41, s11, s13
	s_and_b32 s4, s40, 31
	s_lshl_b64 s[0:1], s[0:1], 16
	s_sub_u32 s42, s8, s0
	s_subb_u32 s43, s9, s1
	s_and_b32 s0, s8, 3
	s_mov_b32 s1, s3
	s_or_b64 s[0:1], s[4:5], s[0:1]
	s_or_b64 s[0:1], s[0:1], s[2:3]
	s_cmp_eq_u64 s[0:1], 0
	s_mov_b64 s[0:1], -1
	s_cbranch_scc1 .LBB80_19
; %bb.1:
	v_cmp_lt_i64_e64 s[0:1], s[42:43], 1
	s_and_b64 vcc, exec, s[0:1]
	s_cbranch_vccnz .LBB80_18
; %bb.2:
	s_mov_b64 s[0:1], src_private_base
	s_load_dword s0, s[22:23], 0xc64
	v_mov_b64_e32 v[0:1], 0x10000
	v_cmp_lt_i64_e32 vcc, s[42:43], v[0:1]
	s_and_b64 s[2:3], vcc, exec
	s_cselect_b32 s3, s43, 0
	s_cselect_b32 s2, s42, 0x10000
	s_waitcnt lgkmcnt(0)
	s_and_b32 s44, s0, 0xffff
	v_cmp_lt_u64_e32 vcc, s[42:43], v[0:1]
	s_mov_b32 s45, 0
	v_mov_b32_e32 v23, 0
	s_and_b64 s[4:5], vcc, exec
	s_cselect_b32 s47, s43, 0
	s_cselect_b32 s46, s42, 0x10000
	s_lshl_b32 s48, s44, 1
	s_mov_b32 s49, s45
	s_mul_i32 s50, s44, 3
	s_mov_b32 s51, s45
	s_lshl_b32 s33, s44, 2
	s_mov_b64 s[52:53], 0
	v_mov_b32_e32 v42, v23
	v_mov_b32_e32 v43, v23
	;; [unrolled: 1-line block ×4, first 2 shown]
	v_mov_b64_e32 v[30:31], s[2:3]
	s_branch .LBB80_4
.LBB80_3:                               ;   in Loop: Header=BB80_4 Depth=1
	s_or_b64 exec, exec, s[0:1]
	s_add_u32 s52, s52, s33
	s_addc_u32 s53, s53, 0
	v_cmp_lt_i64_e32 vcc, s[52:53], v[30:31]
	s_cbranch_vccz .LBB80_18
.LBB80_4:                               ; =>This Inner Loop Header: Depth=1
	v_lshl_add_u64 v[38:39], s[52:53], 0, v[22:23]
	v_cmp_gt_u64_e64 s[34:35], s[46:47], v[38:39]
	v_mov_b32_e32 v28, 0
	v_mov_b32_e32 v29, 0
	s_and_saveexec_b64 s[0:1], s[34:35]
	s_cbranch_execz .LBB80_6
; %bb.5:                                ;   in Loop: Header=BB80_4 Depth=1
	v_lshl_add_u64 v[0:1], v[38:39], 3, s[38:39]
	global_load_dwordx2 v[28:29], v[0:1], off
.LBB80_6:                               ;   in Loop: Header=BB80_4 Depth=1
	s_or_b64 exec, exec, s[0:1]
	v_lshl_add_u64 v[36:37], v[38:39], 0, s[44:45]
	v_cmp_gt_u64_e64 s[28:29], s[46:47], v[36:37]
	v_mov_b32_e32 v26, 0
	v_mov_b32_e32 v27, 0
	s_and_saveexec_b64 s[0:1], s[28:29]
	s_cbranch_execz .LBB80_8
; %bb.7:                                ;   in Loop: Header=BB80_4 Depth=1
	v_lshl_add_u64 v[0:1], v[36:37], 3, s[38:39]
	global_load_dwordx2 v[26:27], v[0:1], off
.LBB80_8:                               ;   in Loop: Header=BB80_4 Depth=1
	s_or_b64 exec, exec, s[0:1]
	v_lshl_add_u64 v[32:33], v[38:39], 0, s[48:49]
	v_cmp_gt_u64_e64 s[26:27], s[46:47], v[32:33]
	v_mov_b64_e32 v[24:25], 0
	s_and_saveexec_b64 s[0:1], s[26:27]
	s_cbranch_execz .LBB80_10
; %bb.9:                                ;   in Loop: Header=BB80_4 Depth=1
	v_lshl_add_u64 v[0:1], v[32:33], 3, s[38:39]
	global_load_dwordx2 v[24:25], v[0:1], off
.LBB80_10:                              ;   in Loop: Header=BB80_4 Depth=1
	s_or_b64 exec, exec, s[0:1]
	v_lshl_add_u64 v[34:35], v[38:39], 0, s[50:51]
	v_lshl_add_u64 v[0:1], v[34:35], 3, s[38:39]
	v_cmp_gt_u64_e64 s[24:25], s[46:47], v[34:35]
	scratch_store_dwordx2 off, v[42:43], off
	s_getpc_b64 s[54:55]
	s_add_u32 s54, s54, _ZN2at6native12_GLOBAL__N_14pow_IfEEN3c107complexIT_EES6_S6_@rel32@lo+4
	s_addc_u32 s55, s55, _ZN2at6native12_GLOBAL__N_14pow_IfEEN3c107complexIT_EES6_S6_@rel32@hi+12
	v_cndmask_b32_e64 v1, v21, v1, s[24:25]
	v_cndmask_b32_e64 v0, v40, v0, s[24:25]
	flat_load_dwordx2 v[2:3], v[0:1]
	v_mov_b32_e32 v0, s36
	v_mov_b32_e32 v1, s37
	s_swappc_b64 s[30:31], s[54:55]
	scratch_store_dwordx2 off, v[0:1], off
	s_and_saveexec_b64 s[56:57], s[34:35]
	s_cbranch_execnz .LBB80_14
; %bb.11:                               ;   in Loop: Header=BB80_4 Depth=1
	s_or_b64 exec, exec, s[56:57]
	s_and_saveexec_b64 s[34:35], s[28:29]
	s_cbranch_execnz .LBB80_15
.LBB80_12:                              ;   in Loop: Header=BB80_4 Depth=1
	s_or_b64 exec, exec, s[34:35]
	s_and_saveexec_b64 s[28:29], s[26:27]
	s_cbranch_execnz .LBB80_16
.LBB80_13:                              ;   in Loop: Header=BB80_4 Depth=1
	s_or_b64 exec, exec, s[28:29]
	s_and_saveexec_b64 s[0:1], s[24:25]
	s_cbranch_execz .LBB80_3
	s_branch .LBB80_17
.LBB80_14:                              ;   in Loop: Header=BB80_4 Depth=1
	v_mov_b32_e32 v0, s36
	v_mov_b32_e32 v1, s37
	;; [unrolled: 1-line block ×4, first 2 shown]
	s_swappc_b64 s[30:31], s[54:55]
	v_lshl_add_u64 v[2:3], v[38:39], 3, s[40:41]
	global_store_dwordx2 v[2:3], v[0:1], off
	s_or_b64 exec, exec, s[56:57]
	s_and_saveexec_b64 s[34:35], s[28:29]
	s_cbranch_execz .LBB80_12
.LBB80_15:                              ;   in Loop: Header=BB80_4 Depth=1
	s_getpc_b64 s[0:1]
	s_add_u32 s0, s0, _ZN2at6native12_GLOBAL__N_14pow_IfEEN3c107complexIT_EES6_S6_@rel32@lo+4
	s_addc_u32 s1, s1, _ZN2at6native12_GLOBAL__N_14pow_IfEEN3c107complexIT_EES6_S6_@rel32@hi+12
	v_mov_b32_e32 v0, s36
	v_mov_b32_e32 v1, s37
	;; [unrolled: 1-line block ×4, first 2 shown]
	s_swappc_b64 s[30:31], s[0:1]
	v_lshl_add_u64 v[2:3], v[36:37], 3, s[40:41]
	global_store_dwordx2 v[2:3], v[0:1], off
	s_or_b64 exec, exec, s[34:35]
	s_and_saveexec_b64 s[28:29], s[26:27]
	s_cbranch_execz .LBB80_13
.LBB80_16:                              ;   in Loop: Header=BB80_4 Depth=1
	s_getpc_b64 s[0:1]
	s_add_u32 s0, s0, _ZN2at6native12_GLOBAL__N_14pow_IfEEN3c107complexIT_EES6_S6_@rel32@lo+4
	s_addc_u32 s1, s1, _ZN2at6native12_GLOBAL__N_14pow_IfEEN3c107complexIT_EES6_S6_@rel32@hi+12
	v_mov_b32_e32 v0, s36
	v_mov_b32_e32 v1, s37
	v_mov_b32_e32 v2, v24
	v_mov_b32_e32 v3, v25
	s_swappc_b64 s[30:31], s[0:1]
	v_lshl_add_u64 v[2:3], v[32:33], 3, s[40:41]
	global_store_dwordx2 v[2:3], v[0:1], off
	s_or_b64 exec, exec, s[28:29]
	s_and_saveexec_b64 s[0:1], s[24:25]
	s_cbranch_execz .LBB80_3
.LBB80_17:                              ;   in Loop: Header=BB80_4 Depth=1
	scratch_load_dwordx2 v[0:1], off, off
	v_lshl_add_u64 v[2:3], v[34:35], 3, s[40:41]
	s_waitcnt vmcnt(0)
	global_store_dwordx2 v[2:3], v[0:1], off
	s_branch .LBB80_3
.LBB80_18:
	s_mov_b64 s[0:1], 0
.LBB80_19:
	s_andn2_b64 vcc, exec, s[0:1]
	s_cbranch_vccnz .LBB80_23
; %bb.20:
	v_mov_b64_e32 v[0:1], 0x10000
	v_cmp_lt_i64_e32 vcc, s[42:43], v[0:1]
	s_and_b64 s[0:1], vcc, exec
	v_mov_b32_e32 v33, 0
	s_cselect_b32 s27, s43, 0
	s_cselect_b32 s26, s42, 0x10000
	v_lshlrev_b32_e32 v32, 2, v22
	s_mov_b32 s25, 0
	v_cmp_gt_i64_e32 vcc, s[26:27], v[32:33]
	s_and_saveexec_b64 s[0:1], vcc
	s_cbranch_execz .LBB80_23
; %bb.21:
	s_load_dword s0, s[22:23], 0xc64
	v_mov_b32_e32 v23, v33
	v_lshlrev_b32_e32 v32, 5, v22
	s_mov_b64 s[22:23], 0
	s_waitcnt lgkmcnt(0)
	s_and_b32 s24, s0, 0xffff
	s_lshl_b32 s28, s24, 5
.LBB80_22:                              ; =>This Inner Loop Header: Depth=1
	v_lshl_add_u64 v[0:1], s[38:39], 0, v[32:33]
	global_load_dwordx4 v[24:27], v[0:1], off
	global_load_dwordx4 v[28:31], v[0:1], off offset:16
	s_getpc_b64 s[34:35]
	s_add_u32 s34, s34, _ZN2at6native12_GLOBAL__N_14pow_IfEEN3c107complexIT_EES6_S6_@rel32@lo+4
	s_addc_u32 s35, s35, _ZN2at6native12_GLOBAL__N_14pow_IfEEN3c107complexIT_EES6_S6_@rel32@hi+12
	v_mov_b32_e32 v0, s36
	v_mov_b32_e32 v1, s37
	s_waitcnt vmcnt(1)
	v_mov_b32_e32 v2, v24
	v_mov_b32_e32 v3, v25
	s_swappc_b64 s[30:31], s[34:35]
	v_mov_b32_e32 v24, v0
	v_mov_b32_e32 v25, v1
	v_mov_b32_e32 v0, s36
	v_mov_b32_e32 v1, s37
	v_mov_b32_e32 v2, v26
	v_mov_b32_e32 v3, v27
	s_swappc_b64 s[30:31], s[34:35]
	v_mov_b32_e32 v26, v0
	v_mov_b32_e32 v27, v1
	v_mov_b32_e32 v0, s36
	v_mov_b32_e32 v1, s37
	v_mov_b32_e32 v2, v28
	v_mov_b32_e32 v3, v29
	s_swappc_b64 s[30:31], s[34:35]
	v_mov_b32_e32 v28, v0
	v_mov_b32_e32 v29, v1
	v_mov_b32_e32 v0, s36
	v_mov_b32_e32 v1, s37
	v_mov_b32_e32 v2, v30
	v_mov_b32_e32 v3, v31
	s_swappc_b64 s[30:31], s[34:35]
	v_mov_b32_e32 v30, v0
	v_mov_b32_e32 v31, v1
	v_lshl_add_u64 v[0:1], s[40:41], 0, v[32:33]
	s_add_u32 s40, s40, s28
	v_lshl_add_u64 v[22:23], v[22:23], 0, s[24:25]
	s_addc_u32 s41, s41, 0
	v_lshlrev_b64 v[2:3], 2, v[22:23]
	s_add_u32 s38, s38, s28
	v_cmp_le_i64_e32 vcc, s[26:27], v[2:3]
	s_addc_u32 s39, s39, 0
	s_or_b64 s[22:23], vcc, s[22:23]
	scratch_store_dwordx2 off, v[30:31], off
	global_store_dwordx4 v[0:1], v[24:27], off
	global_store_dwordx4 v[0:1], v[28:31], off offset:16
	s_andn2_b64 exec, exec, s[22:23]
	s_cbranch_execnz .LBB80_22
.LBB80_23:
	s_endpgm
	.section	.rodata,"a",@progbits
	.p2align	6, 0x0
	.amdhsa_kernel _ZN2at6native12_GLOBAL__N_125multi_tensor_apply_kernelINS1_18TensorListMetadataILi2EEENS1_21BinaryOpScalarFunctorIN3c107complexIfEELi2ELi1ELi1EEEJNS1_21reverse_power_functorIS8_EES8_EEEvT_T0_DpT1_
		.amdhsa_group_segment_fixed_size 0
		.amdhsa_private_segment_fixed_size 16
		.amdhsa_kernarg_size 3416
		.amdhsa_user_sgpr_count 2
		.amdhsa_user_sgpr_dispatch_ptr 0
		.amdhsa_user_sgpr_queue_ptr 0
		.amdhsa_user_sgpr_kernarg_segment_ptr 1
		.amdhsa_user_sgpr_dispatch_id 0
		.amdhsa_user_sgpr_kernarg_preload_length 0
		.amdhsa_user_sgpr_kernarg_preload_offset 0
		.amdhsa_user_sgpr_private_segment_size 0
		.amdhsa_uses_dynamic_stack 0
		.amdhsa_enable_private_segment 1
		.amdhsa_system_sgpr_workgroup_id_x 1
		.amdhsa_system_sgpr_workgroup_id_y 0
		.amdhsa_system_sgpr_workgroup_id_z 0
		.amdhsa_system_sgpr_workgroup_info 0
		.amdhsa_system_vgpr_workitem_id 0
		.amdhsa_next_free_vgpr 44
		.amdhsa_next_free_sgpr 58
		.amdhsa_accum_offset 44
		.amdhsa_reserve_vcc 1
		.amdhsa_float_round_mode_32 0
		.amdhsa_float_round_mode_16_64 0
		.amdhsa_float_denorm_mode_32 3
		.amdhsa_float_denorm_mode_16_64 3
		.amdhsa_dx10_clamp 1
		.amdhsa_ieee_mode 1
		.amdhsa_fp16_overflow 0
		.amdhsa_tg_split 0
		.amdhsa_exception_fp_ieee_invalid_op 0
		.amdhsa_exception_fp_denorm_src 0
		.amdhsa_exception_fp_ieee_div_zero 0
		.amdhsa_exception_fp_ieee_overflow 0
		.amdhsa_exception_fp_ieee_underflow 0
		.amdhsa_exception_fp_ieee_inexact 0
		.amdhsa_exception_int_div_zero 0
	.end_amdhsa_kernel
	.section	.text._ZN2at6native12_GLOBAL__N_125multi_tensor_apply_kernelINS1_18TensorListMetadataILi2EEENS1_21BinaryOpScalarFunctorIN3c107complexIfEELi2ELi1ELi1EEEJNS1_21reverse_power_functorIS8_EES8_EEEvT_T0_DpT1_,"axG",@progbits,_ZN2at6native12_GLOBAL__N_125multi_tensor_apply_kernelINS1_18TensorListMetadataILi2EEENS1_21BinaryOpScalarFunctorIN3c107complexIfEELi2ELi1ELi1EEEJNS1_21reverse_power_functorIS8_EES8_EEEvT_T0_DpT1_,comdat
.Lfunc_end80:
	.size	_ZN2at6native12_GLOBAL__N_125multi_tensor_apply_kernelINS1_18TensorListMetadataILi2EEENS1_21BinaryOpScalarFunctorIN3c107complexIfEELi2ELi1ELi1EEEJNS1_21reverse_power_functorIS8_EES8_EEEvT_T0_DpT1_, .Lfunc_end80-_ZN2at6native12_GLOBAL__N_125multi_tensor_apply_kernelINS1_18TensorListMetadataILi2EEENS1_21BinaryOpScalarFunctorIN3c107complexIfEELi2ELi1ELi1EEEJNS1_21reverse_power_functorIS8_EES8_EEEvT_T0_DpT1_
                                        ; -- End function
	.set _ZN2at6native12_GLOBAL__N_125multi_tensor_apply_kernelINS1_18TensorListMetadataILi2EEENS1_21BinaryOpScalarFunctorIN3c107complexIfEELi2ELi1ELi1EEEJNS1_21reverse_power_functorIS8_EES8_EEEvT_T0_DpT1_.num_vgpr, max(44, .L_ZN2at6native12_GLOBAL__N_14pow_IfEEN3c107complexIT_EES6_S6_.num_vgpr)
	.set _ZN2at6native12_GLOBAL__N_125multi_tensor_apply_kernelINS1_18TensorListMetadataILi2EEENS1_21BinaryOpScalarFunctorIN3c107complexIfEELi2ELi1ELi1EEEJNS1_21reverse_power_functorIS8_EES8_EEEvT_T0_DpT1_.num_agpr, max(0, .L_ZN2at6native12_GLOBAL__N_14pow_IfEEN3c107complexIT_EES6_S6_.num_agpr)
	.set _ZN2at6native12_GLOBAL__N_125multi_tensor_apply_kernelINS1_18TensorListMetadataILi2EEENS1_21BinaryOpScalarFunctorIN3c107complexIfEELi2ELi1ELi1EEEJNS1_21reverse_power_functorIS8_EES8_EEEvT_T0_DpT1_.numbered_sgpr, max(58, .L_ZN2at6native12_GLOBAL__N_14pow_IfEEN3c107complexIT_EES6_S6_.numbered_sgpr)
	.set _ZN2at6native12_GLOBAL__N_125multi_tensor_apply_kernelINS1_18TensorListMetadataILi2EEENS1_21BinaryOpScalarFunctorIN3c107complexIfEELi2ELi1ELi1EEEJNS1_21reverse_power_functorIS8_EES8_EEEvT_T0_DpT1_.num_named_barrier, max(0, .L_ZN2at6native12_GLOBAL__N_14pow_IfEEN3c107complexIT_EES6_S6_.num_named_barrier)
	.set _ZN2at6native12_GLOBAL__N_125multi_tensor_apply_kernelINS1_18TensorListMetadataILi2EEENS1_21BinaryOpScalarFunctorIN3c107complexIfEELi2ELi1ELi1EEEJNS1_21reverse_power_functorIS8_EES8_EEEvT_T0_DpT1_.private_seg_size, 16+max(.L_ZN2at6native12_GLOBAL__N_14pow_IfEEN3c107complexIT_EES6_S6_.private_seg_size)
	.set _ZN2at6native12_GLOBAL__N_125multi_tensor_apply_kernelINS1_18TensorListMetadataILi2EEENS1_21BinaryOpScalarFunctorIN3c107complexIfEELi2ELi1ELi1EEEJNS1_21reverse_power_functorIS8_EES8_EEEvT_T0_DpT1_.uses_vcc, or(1, .L_ZN2at6native12_GLOBAL__N_14pow_IfEEN3c107complexIT_EES6_S6_.uses_vcc)
	.set _ZN2at6native12_GLOBAL__N_125multi_tensor_apply_kernelINS1_18TensorListMetadataILi2EEENS1_21BinaryOpScalarFunctorIN3c107complexIfEELi2ELi1ELi1EEEJNS1_21reverse_power_functorIS8_EES8_EEEvT_T0_DpT1_.uses_flat_scratch, or(0, .L_ZN2at6native12_GLOBAL__N_14pow_IfEEN3c107complexIT_EES6_S6_.uses_flat_scratch)
	.set _ZN2at6native12_GLOBAL__N_125multi_tensor_apply_kernelINS1_18TensorListMetadataILi2EEENS1_21BinaryOpScalarFunctorIN3c107complexIfEELi2ELi1ELi1EEEJNS1_21reverse_power_functorIS8_EES8_EEEvT_T0_DpT1_.has_dyn_sized_stack, or(0, .L_ZN2at6native12_GLOBAL__N_14pow_IfEEN3c107complexIT_EES6_S6_.has_dyn_sized_stack)
	.set _ZN2at6native12_GLOBAL__N_125multi_tensor_apply_kernelINS1_18TensorListMetadataILi2EEENS1_21BinaryOpScalarFunctorIN3c107complexIfEELi2ELi1ELi1EEEJNS1_21reverse_power_functorIS8_EES8_EEEvT_T0_DpT1_.has_recursion, or(0, .L_ZN2at6native12_GLOBAL__N_14pow_IfEEN3c107complexIT_EES6_S6_.has_recursion)
	.set _ZN2at6native12_GLOBAL__N_125multi_tensor_apply_kernelINS1_18TensorListMetadataILi2EEENS1_21BinaryOpScalarFunctorIN3c107complexIfEELi2ELi1ELi1EEEJNS1_21reverse_power_functorIS8_EES8_EEEvT_T0_DpT1_.has_indirect_call, or(0, .L_ZN2at6native12_GLOBAL__N_14pow_IfEEN3c107complexIT_EES6_S6_.has_indirect_call)
	.section	.AMDGPU.csdata,"",@progbits
; Kernel info:
; codeLenInByte = 1208
; TotalNumSgprs: 64
; NumVgprs: 44
; NumAgprs: 0
; TotalNumVgprs: 44
; ScratchSize: 16
; MemoryBound: 0
; FloatMode: 240
; IeeeMode: 1
; LDSByteSize: 0 bytes/workgroup (compile time only)
; SGPRBlocks: 7
; VGPRBlocks: 5
; NumSGPRsForWavesPerEU: 64
; NumVGPRsForWavesPerEU: 44
; AccumOffset: 44
; Occupancy: 8
; WaveLimiterHint : 0
; COMPUTE_PGM_RSRC2:SCRATCH_EN: 1
; COMPUTE_PGM_RSRC2:USER_SGPR: 2
; COMPUTE_PGM_RSRC2:TRAP_HANDLER: 0
; COMPUTE_PGM_RSRC2:TGID_X_EN: 1
; COMPUTE_PGM_RSRC2:TGID_Y_EN: 0
; COMPUTE_PGM_RSRC2:TGID_Z_EN: 0
; COMPUTE_PGM_RSRC2:TIDIG_COMP_CNT: 0
; COMPUTE_PGM_RSRC3_GFX90A:ACCUM_OFFSET: 10
; COMPUTE_PGM_RSRC3_GFX90A:TG_SPLIT: 0
	.section	.text._ZN2at6native12_GLOBAL__N_125multi_tensor_apply_kernelINS1_18TensorListMetadataILi2EEENS1_21BinaryOpScalarFunctorIN3c104HalfELi2ELi1ELi1EEEJNS1_21reverse_power_functorIfEEfEEEvT_T0_DpT1_,"axG",@progbits,_ZN2at6native12_GLOBAL__N_125multi_tensor_apply_kernelINS1_18TensorListMetadataILi2EEENS1_21BinaryOpScalarFunctorIN3c104HalfELi2ELi1ELi1EEEJNS1_21reverse_power_functorIfEEfEEEvT_T0_DpT1_,comdat
	.globl	_ZN2at6native12_GLOBAL__N_125multi_tensor_apply_kernelINS1_18TensorListMetadataILi2EEENS1_21BinaryOpScalarFunctorIN3c104HalfELi2ELi1ELi1EEEJNS1_21reverse_power_functorIfEEfEEEvT_T0_DpT1_ ; -- Begin function _ZN2at6native12_GLOBAL__N_125multi_tensor_apply_kernelINS1_18TensorListMetadataILi2EEENS1_21BinaryOpScalarFunctorIN3c104HalfELi2ELi1ELi1EEEJNS1_21reverse_power_functorIfEEfEEEvT_T0_DpT1_
	.p2align	8
	.type	_ZN2at6native12_GLOBAL__N_125multi_tensor_apply_kernelINS1_18TensorListMetadataILi2EEENS1_21BinaryOpScalarFunctorIN3c104HalfELi2ELi1ELi1EEEJNS1_21reverse_power_functorIfEEfEEEvT_T0_DpT1_,@function
_ZN2at6native12_GLOBAL__N_125multi_tensor_apply_kernelINS1_18TensorListMetadataILi2EEENS1_21BinaryOpScalarFunctorIN3c104HalfELi2ELi1ELi1EEEJNS1_21reverse_power_functorIfEEfEEEvT_T0_DpT1_: ; @_ZN2at6native12_GLOBAL__N_125multi_tensor_apply_kernelINS1_18TensorListMetadataILi2EEENS1_21BinaryOpScalarFunctorIN3c104HalfELi2ELi1ELi1EEEJNS1_21reverse_power_functorIfEEfEEEvT_T0_DpT1_
; %bb.0:
	v_mov_b32_e32 v1, s2
	global_load_ubyte v1, v1, s[0:1] offset:1536
	s_add_u32 s3, s0, s2
	s_mul_hi_u32 s4, s2, 3
	s_mul_i32 s2, s2, 3
	s_addc_u32 s5, s1, 0
	s_add_u32 s2, s3, s2
	s_addc_u32 s3, s5, s4
	s_load_dword s6, s[2:3], 0x740
	s_mov_b32 s9, 0
	s_mov_b32 s11, s9
	s_waitcnt lgkmcnt(0)
	s_ashr_i32 s7, s6, 31
	s_lshl_b64 s[18:19], s[6:7], 17
	s_waitcnt vmcnt(0)
	v_readfirstlane_b32 s2, v1
	s_lshl_b32 s8, s2, 3
	s_load_dwordx2 s[2:3], s[0:1], s8 offset:0x0
	s_load_dword s48, s[0:1], 0xc4c
	s_load_dwordx2 s[12:13], s[0:1], s8 offset:0x400
	s_load_dwordx2 s[4:5], s[0:1], s8 offset:0x200
	s_waitcnt lgkmcnt(0)
	s_add_u32 s36, s2, s18
	s_addc_u32 s37, s3, s19
	s_and_b32 s8, s36, 7
	s_add_u32 s38, s4, s18
	s_addc_u32 s39, s5, s19
	s_and_b32 s10, s38, 7
	s_lshl_b64 s[6:7], s[6:7], 16
	s_sub_u32 s16, s12, s6
	s_subb_u32 s17, s13, s7
	s_and_b32 s6, s12, 3
	s_mov_b32 s7, s9
	s_or_b64 s[6:7], s[10:11], s[6:7]
	s_or_b64 s[6:7], s[6:7], s[8:9]
	s_cmp_eq_u64 s[6:7], 0
	s_mov_b64 s[6:7], -1
	s_cbranch_scc1 .LBB81_21
; %bb.1:
	v_cmp_lt_i64_e64 s[6:7], s[16:17], 1
	s_and_b64 vcc, exec, s[6:7]
	s_cbranch_vccnz .LBB81_20
; %bb.2:
	s_load_dword s6, s[0:1], 0xc5c
	v_mov_b64_e32 v[2:3], 0x10000
	v_cmp_lt_i64_e32 vcc, s[16:17], v[2:3]
	s_and_b64 s[8:9], vcc, exec
	s_cselect_b32 s21, s17, 0
	s_cselect_b32 s20, s16, 0x10000
	s_waitcnt lgkmcnt(0)
	s_and_b32 s6, s6, 0xffff
	v_cmp_lt_u64_e32 vcc, s[16:17], v[2:3]
	s_mov_b32 s7, 0
	v_mov_b32_e32 v1, 0
	s_and_b64 s[8:9], vcc, exec
	s_cselect_b32 s23, s17, 0
	s_cselect_b32 s22, s16, 0x10000
	s_lshl_b32 s26, s6, 2
	s_mov_b32 s27, s7
	v_lshlrev_b32_e32 v12, 1, v0
	v_mov_b32_e32 v13, v1
	v_lshl_add_u64 v[18:19], v[0:1], 0, s[6:7]
	s_lshl_b32 s8, s6, 1
	s_mov_b32 s9, s7
	s_mul_i32 s10, s6, 3
	s_mov_b32 s11, s7
	v_mad_u64_u32 v[8:9], s[12:13], s6, 6, v[12:13]
	v_lshl_add_u64 v[14:15], s[26:27], 0, v[12:13]
	v_lshlrev_b32_e32 v22, 1, v18
	v_mov_b32_e32 v23, v1
                                        ; implicit-def: $vgpr25
	v_cmp_eq_f32_e64 s[24:25], s48, 1.0
	v_lshl_add_u64 v[2:3], s[2:3], 0, v[12:13]
	s_lshl_b32 s28, s6, 3
	s_mov_b32 s29, s7
	v_lshl_add_u64 v[4:5], s[4:5], 0, v[12:13]
	v_lshl_add_u64 v[6:7], s[2:3], 0, v[8:9]
	;; [unrolled: 1-line block ×9, first 2 shown]
	s_mov_b64 s[30:31], 0
	s_movk_i32 s27, 0x204
	s_mov_b32 s33, 0x7f800000
	s_brev_b32 s44, -2
	s_mov_b32 s45, 0x3f2aaaab
	s_mov_b32 s46, 0x3f317218
	v_mov_b32_e32 v24, 0x3e91f4c4
	s_mov_b32 s47, 0x42b17218
	s_mov_b32 s49, 0x3fb8aa3b
	s_mov_b32 s50, 0xc2ce8ed0
	v_mov_b32_e32 v25, 0x7f800000
	v_mov_b32_e32 v26, 0x37000000
	;; [unrolled: 1-line block ×3, first 2 shown]
	s_branch .LBB81_4
.LBB81_3:                               ;   in Loop: Header=BB81_4 Depth=1
	s_or_b64 exec, exec, s[6:7]
	s_add_u32 s30, s30, s26
	s_addc_u32 s31, s31, 0
	v_mov_b64_e32 v[28:29], s[20:21]
	v_cmp_lt_i64_e32 vcc, s[30:31], v[28:29]
	v_lshl_add_u64 v[2:3], v[2:3], 0, s[28:29]
	v_lshl_add_u64 v[4:5], v[4:5], 0, s[28:29]
	;; [unrolled: 1-line block ×8, first 2 shown]
	s_cbranch_vccz .LBB81_20
.LBB81_4:                               ; =>This Inner Loop Header: Depth=1
	v_lshl_add_u64 v[28:29], v[0:1], 0, s[30:31]
	v_cmp_gt_u64_e64 s[6:7], s[22:23], v[28:29]
	v_mov_b32_e32 v31, 0
	s_and_saveexec_b64 s[2:3], s[6:7]
	s_cbranch_execz .LBB81_6
; %bb.5:                                ;   in Loop: Header=BB81_4 Depth=1
	v_lshl_add_u64 v[28:29], v[2:3], 0, s[18:19]
	global_load_ushort v28, v[28:29], off
	s_waitcnt vmcnt(0)
	v_cvt_f32_f16_e32 v31, v28
.LBB81_6:                               ;   in Loop: Header=BB81_4 Depth=1
	s_or_b64 exec, exec, s[2:3]
	v_lshl_add_u64 v[28:29], v[18:19], 0, s[30:31]
	v_cmp_gt_u64_e64 s[4:5], s[22:23], v[28:29]
	v_mov_b32_e32 v29, 0
	v_mov_b32_e32 v30, 0
	s_and_saveexec_b64 s[2:3], s[4:5]
	s_cbranch_execz .LBB81_8
; %bb.7:                                ;   in Loop: Header=BB81_4 Depth=1
	v_lshl_add_u64 v[32:33], v[20:21], 0, s[18:19]
	global_load_ushort v28, v[32:33], off
	s_waitcnt vmcnt(0)
	v_cvt_f32_f16_e32 v30, v28
.LBB81_8:                               ;   in Loop: Header=BB81_4 Depth=1
	s_or_b64 exec, exec, s[2:3]
	v_lshl_add_u64 v[32:33], v[16:17], 0, s[30:31]
	v_cmp_gt_u64_e64 s[2:3], s[22:23], v[32:33]
	s_and_saveexec_b64 s[8:9], s[2:3]
	s_cbranch_execz .LBB81_10
; %bb.9:                                ;   in Loop: Header=BB81_4 Depth=1
	v_lshl_add_u64 v[28:29], v[12:13], 0, s[18:19]
	global_load_ushort v28, v[28:29], off
	s_waitcnt vmcnt(0)
	v_cvt_f32_f16_e32 v29, v28
.LBB81_10:                              ;   in Loop: Header=BB81_4 Depth=1
	s_or_b64 exec, exec, s[8:9]
	v_lshl_add_u64 v[32:33], v[10:11], 0, s[30:31]
	v_cmp_gt_u64_e32 vcc, s[22:23], v[32:33]
	v_mov_b32_e32 v28, 0
	s_and_saveexec_b64 s[8:9], vcc
	s_cbranch_execnz .LBB81_15
; %bb.11:                               ;   in Loop: Header=BB81_4 Depth=1
	s_or_b64 exec, exec, s[8:9]
	s_and_saveexec_b64 s[34:35], s[6:7]
	s_cbranch_execnz .LBB81_16
.LBB81_12:                              ;   in Loop: Header=BB81_4 Depth=1
	s_or_b64 exec, exec, s[34:35]
	s_and_saveexec_b64 s[10:11], s[4:5]
	s_cbranch_execnz .LBB81_17
.LBB81_13:                              ;   in Loop: Header=BB81_4 Depth=1
	s_or_b64 exec, exec, s[10:11]
	s_and_saveexec_b64 s[8:9], s[2:3]
	s_cbranch_execnz .LBB81_18
.LBB81_14:                              ;   in Loop: Header=BB81_4 Depth=1
	s_or_b64 exec, exec, s[8:9]
	s_and_saveexec_b64 s[6:7], vcc
	s_cbranch_execz .LBB81_3
	s_branch .LBB81_19
.LBB81_15:                              ;   in Loop: Header=BB81_4 Depth=1
	v_lshl_add_u64 v[32:33], v[6:7], 0, s[18:19]
	global_load_ushort v28, v[32:33], off
	s_waitcnt vmcnt(0)
	v_cvt_f32_f16_e32 v28, v28
	s_or_b64 exec, exec, s[8:9]
	s_and_saveexec_b64 s[34:35], s[6:7]
	s_cbranch_execz .LBB81_12
.LBB81_16:                              ;   in Loop: Header=BB81_4 Depth=1
	v_cndmask_b32_e64 v31, v31, 1.0, s[24:25]
	v_mov_b32_e32 v32, s48
	v_cmp_neq_f32_e64 s[6:7], 0, v31
	v_cmp_gt_f32_e64 s[8:9], 0, v31
	s_nop 0
	v_cndmask_b32_e64 v46, 1.0, v32, s[6:7]
	v_cmp_eq_f32_e64 s[6:7], 0, v46
	s_xor_b64 s[8:9], s[8:9], s[6:7]
	v_trunc_f32_e32 v32, v31
	v_cndmask_b32_e64 v34, v25, 0, s[8:9]
	v_cmp_eq_f32_e64 s[8:9], v32, v31
	v_mul_f32_e32 v32, 0.5, v31
	v_trunc_f32_e32 v33, v32
	v_cmp_neq_f32_e64 s[10:11], v33, v32
	v_cvt_f64_f32_e64 v[32:33], |v46|
	v_frexp_exp_i32_f64_e32 v32, v[32:33]
	v_frexp_mant_f32_e64 v33, |v46|
	s_and_b64 s[10:11], s[8:9], s[10:11]
	v_cmp_gt_f32_e64 s[12:13], s45, v33
	v_cndmask_b32_e64 v35, 0, v46, s[10:11]
	v_bfi_b32 v47, s44, v34, v35
	v_subbrev_co_u32_e64 v32, s[14:15], 0, v32, s[12:13]
	v_cvt_f32_i32_e32 v36, v32
	v_cndmask_b32_e64 v35, 1.0, 2.0, s[12:13]
	v_mul_f32_e32 v33, v33, v35
	v_add_f32_e32 v35, 1.0, v33
	v_rcp_f32_e32 v44, v35
	v_mul_f32_e32 v32, 0x3f317218, v36
	v_fma_f32 v34, v36, s46, -v32
	v_fmac_f32_e32 v34, 0xb102e308, v36
	v_add_f32_e32 v36, -1.0, v35
	v_add_f32_e32 v37, -1.0, v33
	v_sub_f32_e32 v36, v33, v36
	v_mul_f32_e32 v33, v37, v44
	v_mul_f32_e32 v38, v35, v33
	v_fma_f32 v40, v33, v35, -v38
	v_fmac_f32_e32 v40, v33, v36
	v_add_f32_e32 v36, v38, v40
	v_sub_f32_e32 v39, v37, v36
	v_pk_add_f32 v[42:43], v[36:37], v[38:39] neg_lo:[0,1] neg_hi:[0,1]
	v_mov_b32_e32 v41, v36
	v_pk_add_f32 v[36:37], v[42:43], v[40:41] neg_lo:[0,1] neg_hi:[0,1]
	v_cmp_neq_f32_e64 s[14:15], v31, |v31|
	v_add_f32_e32 v35, v36, v37
	v_add_f32_e32 v35, v39, v35
	v_mul_f32_e32 v37, v44, v35
	v_add_f32_e32 v36, v33, v37
	v_sub_f32_e32 v33, v36, v33
	v_mul_f32_e32 v39, v36, v36
	v_sub_f32_e32 v48, v37, v33
	v_add_f32_e32 v33, v48, v48
	v_fma_f32 v37, v36, v36, -v39
	v_fmac_f32_e32 v37, v36, v33
	v_add_f32_e32 v38, v39, v37
	v_sub_f32_e32 v33, v38, v39
	v_sub_f32_e32 v33, v37, v33
	v_fmamk_f32 v37, v38, 0x3e76c4e1, v24
	v_fmaak_f32 v37, v38, v37, 0x3ecccdef
	v_mul_f32_e32 v39, v38, v37
	v_fma_f32 v40, v38, v37, -v39
	v_fmac_f32_e32 v40, v33, v37
	v_add_f32_e32 v42, v39, v40
	v_add_f32_e32 v41, 0x3f2aaaaa, v42
	v_sub_f32_e32 v37, v42, v39
	v_sub_f32_e32 v37, v40, v37
	v_add_f32_e32 v39, 0xbf2aaaaa, v41
	v_add_f32_e32 v37, 0x31739010, v37
	v_sub_f32_e32 v39, v42, v39
	v_pk_mul_f32 v[42:43], v[36:37], v[38:39]
	v_pk_add_f32 v[44:45], v[36:37], v[38:39]
	v_fma_f32 v40, v38, v36, -v42
	v_fmac_f32_e32 v40, v38, v48
	v_mov_b32_e32 v43, v45
	v_fmac_f32_e32 v40, v33, v36
	v_ldexp_f32 v35, v36, 1
	v_pk_add_f32 v[36:37], v[42:43], v[40:41]
	v_ldexp_f32 v44, v48, 1
	v_pk_mul_f32 v[38:39], v[36:37], v[36:37] op_sel:[0,1] op_sel_hi:[1,0]
	v_sub_f32_e32 v33, v36, v42
	v_sub_f32_e32 v39, v41, v37
	;; [unrolled: 1-line block ×3, first 2 shown]
	v_add_f32_e32 v39, v45, v39
	v_fma_f32 v40, v36, v37, -v38
	v_fmac_f32_e32 v40, v36, v39
	v_fmac_f32_e32 v40, v33, v37
	v_add_f32_e32 v33, v38, v40
	v_pk_add_f32 v[36:37], v[32:33], v[34:35]
	v_mov_b32_e32 v42, v33
	v_mov_b32_e32 v43, v37
	;; [unrolled: 1-line block ×3, first 2 shown]
	v_pk_add_f32 v[38:39], v[42:43], v[38:39] neg_lo:[0,1] neg_hi:[0,1]
	v_mov_b32_e32 v41, v33
	v_pk_add_f32 v[38:39], v[40:41], v[38:39] neg_lo:[0,1] neg_hi:[0,1]
	v_mov_b32_e32 v35, v36
	v_add_f32_e32 v33, v44, v38
	v_add_f32_e32 v33, v33, v39
	v_pk_add_f32 v[38:39], v[36:37], v[32:33] neg_lo:[0,1] neg_hi:[0,1]
	v_pk_add_f32 v[40:41], v[36:37], v[32:33]
	v_mov_b32_e32 v32, v33
	v_mov_b32_e32 v39, v41
	v_pk_add_f32 v[42:43], v[34:35], v[38:39] neg_lo:[0,1] neg_hi:[0,1]
	v_pk_add_f32 v[34:35], v[34:35], v[38:39]
	v_mov_b32_e32 v33, v36
	v_pk_add_f32 v[38:39], v[34:35], v[36:37] op_sel:[1,0] op_sel_hi:[0,1] neg_lo:[0,1] neg_hi:[0,1]
	v_pk_add_f32 v[44:45], v[40:41], v[38:39] op_sel_hi:[1,0] neg_lo:[0,1] neg_hi:[0,1]
	v_mov_b32_e32 v40, v41
	v_mov_b32_e32 v41, v35
	v_pk_mov_b32 v[38:39], v[36:37], v[38:39] op_sel:[1,0]
	v_mov_b32_e32 v44, v42
	v_pk_add_f32 v[38:39], v[40:41], v[38:39] neg_lo:[0,1] neg_hi:[0,1]
	v_mov_b32_e32 v43, v35
	v_pk_add_f32 v[32:33], v[32:33], v[38:39] neg_lo:[0,1] neg_hi:[0,1]
	v_cmp_lt_f32_e64 s[42:43], |v46|, 1.0
	v_pk_add_f32 v[36:37], v[44:45], v[32:33]
	v_cmp_class_f32_e64 s[40:41], v46, s27
	v_pk_add_f32 v[38:39], v[36:37], v[36:37] op_sel:[0,1] op_sel_hi:[1,0]
	s_or_b64 s[6:7], s[6:7], s[40:41]
	v_pk_add_f32 v[34:35], v[34:35], v[38:39] op_sel:[1,0] op_sel_hi:[0,1]
	v_mov_b32_e32 v37, v34
	v_pk_add_f32 v[40:41], v[36:37], v[42:43] neg_lo:[0,1] neg_hi:[0,1]
	v_mov_b32_e32 v33, v38
	v_sub_f32_e32 v35, v36, v40
	v_pk_add_f32 v[32:33], v[32:33], v[40:41] neg_lo:[0,1] neg_hi:[0,1]
	v_sub_f32_e32 v35, v42, v35
	v_add_f32_e32 v32, v32, v35
	v_add_f32_e32 v32, v32, v33
	;; [unrolled: 1-line block ×3, first 2 shown]
	v_mul_f32_e32 v35, v31, v33
	v_sub_f32_e32 v34, v33, v34
	v_sub_f32_e32 v32, v32, v34
	v_fma_f32 v33, v31, v33, -v35
	v_fmac_f32_e32 v33, v31, v32
	v_add_f32_e32 v32, v35, v33
	v_cmp_class_f32_e64 s[12:13], v35, s27
	s_nop 1
	v_cndmask_b32_e64 v34, v32, v35, s[12:13]
	v_cmp_eq_f32_e64 s[12:13], s47, v34
	v_sub_f32_e32 v32, v32, v35
	v_sub_f32_e32 v32, v33, v32
	v_cndmask_b32_e64 v36, 0, v26, s[12:13]
	v_sub_f32_e32 v37, v34, v36
	v_mul_f32_e32 v38, 0x3fb8aa3b, v37
	v_fma_f32 v39, v37, s49, -v38
	v_rndne_f32_e32 v40, v38
	v_fmac_f32_e32 v39, 0x32a5705f, v37
	v_sub_f32_e32 v38, v38, v40
	v_add_f32_e32 v38, v38, v39
	v_exp_f32_e32 v38, v38
	v_cvt_i32_f32_e32 v39, v40
	s_xor_b64 s[12:13], s[14:15], s[42:43]
	v_cndmask_b32_e64 v40, v25, 0, s[12:13]
	v_cmp_neq_f32_e64 s[12:13], |v46|, 1.0
	v_ldexp_f32 v38, v38, v39
	v_cndmask_b32_e64 v33, 1.0, v46, s[10:11]
	v_cndmask_b32_e64 v40, 1.0, v40, s[12:13]
	v_cmp_ngt_f32_e64 s[12:13], s50, v37
	s_nop 1
	v_cndmask_b32_e64 v38, 0, v38, s[12:13]
	v_cmp_nlt_f32_e64 s[12:13], s47, v37
	s_nop 1
	v_cndmask_b32_e64 v37, v25, v38, s[12:13]
	v_cmp_neq_f32_e64 s[12:13], |v34|, s33
	s_nop 1
	v_cndmask_b32_e64 v32, 0, v32, s[12:13]
	v_add_f32_e32 v32, v36, v32
	v_fma_f32 v32, v37, v32, v37
	v_cmp_class_f32_e64 s[12:13], v37, s27
	s_nop 1
	v_cndmask_b32_e64 v32, v32, v37, s[12:13]
	v_bfi_b32 v32, s44, v32, v33
	v_cndmask_b32_e64 v33, v27, v32, s[8:9]
	v_cmp_gt_f32_e64 s[8:9], 0, v46
	s_nop 1
	v_cndmask_b32_e64 v32, v32, v33, s[8:9]
	v_cmp_class_f32_e64 s[8:9], v31, s27
	s_nop 1
	v_cndmask_b32_e64 v32, v32, v40, s[8:9]
	v_cndmask_b32_e64 v32, v32, v47, s[6:7]
	v_cmp_o_f32_e64 s[6:7], v46, v31
	s_nop 1
	v_cndmask_b32_e64 v31, v27, v32, s[6:7]
	v_cvt_f16_f32_e32 v31, v31
	v_lshl_add_u64 v[32:33], v[4:5], 0, s[18:19]
	global_store_short v[32:33], v31, off
	s_or_b64 exec, exec, s[34:35]
	s_and_saveexec_b64 s[10:11], s[4:5]
	s_cbranch_execz .LBB81_13
.LBB81_17:                              ;   in Loop: Header=BB81_4 Depth=1
	v_cndmask_b32_e64 v44, v30, 1.0, s[24:25]
	v_mov_b32_e32 v30, s48
	v_cmp_neq_f32_e64 s[4:5], 0, v44
	s_nop 1
	v_cndmask_b32_e64 v45, 1.0, v30, s[4:5]
	v_frexp_mant_f32_e64 v30, |v45|
	v_cmp_gt_f32_e64 s[4:5], s45, v30
	v_cmp_lt_f32_e64 s[8:9], |v45|, 1.0
	v_cmp_class_f32_e64 s[12:13], v45, s27
	v_cndmask_b32_e64 v31, 1.0, 2.0, s[4:5]
	v_mul_f32_e32 v30, v30, v31
	v_add_f32_e32 v33, 1.0, v30
	v_rcp_f32_e32 v38, v33
	v_add_f32_e32 v31, -1.0, v33
	v_sub_f32_e32 v35, v30, v31
	v_add_f32_e32 v31, -1.0, v30
	v_mul_f32_e32 v39, v31, v38
	v_mul_f32_e32 v32, v33, v39
	v_fma_f32 v34, v39, v33, -v32
	v_fmac_f32_e32 v34, v39, v35
	v_add_f32_e32 v30, v32, v34
	v_sub_f32_e32 v33, v31, v30
	v_pk_add_f32 v[36:37], v[30:31], v[32:33] neg_lo:[0,1] neg_hi:[0,1]
	v_mov_b32_e32 v35, v30
	v_pk_add_f32 v[30:31], v[36:37], v[34:35] neg_lo:[0,1] neg_hi:[0,1]
	s_nop 0
	v_add_f32_e32 v30, v30, v31
	v_add_f32_e32 v30, v33, v30
	v_mul_f32_e32 v31, v38, v30
	v_add_f32_e32 v30, v39, v31
	v_sub_f32_e32 v32, v30, v39
	v_sub_f32_e32 v40, v31, v32
	v_mul_f32_e32 v31, v30, v30
	v_fma_f32 v33, v30, v30, -v31
	v_add_f32_e32 v32, v40, v40
	v_fmac_f32_e32 v33, v30, v32
	v_add_f32_e32 v32, v31, v33
	v_fmamk_f32 v34, v32, 0x3e76c4e1, v24
	v_fmaak_f32 v34, v32, v34, 0x3ecccdef
	v_sub_f32_e32 v31, v32, v31
	v_sub_f32_e32 v41, v33, v31
	v_mul_f32_e32 v31, v32, v34
	v_fma_f32 v33, v32, v34, -v31
	v_fmac_f32_e32 v33, v41, v34
	v_add_f32_e32 v34, v31, v33
	v_add_f32_e32 v35, 0x3f2aaaaa, v34
	v_sub_f32_e32 v31, v34, v31
	v_sub_f32_e32 v31, v33, v31
	v_add_f32_e32 v33, 0xbf2aaaaa, v35
	v_add_f32_e32 v31, 0x31739010, v31
	v_sub_f32_e32 v33, v34, v33
	v_pk_mul_f32 v[36:37], v[30:31], v[32:33]
	v_pk_add_f32 v[38:39], v[30:31], v[32:33]
	v_fma_f32 v34, v32, v30, -v36
	v_fmac_f32_e32 v34, v32, v40
	v_mov_b32_e32 v37, v39
	v_fmac_f32_e32 v34, v41, v30
	v_pk_add_f32 v[32:33], v[36:37], v[34:35]
	v_ldexp_f32 v42, v40, 1
	v_sub_f32_e32 v31, v32, v36
	v_sub_f32_e32 v31, v34, v31
	;; [unrolled: 1-line block ×3, first 2 shown]
	v_add_f32_e32 v38, v39, v34
	v_pk_mul_f32 v[34:35], v[32:33], v[32:33] op_sel:[0,1] op_sel_hi:[1,0]
	v_cvt_f64_f32_e64 v[36:37], |v45|
	v_frexp_exp_i32_f64_e32 v35, v[36:37]
	v_subbrev_co_u32_e64 v35, s[4:5], 0, v35, s[4:5]
	v_cvt_f32_i32_e32 v35, v35
	v_fma_f32 v36, v32, v33, -v34
	v_fmac_f32_e32 v36, v32, v38
	v_fmac_f32_e32 v36, v31, v33
	v_mul_f32_e32 v32, 0x3f317218, v35
	v_fma_f32 v38, v35, s46, -v32
	v_fmac_f32_e32 v38, 0xb102e308, v35
	v_ldexp_f32 v39, v30, 1
	v_add_f32_e32 v33, v34, v36
	v_pk_add_f32 v[30:31], v[32:33], v[38:39]
	v_mov_b32_e32 v40, v33
	v_mov_b32_e32 v41, v31
	v_mov_b32_e32 v35, v39
	v_pk_add_f32 v[34:35], v[40:41], v[34:35] neg_lo:[0,1] neg_hi:[0,1]
	v_mov_b32_e32 v37, v33
	v_pk_add_f32 v[34:35], v[36:37], v[34:35] neg_lo:[0,1] neg_hi:[0,1]
	v_mov_b32_e32 v39, v30
	v_add_f32_e32 v33, v42, v34
	v_add_f32_e32 v33, v33, v35
	v_pk_add_f32 v[34:35], v[30:31], v[32:33] neg_lo:[0,1] neg_hi:[0,1]
	v_pk_add_f32 v[36:37], v[30:31], v[32:33]
	v_mov_b32_e32 v32, v33
	v_mov_b32_e32 v35, v37
	v_pk_add_f32 v[40:41], v[38:39], v[34:35] neg_lo:[0,1] neg_hi:[0,1]
	v_pk_add_f32 v[34:35], v[38:39], v[34:35]
	v_mov_b32_e32 v33, v30
	v_pk_add_f32 v[38:39], v[34:35], v[30:31] op_sel:[1,0] op_sel_hi:[0,1] neg_lo:[0,1] neg_hi:[0,1]
	v_pk_add_f32 v[42:43], v[36:37], v[38:39] op_sel_hi:[1,0] neg_lo:[0,1] neg_hi:[0,1]
	v_mov_b32_e32 v36, v37
	v_mov_b32_e32 v37, v35
	v_pk_mov_b32 v[38:39], v[30:31], v[38:39] op_sel:[1,0]
	v_mov_b32_e32 v42, v40
	v_pk_add_f32 v[36:37], v[36:37], v[38:39] neg_lo:[0,1] neg_hi:[0,1]
	v_mov_b32_e32 v41, v35
	v_pk_add_f32 v[30:31], v[32:33], v[36:37] neg_lo:[0,1] neg_hi:[0,1]
	s_nop 0
	v_pk_add_f32 v[32:33], v[42:43], v[30:31]
	s_nop 0
	v_pk_add_f32 v[36:37], v[32:33], v[32:33] op_sel:[0,1] op_sel_hi:[1,0]
	s_nop 0
	v_pk_add_f32 v[34:35], v[34:35], v[36:37] op_sel:[1,0] op_sel_hi:[0,1]
	v_mov_b32_e32 v33, v34
	v_pk_add_f32 v[38:39], v[32:33], v[40:41] neg_lo:[0,1] neg_hi:[0,1]
	v_mov_b32_e32 v31, v36
	v_sub_f32_e32 v32, v32, v38
	v_pk_add_f32 v[30:31], v[30:31], v[38:39] neg_lo:[0,1] neg_hi:[0,1]
	v_sub_f32_e32 v32, v40, v32
	v_add_f32_e32 v30, v30, v32
	v_add_f32_e32 v30, v30, v31
	;; [unrolled: 1-line block ×3, first 2 shown]
	v_sub_f32_e32 v32, v31, v34
	v_sub_f32_e32 v30, v30, v32
	v_mul_f32_e32 v32, v44, v31
	v_fma_f32 v31, v44, v31, -v32
	v_fmac_f32_e32 v31, v44, v30
	v_add_f32_e32 v30, v32, v31
	v_cmp_class_f32_e64 s[4:5], v32, s27
	v_sub_f32_e32 v33, v30, v32
	v_sub_f32_e32 v31, v31, v33
	v_cndmask_b32_e64 v30, v30, v32, s[4:5]
	v_cmp_eq_f32_e64 s[4:5], s47, v30
	s_nop 1
	v_cndmask_b32_e64 v32, 0, v26, s[4:5]
	v_sub_f32_e32 v33, v30, v32
	v_mul_f32_e32 v34, 0x3fb8aa3b, v33
	v_fma_f32 v35, v33, s49, -v34
	v_rndne_f32_e32 v36, v34
	v_fmac_f32_e32 v35, 0x32a5705f, v33
	v_sub_f32_e32 v34, v34, v36
	v_add_f32_e32 v34, v34, v35
	v_exp_f32_e32 v34, v34
	v_cvt_i32_f32_e32 v35, v36
	v_cmp_neq_f32_e64 s[4:5], |v30|, s33
	s_nop 1
	v_cndmask_b32_e64 v30, 0, v31, s[4:5]
	v_ldexp_f32 v31, v34, v35
	v_cmp_ngt_f32_e64 s[4:5], s50, v33
	v_add_f32_e32 v30, v32, v30
	s_nop 0
	v_cndmask_b32_e64 v31, 0, v31, s[4:5]
	v_cmp_nlt_f32_e64 s[4:5], s47, v33
	s_nop 1
	v_cndmask_b32_e64 v31, v25, v31, s[4:5]
	v_fma_f32 v30, v31, v30, v31
	v_cmp_class_f32_e64 s[4:5], v31, s27
	s_nop 1
	v_cndmask_b32_e64 v30, v30, v31, s[4:5]
	v_trunc_f32_e32 v31, v44
	v_cmp_eq_f32_e64 s[4:5], v31, v44
	v_mul_f32_e32 v31, 0.5, v44
	v_trunc_f32_e32 v32, v31
	v_cmp_neq_f32_e64 s[6:7], v32, v31
	s_and_b64 s[6:7], s[4:5], s[6:7]
	s_nop 0
	v_cndmask_b32_e64 v31, 1.0, v45, s[6:7]
	v_bfi_b32 v30, s44, v30, v31
	v_cndmask_b32_e64 v31, v27, v30, s[4:5]
	v_cmp_gt_f32_e64 s[4:5], 0, v45
	v_cndmask_b32_e64 v32, 0, v45, s[6:7]
	s_nop 0
	v_cndmask_b32_e64 v30, v30, v31, s[4:5]
	v_cmp_neq_f32_e64 s[4:5], v44, |v44|
	s_xor_b64 s[4:5], s[4:5], s[8:9]
	v_cmp_gt_f32_e64 s[8:9], 0, v44
	v_cndmask_b32_e64 v31, v25, 0, s[4:5]
	v_cmp_neq_f32_e64 s[4:5], |v45|, 1.0
	s_nop 1
	v_cndmask_b32_e64 v31, 1.0, v31, s[4:5]
	v_cmp_class_f32_e64 s[4:5], v44, s27
	s_nop 1
	v_cndmask_b32_e64 v30, v30, v31, s[4:5]
	v_cmp_eq_f32_e64 s[4:5], 0, v45
	s_xor_b64 s[8:9], s[8:9], s[4:5]
	v_cndmask_b32_e64 v31, v25, 0, s[8:9]
	v_bfi_b32 v31, s44, v31, v32
	s_or_b64 s[4:5], s[4:5], s[12:13]
	v_cndmask_b32_e64 v30, v30, v31, s[4:5]
	v_cmp_o_f32_e64 s[4:5], v45, v44
	s_nop 1
	v_cndmask_b32_e64 v30, v27, v30, s[4:5]
	v_cvt_f16_f32_e32 v32, v30
	v_lshl_add_u64 v[30:31], v[22:23], 0, s[18:19]
	global_store_short v[30:31], v32, off
	s_or_b64 exec, exec, s[10:11]
	s_and_saveexec_b64 s[8:9], s[2:3]
	s_cbranch_execz .LBB81_14
.LBB81_18:                              ;   in Loop: Header=BB81_4 Depth=1
	v_cndmask_b32_e64 v29, v29, 1.0, s[24:25]
	v_mov_b32_e32 v30, s48
	v_cmp_neq_f32_e64 s[2:3], 0, v29
	s_nop 1
	v_cndmask_b32_e64 v44, 1.0, v30, s[2:3]
	v_frexp_mant_f32_e64 v30, |v44|
	v_cmp_gt_f32_e64 s[2:3], s45, v30
	v_cmp_lt_f32_e64 s[6:7], |v44|, 1.0
	v_cmp_class_f32_e64 s[10:11], v44, s27
	v_cndmask_b32_e64 v31, 1.0, 2.0, s[2:3]
	v_mul_f32_e32 v30, v30, v31
	v_add_f32_e32 v33, 1.0, v30
	v_rcp_f32_e32 v38, v33
	v_add_f32_e32 v31, -1.0, v33
	v_sub_f32_e32 v35, v30, v31
	v_add_f32_e32 v31, -1.0, v30
	v_mul_f32_e32 v39, v31, v38
	v_mul_f32_e32 v32, v33, v39
	v_fma_f32 v34, v39, v33, -v32
	v_fmac_f32_e32 v34, v39, v35
	v_add_f32_e32 v30, v32, v34
	v_sub_f32_e32 v33, v31, v30
	v_pk_add_f32 v[36:37], v[30:31], v[32:33] neg_lo:[0,1] neg_hi:[0,1]
	v_mov_b32_e32 v35, v30
	v_pk_add_f32 v[30:31], v[36:37], v[34:35] neg_lo:[0,1] neg_hi:[0,1]
	s_nop 0
	v_add_f32_e32 v30, v30, v31
	v_add_f32_e32 v30, v33, v30
	v_mul_f32_e32 v31, v38, v30
	v_add_f32_e32 v30, v39, v31
	v_sub_f32_e32 v32, v30, v39
	v_sub_f32_e32 v40, v31, v32
	v_mul_f32_e32 v31, v30, v30
	v_fma_f32 v33, v30, v30, -v31
	v_add_f32_e32 v32, v40, v40
	v_fmac_f32_e32 v33, v30, v32
	v_add_f32_e32 v32, v31, v33
	v_fmamk_f32 v34, v32, 0x3e76c4e1, v24
	v_fmaak_f32 v34, v32, v34, 0x3ecccdef
	v_sub_f32_e32 v31, v32, v31
	v_sub_f32_e32 v41, v33, v31
	v_mul_f32_e32 v31, v32, v34
	v_fma_f32 v33, v32, v34, -v31
	v_fmac_f32_e32 v33, v41, v34
	v_add_f32_e32 v34, v31, v33
	v_add_f32_e32 v35, 0x3f2aaaaa, v34
	v_sub_f32_e32 v31, v34, v31
	v_sub_f32_e32 v31, v33, v31
	v_add_f32_e32 v33, 0xbf2aaaaa, v35
	v_add_f32_e32 v31, 0x31739010, v31
	v_sub_f32_e32 v33, v34, v33
	v_pk_mul_f32 v[36:37], v[30:31], v[32:33]
	v_pk_add_f32 v[38:39], v[30:31], v[32:33]
	v_fma_f32 v34, v32, v30, -v36
	v_fmac_f32_e32 v34, v32, v40
	v_mov_b32_e32 v37, v39
	v_fmac_f32_e32 v34, v41, v30
	v_pk_add_f32 v[32:33], v[36:37], v[34:35]
	v_ldexp_f32 v42, v40, 1
	v_sub_f32_e32 v31, v32, v36
	v_sub_f32_e32 v31, v34, v31
	;; [unrolled: 1-line block ×3, first 2 shown]
	v_add_f32_e32 v38, v39, v34
	v_pk_mul_f32 v[34:35], v[32:33], v[32:33] op_sel:[0,1] op_sel_hi:[1,0]
	v_cvt_f64_f32_e64 v[36:37], |v44|
	v_frexp_exp_i32_f64_e32 v35, v[36:37]
	v_subbrev_co_u32_e64 v35, s[2:3], 0, v35, s[2:3]
	v_cvt_f32_i32_e32 v35, v35
	v_fma_f32 v36, v32, v33, -v34
	v_fmac_f32_e32 v36, v32, v38
	v_fmac_f32_e32 v36, v31, v33
	v_mul_f32_e32 v32, 0x3f317218, v35
	v_fma_f32 v38, v35, s46, -v32
	v_fmac_f32_e32 v38, 0xb102e308, v35
	v_ldexp_f32 v39, v30, 1
	v_add_f32_e32 v33, v34, v36
	v_pk_add_f32 v[30:31], v[32:33], v[38:39]
	v_mov_b32_e32 v40, v33
	v_mov_b32_e32 v41, v31
	;; [unrolled: 1-line block ×3, first 2 shown]
	v_pk_add_f32 v[34:35], v[40:41], v[34:35] neg_lo:[0,1] neg_hi:[0,1]
	v_mov_b32_e32 v37, v33
	v_pk_add_f32 v[34:35], v[36:37], v[34:35] neg_lo:[0,1] neg_hi:[0,1]
	v_mov_b32_e32 v39, v30
	v_add_f32_e32 v33, v42, v34
	v_add_f32_e32 v33, v33, v35
	v_pk_add_f32 v[34:35], v[30:31], v[32:33] neg_lo:[0,1] neg_hi:[0,1]
	v_pk_add_f32 v[36:37], v[30:31], v[32:33]
	v_mov_b32_e32 v32, v33
	v_mov_b32_e32 v35, v37
	v_pk_add_f32 v[40:41], v[38:39], v[34:35] neg_lo:[0,1] neg_hi:[0,1]
	v_pk_add_f32 v[34:35], v[38:39], v[34:35]
	v_mov_b32_e32 v33, v30
	v_pk_add_f32 v[38:39], v[34:35], v[30:31] op_sel:[1,0] op_sel_hi:[0,1] neg_lo:[0,1] neg_hi:[0,1]
	v_pk_add_f32 v[42:43], v[36:37], v[38:39] op_sel_hi:[1,0] neg_lo:[0,1] neg_hi:[0,1]
	v_mov_b32_e32 v36, v37
	v_mov_b32_e32 v37, v35
	v_pk_mov_b32 v[38:39], v[30:31], v[38:39] op_sel:[1,0]
	v_mov_b32_e32 v42, v40
	v_pk_add_f32 v[36:37], v[36:37], v[38:39] neg_lo:[0,1] neg_hi:[0,1]
	v_mov_b32_e32 v41, v35
	v_pk_add_f32 v[30:31], v[32:33], v[36:37] neg_lo:[0,1] neg_hi:[0,1]
	s_nop 0
	v_pk_add_f32 v[32:33], v[42:43], v[30:31]
	s_nop 0
	v_pk_add_f32 v[36:37], v[32:33], v[32:33] op_sel:[0,1] op_sel_hi:[1,0]
	s_nop 0
	v_pk_add_f32 v[34:35], v[34:35], v[36:37] op_sel:[1,0] op_sel_hi:[0,1]
	v_mov_b32_e32 v33, v34
	v_pk_add_f32 v[38:39], v[32:33], v[40:41] neg_lo:[0,1] neg_hi:[0,1]
	v_mov_b32_e32 v31, v36
	v_sub_f32_e32 v32, v32, v38
	v_pk_add_f32 v[30:31], v[30:31], v[38:39] neg_lo:[0,1] neg_hi:[0,1]
	v_sub_f32_e32 v32, v40, v32
	v_add_f32_e32 v30, v30, v32
	v_add_f32_e32 v30, v30, v31
	;; [unrolled: 1-line block ×3, first 2 shown]
	v_sub_f32_e32 v32, v31, v34
	v_sub_f32_e32 v30, v30, v32
	v_mul_f32_e32 v32, v29, v31
	v_fma_f32 v31, v29, v31, -v32
	v_fmac_f32_e32 v31, v29, v30
	v_add_f32_e32 v30, v32, v31
	v_cmp_class_f32_e64 s[2:3], v32, s27
	v_sub_f32_e32 v33, v30, v32
	v_sub_f32_e32 v31, v31, v33
	v_cndmask_b32_e64 v30, v30, v32, s[2:3]
	v_cmp_eq_f32_e64 s[2:3], s47, v30
	s_nop 1
	v_cndmask_b32_e64 v32, 0, v26, s[2:3]
	v_sub_f32_e32 v33, v30, v32
	v_mul_f32_e32 v34, 0x3fb8aa3b, v33
	v_fma_f32 v35, v33, s49, -v34
	v_rndne_f32_e32 v36, v34
	v_fmac_f32_e32 v35, 0x32a5705f, v33
	v_sub_f32_e32 v34, v34, v36
	v_add_f32_e32 v34, v34, v35
	v_exp_f32_e32 v34, v34
	v_cvt_i32_f32_e32 v35, v36
	v_cmp_neq_f32_e64 s[2:3], |v30|, s33
	s_nop 1
	v_cndmask_b32_e64 v30, 0, v31, s[2:3]
	v_ldexp_f32 v31, v34, v35
	v_cmp_ngt_f32_e64 s[2:3], s50, v33
	v_add_f32_e32 v30, v32, v30
	s_nop 0
	v_cndmask_b32_e64 v31, 0, v31, s[2:3]
	v_cmp_nlt_f32_e64 s[2:3], s47, v33
	s_nop 1
	v_cndmask_b32_e64 v31, v25, v31, s[2:3]
	v_fma_f32 v30, v31, v30, v31
	v_cmp_class_f32_e64 s[2:3], v31, s27
	s_nop 1
	v_cndmask_b32_e64 v30, v30, v31, s[2:3]
	v_trunc_f32_e32 v31, v29
	v_cmp_eq_f32_e64 s[2:3], v31, v29
	v_mul_f32_e32 v31, 0.5, v29
	v_trunc_f32_e32 v32, v31
	v_cmp_neq_f32_e64 s[4:5], v32, v31
	s_and_b64 s[4:5], s[2:3], s[4:5]
	s_nop 0
	v_cndmask_b32_e64 v31, 1.0, v44, s[4:5]
	v_bfi_b32 v30, s44, v30, v31
	v_cndmask_b32_e64 v31, v27, v30, s[2:3]
	v_cmp_gt_f32_e64 s[2:3], 0, v44
	v_cndmask_b32_e64 v32, 0, v44, s[4:5]
	s_nop 0
	v_cndmask_b32_e64 v30, v30, v31, s[2:3]
	v_cmp_neq_f32_e64 s[2:3], v29, |v29|
	s_xor_b64 s[2:3], s[2:3], s[6:7]
	v_cmp_gt_f32_e64 s[6:7], 0, v29
	v_cndmask_b32_e64 v31, v25, 0, s[2:3]
	v_cmp_neq_f32_e64 s[2:3], |v44|, 1.0
	s_nop 1
	v_cndmask_b32_e64 v31, 1.0, v31, s[2:3]
	v_cmp_class_f32_e64 s[2:3], v29, s27
	s_nop 1
	v_cndmask_b32_e64 v30, v30, v31, s[2:3]
	v_cmp_eq_f32_e64 s[2:3], 0, v44
	s_xor_b64 s[6:7], s[6:7], s[2:3]
	v_cndmask_b32_e64 v31, v25, 0, s[6:7]
	v_bfi_b32 v31, s44, v31, v32
	s_or_b64 s[2:3], s[2:3], s[10:11]
	v_cndmask_b32_e64 v30, v30, v31, s[2:3]
	v_cmp_o_f32_e64 s[2:3], v44, v29
	s_nop 1
	v_cndmask_b32_e64 v29, v27, v30, s[2:3]
	v_cvt_f16_f32_e32 v29, v29
	v_lshl_add_u64 v[30:31], v[14:15], 0, s[18:19]
	global_store_short v[30:31], v29, off
	s_or_b64 exec, exec, s[8:9]
	s_and_saveexec_b64 s[6:7], vcc
	s_cbranch_execz .LBB81_3
.LBB81_19:                              ;   in Loop: Header=BB81_4 Depth=1
	v_cndmask_b32_e64 v42, v28, 1.0, s[24:25]
	v_mov_b32_e32 v28, s48
	v_cmp_neq_f32_e32 vcc, 0, v42
	v_cmp_neq_f32_e64 s[4:5], v42, |v42|
	s_nop 0
	v_cndmask_b32_e32 v43, 1.0, v28, vcc
	v_frexp_mant_f32_e64 v28, |v43|
	v_cmp_gt_f32_e32 vcc, s45, v28
	v_cmp_lt_f32_e64 s[8:9], |v43|, 1.0
	s_xor_b64 s[4:5], s[4:5], s[8:9]
	v_cndmask_b32_e64 v29, 1.0, 2.0, vcc
	v_mul_f32_e32 v28, v28, v29
	v_add_f32_e32 v31, 1.0, v28
	v_rcp_f32_e32 v36, v31
	v_add_f32_e32 v29, -1.0, v31
	v_sub_f32_e32 v33, v28, v29
	v_add_f32_e32 v29, -1.0, v28
	v_mul_f32_e32 v37, v29, v36
	v_mul_f32_e32 v30, v31, v37
	v_fma_f32 v32, v37, v31, -v30
	v_fmac_f32_e32 v32, v37, v33
	v_add_f32_e32 v28, v30, v32
	v_sub_f32_e32 v31, v29, v28
	v_pk_add_f32 v[34:35], v[28:29], v[30:31] neg_lo:[0,1] neg_hi:[0,1]
	v_mov_b32_e32 v33, v28
	v_pk_add_f32 v[28:29], v[34:35], v[32:33] neg_lo:[0,1] neg_hi:[0,1]
	v_cmp_class_f32_e64 s[8:9], v43, s27
	v_add_f32_e32 v28, v28, v29
	v_add_f32_e32 v28, v31, v28
	v_mul_f32_e32 v29, v36, v28
	v_add_f32_e32 v28, v37, v29
	v_sub_f32_e32 v30, v28, v37
	v_sub_f32_e32 v38, v29, v30
	v_mul_f32_e32 v29, v28, v28
	v_fma_f32 v31, v28, v28, -v29
	v_add_f32_e32 v30, v38, v38
	v_fmac_f32_e32 v31, v28, v30
	v_add_f32_e32 v30, v29, v31
	v_fmamk_f32 v32, v30, 0x3e76c4e1, v24
	v_fmaak_f32 v32, v30, v32, 0x3ecccdef
	v_sub_f32_e32 v29, v30, v29
	v_sub_f32_e32 v39, v31, v29
	v_mul_f32_e32 v29, v30, v32
	v_fma_f32 v31, v30, v32, -v29
	v_fmac_f32_e32 v31, v39, v32
	v_add_f32_e32 v32, v29, v31
	v_add_f32_e32 v33, 0x3f2aaaaa, v32
	v_sub_f32_e32 v29, v32, v29
	v_sub_f32_e32 v29, v31, v29
	v_add_f32_e32 v31, 0xbf2aaaaa, v33
	v_add_f32_e32 v29, 0x31739010, v29
	v_sub_f32_e32 v31, v32, v31
	v_pk_mul_f32 v[34:35], v[28:29], v[30:31]
	v_pk_add_f32 v[36:37], v[28:29], v[30:31]
	v_fma_f32 v32, v30, v28, -v34
	v_fmac_f32_e32 v32, v30, v38
	v_mov_b32_e32 v35, v37
	v_fmac_f32_e32 v32, v39, v28
	v_pk_add_f32 v[30:31], v[34:35], v[32:33]
	v_ldexp_f32 v40, v38, 1
	v_sub_f32_e32 v29, v30, v34
	v_sub_f32_e32 v29, v32, v29
	;; [unrolled: 1-line block ×3, first 2 shown]
	v_add_f32_e32 v36, v37, v32
	v_pk_mul_f32 v[32:33], v[30:31], v[30:31] op_sel:[0,1] op_sel_hi:[1,0]
	v_cvt_f64_f32_e64 v[34:35], |v43|
	v_frexp_exp_i32_f64_e32 v33, v[34:35]
	v_subbrev_co_u32_e32 v33, vcc, 0, v33, vcc
	v_cvt_f32_i32_e32 v33, v33
	v_fma_f32 v34, v30, v31, -v32
	v_fmac_f32_e32 v34, v30, v36
	v_fmac_f32_e32 v34, v29, v31
	v_mul_f32_e32 v30, 0x3f317218, v33
	v_fma_f32 v36, v33, s46, -v30
	v_fmac_f32_e32 v36, 0xb102e308, v33
	v_ldexp_f32 v37, v28, 1
	v_add_f32_e32 v31, v32, v34
	v_pk_add_f32 v[28:29], v[30:31], v[36:37]
	v_mov_b32_e32 v38, v31
	v_mov_b32_e32 v39, v29
	;; [unrolled: 1-line block ×3, first 2 shown]
	v_pk_add_f32 v[32:33], v[38:39], v[32:33] neg_lo:[0,1] neg_hi:[0,1]
	v_mov_b32_e32 v35, v31
	v_pk_add_f32 v[32:33], v[34:35], v[32:33] neg_lo:[0,1] neg_hi:[0,1]
	v_mov_b32_e32 v37, v28
	v_add_f32_e32 v31, v40, v32
	v_add_f32_e32 v31, v31, v33
	v_pk_add_f32 v[32:33], v[28:29], v[30:31] neg_lo:[0,1] neg_hi:[0,1]
	v_pk_add_f32 v[34:35], v[28:29], v[30:31]
	v_mov_b32_e32 v30, v31
	v_mov_b32_e32 v33, v35
	v_pk_add_f32 v[38:39], v[36:37], v[32:33] neg_lo:[0,1] neg_hi:[0,1]
	v_pk_add_f32 v[32:33], v[36:37], v[32:33]
	v_mov_b32_e32 v31, v28
	v_pk_add_f32 v[36:37], v[32:33], v[28:29] op_sel:[1,0] op_sel_hi:[0,1] neg_lo:[0,1] neg_hi:[0,1]
	v_pk_add_f32 v[40:41], v[34:35], v[36:37] op_sel_hi:[1,0] neg_lo:[0,1] neg_hi:[0,1]
	v_mov_b32_e32 v34, v35
	v_mov_b32_e32 v35, v33
	v_pk_mov_b32 v[36:37], v[28:29], v[36:37] op_sel:[1,0]
	v_mov_b32_e32 v40, v38
	v_pk_add_f32 v[34:35], v[34:35], v[36:37] neg_lo:[0,1] neg_hi:[0,1]
	v_mov_b32_e32 v39, v33
	v_pk_add_f32 v[28:29], v[30:31], v[34:35] neg_lo:[0,1] neg_hi:[0,1]
	s_nop 0
	v_pk_add_f32 v[30:31], v[40:41], v[28:29]
	s_nop 0
	v_pk_add_f32 v[34:35], v[30:31], v[30:31] op_sel:[0,1] op_sel_hi:[1,0]
	s_nop 0
	v_pk_add_f32 v[32:33], v[32:33], v[34:35] op_sel:[1,0] op_sel_hi:[0,1]
	v_mov_b32_e32 v31, v32
	v_pk_add_f32 v[36:37], v[30:31], v[38:39] neg_lo:[0,1] neg_hi:[0,1]
	v_mov_b32_e32 v29, v34
	v_sub_f32_e32 v30, v30, v36
	v_pk_add_f32 v[28:29], v[28:29], v[36:37] neg_lo:[0,1] neg_hi:[0,1]
	v_sub_f32_e32 v30, v38, v30
	v_add_f32_e32 v28, v28, v30
	v_add_f32_e32 v28, v28, v29
	;; [unrolled: 1-line block ×3, first 2 shown]
	v_sub_f32_e32 v30, v29, v32
	v_sub_f32_e32 v28, v28, v30
	v_mul_f32_e32 v30, v42, v29
	v_fma_f32 v29, v42, v29, -v30
	v_fmac_f32_e32 v29, v42, v28
	v_add_f32_e32 v28, v30, v29
	v_cmp_class_f32_e64 vcc, v30, s27
	v_sub_f32_e32 v31, v28, v30
	v_sub_f32_e32 v29, v29, v31
	v_cndmask_b32_e32 v28, v28, v30, vcc
	v_cmp_eq_f32_e32 vcc, s47, v28
	s_nop 1
	v_cndmask_b32_e32 v30, 0, v26, vcc
	v_sub_f32_e32 v31, v28, v30
	v_mul_f32_e32 v32, 0x3fb8aa3b, v31
	v_fma_f32 v33, v31, s49, -v32
	v_rndne_f32_e32 v34, v32
	v_fmac_f32_e32 v33, 0x32a5705f, v31
	v_sub_f32_e32 v32, v32, v34
	v_add_f32_e32 v32, v32, v33
	v_exp_f32_e32 v32, v32
	v_cvt_i32_f32_e32 v33, v34
	v_cmp_neq_f32_e64 vcc, |v28|, s33
	s_nop 1
	v_cndmask_b32_e32 v28, 0, v29, vcc
	v_ldexp_f32 v29, v32, v33
	v_cmp_ngt_f32_e32 vcc, s50, v31
	v_add_f32_e32 v28, v30, v28
	s_nop 0
	v_cndmask_b32_e32 v29, 0, v29, vcc
	v_cmp_nlt_f32_e32 vcc, s47, v31
	s_nop 1
	v_cndmask_b32_e32 v29, v25, v29, vcc
	v_fma_f32 v28, v29, v28, v29
	v_cmp_class_f32_e64 vcc, v29, s27
	s_nop 1
	v_cndmask_b32_e32 v28, v28, v29, vcc
	v_trunc_f32_e32 v29, v42
	v_cmp_eq_f32_e32 vcc, v29, v42
	v_mul_f32_e32 v29, 0.5, v42
	v_trunc_f32_e32 v30, v29
	v_cmp_neq_f32_e64 s[2:3], v30, v29
	s_and_b64 s[2:3], vcc, s[2:3]
	s_nop 0
	v_cndmask_b32_e64 v29, 1.0, v43, s[2:3]
	v_bfi_b32 v28, s44, v28, v29
	v_cndmask_b32_e32 v29, v27, v28, vcc
	v_cmp_gt_f32_e32 vcc, 0, v43
	v_cndmask_b32_e64 v30, 0, v43, s[2:3]
	s_nop 0
	v_cndmask_b32_e32 v28, v28, v29, vcc
	v_cndmask_b32_e64 v29, v25, 0, s[4:5]
	v_cmp_neq_f32_e64 vcc, |v43|, 1.0
	v_cmp_gt_f32_e64 s[4:5], 0, v42
	s_nop 0
	v_cndmask_b32_e32 v29, 1.0, v29, vcc
	v_cmp_class_f32_e64 vcc, v42, s27
	s_nop 1
	v_cndmask_b32_e32 v28, v28, v29, vcc
	v_cmp_eq_f32_e32 vcc, 0, v43
	s_xor_b64 s[4:5], s[4:5], vcc
	v_cndmask_b32_e64 v29, v25, 0, s[4:5]
	v_bfi_b32 v29, s44, v29, v30
	s_or_b64 vcc, vcc, s[8:9]
	v_cndmask_b32_e32 v28, v28, v29, vcc
	v_cmp_o_f32_e32 vcc, v43, v42
	s_nop 1
	v_cndmask_b32_e32 v28, v27, v28, vcc
	v_cvt_f16_f32_e32 v30, v28
	v_lshl_add_u64 v[28:29], v[8:9], 0, s[18:19]
	global_store_short v[28:29], v30, off
	s_branch .LBB81_3
.LBB81_20:
	s_mov_b64 s[6:7], 0
.LBB81_21:
	s_andn2_b64 vcc, exec, s[6:7]
	s_cbranch_vccnz .LBB81_25
; %bb.22:
	v_mov_b64_e32 v[4:5], 0x10000
	v_cmp_lt_i64_e32 vcc, s[16:17], v[4:5]
	s_and_b64 s[2:3], vcc, exec
	v_mov_b32_e32 v3, 0
	s_cselect_b32 s43, s17, 0
	s_cselect_b32 s42, s16, 0x10000
	v_lshlrev_b32_e32 v2, 2, v0
	s_mov_b32 s41, 0
	v_cmp_gt_i64_e32 vcc, s[42:43], v[2:3]
	s_and_saveexec_b64 s[2:3], vcc
	s_cbranch_execz .LBB81_25
; %bb.23:
	s_load_dword s0, s[0:1], 0xc5c
	v_mov_b32_e32 v1, v3
	v_cmp_eq_f32_e64 s[44:45], s48, 1.0
	v_lshlrev_b32_e32 v2, 3, v0
	s_mov_b64 s[46:47], 0
	s_waitcnt lgkmcnt(0)
	s_and_b32 s40, s0, 0xffff
	s_lshl_b32 s33, s40, 3
	v_mov_b32_e32 v16, s48
	s_mov_b32 s56, 0x3f2aaaab
	v_mov_b32_e32 v17, 0x3e91f4c4
	s_mov_b32 s57, 0x3f317218
	s_movk_i32 s58, 0x204
	s_mov_b32 s59, 0x7f800000
	s_mov_b32 s60, 0x42b17218
	v_mov_b32_e32 v18, 0x37000000
	s_mov_b32 s61, 0x3fb8aa3b
	s_mov_b32 s62, 0xc2ce8ed0
	v_mov_b32_e32 v19, 0x7f800000
	s_brev_b32 s63, -2
	v_mov_b32_e32 v20, 0x7fc00000
                                        ; implicit-def: $vgpr4
.LBB81_24:                              ; =>This Inner Loop Header: Depth=1
	v_lshl_add_u64 v[4:5], s[36:37], 0, v[2:3]
	global_load_dwordx2 v[6:7], v[4:5], off
	global_load_dword v7, v[4:5], off offset:2
	global_load_ushort v8, v[4:5], off offset:6
	v_lshl_add_u64 v[0:1], v[0:1], 0, s[40:41]
	v_lshlrev_b64 v[4:5], 2, v[0:1]
	v_cmp_le_i64_e32 vcc, s[42:43], v[4:5]
	s_waitcnt vmcnt(2)
	v_cvt_f32_f16_e32 v4, v6
	s_waitcnt vmcnt(1)
	v_cvt_f32_f16_e32 v5, v7
	v_cvt_f32_f16_sdwa v6, v7 dst_sel:DWORD dst_unused:UNUSED_PAD src0_sel:WORD_1
	s_waitcnt vmcnt(0)
	v_cvt_f32_f16_e32 v7, v8
	v_cndmask_b32_e64 v21, v4, 1.0, s[44:45]
	v_cndmask_b32_e64 v25, v5, 1.0, s[44:45]
	v_cmp_neq_f32_e64 s[0:1], 0, v21
	v_cndmask_b32_e64 v24, v6, 1.0, s[44:45]
	v_cndmask_b32_e64 v23, v7, 1.0, s[44:45]
	v_cndmask_b32_e64 v22, 1.0, v16, s[0:1]
	v_cmp_neq_f32_e64 s[0:1], 0, v25
	v_frexp_mant_f32_e64 v29, |v22|
	v_cmp_gt_f32_e64 s[10:11], s56, v29
	v_cndmask_b32_e64 v26, 1.0, v16, s[0:1]
	v_cmp_neq_f32_e64 s[0:1], 0, v24
	v_mul_f32_e32 v13, 0.5, v25
	v_cndmask_b32_e64 v37, 1.0, 2.0, s[10:11]
	v_cndmask_b32_e64 v27, 1.0, v16, s[0:1]
	v_cmp_neq_f32_e64 s[0:1], 0, v23
	v_frexp_mant_f32_e64 v31, |v26|
	v_trunc_f32_e32 v32, v13
	v_cndmask_b32_e64 v28, 1.0, v16, s[0:1]
	v_cvt_f64_f32_e64 v[10:11], |v28|
	v_frexp_exp_i32_f64_e32 v11, v[10:11]
	v_mul_f32_e32 v10, v29, v37
	v_cvt_f64_f32_e64 v[4:5], |v22|
	v_cvt_f64_f32_e64 v[6:7], |v26|
	v_cmp_gt_f32_e64 s[12:13], s56, v31
	v_cmp_neq_f32_e64 s[4:5], v32, v13
	v_add_f32_e32 v13, 1.0, v10
	v_mul_f32_e32 v12, 0.5, v21
	v_frexp_mant_f32_e64 v35, |v28|
	v_frexp_exp_i32_f64_e32 v4, v[4:5]
	v_cndmask_b32_e64 v5, 1.0, 2.0, s[12:13]
	v_frexp_exp_i32_f64_e32 v6, v[6:7]
	v_rcp_f32_e32 v52, v13
	v_trunc_f32_e32 v30, v12
	v_frexp_mant_f32_e64 v33, |v27|
	v_cvt_f64_f32_e64 v[8:9], |v27|
	v_cmp_gt_f32_e64 s[8:9], s56, v35
	v_subbrev_co_u32_e64 v4, s[10:11], 0, v4, s[10:11]
	v_mul_f32_e32 v5, v31, v5
	v_subbrev_co_u32_e64 v6, s[10:11], 0, v6, s[12:13]
	v_mul_f32_e32 v15, 0.5, v23
	v_cmp_neq_f32_e64 s[6:7], v30, v12
	v_cmp_gt_f32_e64 s[14:15], s56, v33
	v_frexp_exp_i32_f64_e32 v8, v[8:9]
	v_cndmask_b32_e64 v9, 1.0, 2.0, s[8:9]
	v_add_f32_e32 v29, 1.0, v5
	v_cvt_f32_i32_e32 v30, v6
	v_trunc_f32_e32 v36, v15
	v_cndmask_b32_e64 v7, 1.0, 2.0, s[14:15]
	v_mul_f32_e32 v9, v35, v9
	v_add_f32_e32 v31, -1.0, v10
	v_rcp_f32_e32 v53, v29
	v_cmp_neq_f32_e64 s[0:1], v36, v15
	v_mul_f32_e32 v7, v33, v7
	v_add_f32_e32 v36, 1.0, v9
	v_mul_f32_e32 v56, v31, v52
	v_cvt_f32_i32_e32 v15, v4
	v_add_f32_e32 v32, 1.0, v7
	v_add_f32_e32 v4, -1.0, v13
	v_add_f32_e32 v12, -1.0, v36
	v_mul_f32_e32 v38, v13, v56
	v_mul_f32_e32 v14, 0.5, v24
	v_add_f32_e32 v33, -1.0, v5
	v_add_f32_e32 v37, -1.0, v9
	;; [unrolled: 1-line block ×3, first 2 shown]
	v_rcp_f32_e32 v54, v32
	v_rcp_f32_e32 v55, v36
	v_sub_f32_e32 v39, v10, v4
	v_sub_f32_e32 v9, v9, v12
	v_mul_f32_e32 v12, 0x3f317218, v30
	v_fma_f32 v44, v56, v13, -v38
	v_trunc_f32_e32 v34, v14
	v_subbrev_co_u32_e64 v8, s[10:11], 0, v8, s[14:15]
	v_sub_f32_e32 v5, v5, v6
	v_mul_f32_e32 v57, v33, v53
	v_fma_f32 v6, v30, s57, -v12
	v_fmac_f32_e32 v44, v56, v39
	v_cmp_neq_f32_e64 s[2:3], v34, v14
	v_cvt_f32_i32_e32 v34, v8
	v_mul_f32_e32 v40, v29, v57
	v_fmac_f32_e32 v6, 0xb102e308, v30
	v_add_f32_e32 v30, v38, v44
	v_add_f32_e32 v35, -1.0, v7
	v_fma_f32 v46, v57, v29, -v40
	v_sub_f32_e32 v39, v31, v30
	v_mul_f32_e32 v58, v35, v54
	v_fmac_f32_e32 v46, v57, v5
	v_mul_f32_e32 v5, v37, v55
	v_mov_b32_e32 v45, v30
	v_pk_add_f32 v[30:31], v[30:31], v[38:39] neg_lo:[0,1] neg_hi:[0,1]
	v_add_f32_e32 v8, -1.0, v32
	v_mul_f32_e32 v42, v32, v58
	v_pk_add_f32 v[30:31], v[30:31], v[44:45] neg_lo:[0,1] neg_hi:[0,1]
	v_mul_f32_e32 v44, v36, v5
	v_sub_f32_e32 v7, v7, v8
	v_mul_f32_e32 v10, 0x3f317218, v34
	v_fma_f32 v48, v58, v32, -v42
	v_fma_f32 v50, v5, v36, -v44
	;; [unrolled: 1-line block ×3, first 2 shown]
	v_fmac_f32_e32 v48, v58, v7
	v_fmac_f32_e32 v50, v5, v9
	;; [unrolled: 1-line block ×3, first 2 shown]
	v_add_f32_e32 v34, v42, v48
	v_add_f32_e32 v36, v44, v50
	;; [unrolled: 1-line block ×3, first 2 shown]
	v_sub_f32_e32 v43, v35, v34
	v_sub_f32_e32 v45, v37, v36
	v_mul_f32_e32 v14, 0x3f317218, v15
	v_sub_f32_e32 v41, v33, v32
	v_mov_b32_e32 v49, v34
	v_mov_b32_e32 v51, v36
	v_pk_add_f32 v[34:35], v[34:35], v[42:43] neg_lo:[0,1] neg_hi:[0,1]
	v_pk_add_f32 v[36:37], v[36:37], v[44:45] neg_lo:[0,1] neg_hi:[0,1]
	v_fma_f32 v8, v15, s57, -v14
	v_mov_b32_e32 v47, v32
	v_pk_add_f32 v[32:33], v[32:33], v[40:41] neg_lo:[0,1] neg_hi:[0,1]
	v_pk_add_f32 v[34:35], v[34:35], v[48:49] neg_lo:[0,1] neg_hi:[0,1]
	;; [unrolled: 1-line block ×3, first 2 shown]
	v_add_f32_e32 v7, v30, v31
	v_fmac_f32_e32 v8, 0xb102e308, v15
	v_pk_add_f32 v[32:33], v[32:33], v[46:47] neg_lo:[0,1] neg_hi:[0,1]
	v_add_f32_e32 v13, v34, v35
	v_add_f32_e32 v15, v36, v37
	;; [unrolled: 1-line block ×6, first 2 shown]
	v_mul_f32_e32 v7, v52, v7
	v_add_f32_e32 v9, v41, v9
	v_mul_f32_e32 v13, v54, v13
	v_mul_f32_e32 v15, v55, v15
	v_add_f32_e32 v30, v56, v7
	v_mul_f32_e32 v29, v53, v9
	v_add_f32_e32 v34, v58, v13
	v_add_f32_e32 v36, v5, v15
	v_sub_f32_e32 v31, v30, v56
	v_add_f32_e32 v32, v57, v29
	v_mul_f32_e32 v33, v30, v30
	v_sub_f32_e32 v38, v34, v58
	v_sub_f32_e32 v5, v36, v5
	;; [unrolled: 1-line block ×4, first 2 shown]
	v_mul_f32_e32 v41, v36, v36
	v_fma_f32 v7, v30, v30, -v33
	v_sub_f32_e32 v13, v13, v38
	v_sub_f32_e32 v15, v15, v5
	v_add_f32_e32 v38, v58, v58
	v_mul_f32_e32 v37, v32, v32
	v_sub_f32_e32 v29, v29, v35
	v_fma_f32 v5, v36, v36, -v41
	v_add_f32_e32 v43, v15, v15
	v_fmac_f32_e32 v7, v30, v38
	v_fma_f32 v31, v32, v32, -v37
	v_add_f32_e32 v40, v29, v29
	v_fmac_f32_e32 v5, v36, v43
	v_add_f32_e32 v38, v33, v7
	v_mul_f32_e32 v39, v34, v34
	v_fmac_f32_e32 v31, v32, v40
	v_add_f32_e32 v44, v41, v5
	v_fmamk_f32 v43, v38, 0x3e76c4e1, v17
	v_fma_f32 v35, v34, v34, -v39
	v_add_f32_e32 v42, v13, v13
	v_add_f32_e32 v40, v37, v31
	v_sub_f32_e32 v41, v44, v41
	v_fmaak_f32 v43, v38, v43, 0x3ecccdef
	v_fmac_f32_e32 v35, v34, v42
	v_sub_f32_e32 v33, v38, v33
	v_sub_f32_e32 v37, v40, v37
	;; [unrolled: 1-line block ×3, first 2 shown]
	v_mul_f32_e32 v5, v38, v43
	v_add_f32_e32 v42, v39, v35
	v_sub_f32_e32 v7, v7, v33
	v_sub_f32_e32 v37, v31, v37
	v_fma_f32 v31, v38, v43, -v5
	v_sub_f32_e32 v39, v42, v39
	v_fmac_f32_e32 v31, v7, v43
	v_sub_f32_e32 v54, v35, v39
	v_add_f32_e32 v35, v5, v31
	v_sub_f32_e32 v5, v35, v5
	v_sub_f32_e32 v5, v31, v5
	v_add_f32_e32 v47, 0x3f2aaaaa, v35
	v_add_f32_e32 v31, 0x31739010, v5
	;; [unrolled: 1-line block ×3, first 2 shown]
	v_sub_f32_e32 v39, v35, v5
	v_pk_mul_f32 v[48:49], v[30:31], v[38:39]
	v_fmamk_f32 v45, v40, 0x3e76c4e1, v17
	v_fma_f32 v46, v38, v30, -v48
	v_fmamk_f32 v33, v42, 0x3e76c4e1, v17
	v_fmaak_f32 v45, v40, v45, 0x3ecccdef
	v_fmac_f32_e32 v46, v38, v58
	v_ldexp_f32 v9, v30, 1
	v_fmaak_f32 v33, v42, v33, 0x3ecccdef
	v_fmac_f32_e32 v46, v7, v30
	v_mul_f32_e32 v5, v40, v45
	v_pk_add_f32 v[30:31], v[30:31], v[38:39]
	v_mul_f32_e32 v7, v42, v33
	v_fma_f32 v30, v40, v45, -v5
	v_fmac_f32_e32 v30, v37, v45
	v_fma_f32 v35, v42, v33, -v7
	v_fmac_f32_e32 v35, v54, v33
	v_add_f32_e32 v33, v5, v30
	v_add_f32_e32 v39, 0x3f2aaaaa, v33
	;; [unrolled: 1-line block ×3, first 2 shown]
	v_sub_f32_e32 v41, v33, v38
	v_sub_f32_e32 v5, v33, v5
	v_add_f32_e32 v33, v7, v35
	v_add_f32_e32 v51, 0x3f2aaaaa, v33
	;; [unrolled: 1-line block ×3, first 2 shown]
	v_sub_f32_e32 v5, v30, v5
	v_sub_f32_e32 v43, v33, v38
	v_sub_f32_e32 v7, v33, v7
	v_add_f32_e32 v33, 0x31739010, v5
	v_pk_mul_f32 v[52:53], v[32:33], v[40:41]
	v_sub_f32_e32 v7, v35, v7
	v_fma_f32 v38, v40, v32, -v52
	v_add_f32_e32 v35, 0x31739010, v7
	v_fmac_f32_e32 v38, v40, v29
	v_fmac_f32_e32 v38, v37, v32
	v_ldexp_f32 v7, v32, 1
	v_pk_add_f32 v[32:33], v[32:33], v[40:41]
	v_pk_mul_f32 v[40:41], v[34:35], v[42:43]
	v_fmamk_f32 v30, v44, 0x3e76c4e1, v17
	v_fma_f32 v50, v42, v34, -v40
	v_fmac_f32_e32 v50, v42, v13
	v_fmaak_f32 v30, v44, v30, 0x3ecccdef
	v_ldexp_f32 v5, v34, 1
	v_fmac_f32_e32 v50, v54, v34
	v_pk_add_f32 v[34:35], v[34:35], v[42:43]
	v_mul_f32_e32 v32, v44, v30
	v_fma_f32 v34, v44, v30, -v32
	v_fmac_f32_e32 v34, v56, v30
	v_add_f32_e32 v30, v32, v34
	v_add_f32_e32 v43, 0x3f2aaaaa, v30
	;; [unrolled: 1-line block ×3, first 2 shown]
	v_sub_f32_e32 v45, v30, v37
	v_sub_f32_e32 v30, v30, v32
	;; [unrolled: 1-line block ×3, first 2 shown]
	v_add_f32_e32 v37, 0x31739010, v30
	v_pk_mul_f32 v[54:55], v[36:37], v[44:45]
	v_subbrev_co_u32_e64 v11, s[8:9], 0, v11, s[8:9]
	v_fma_f32 v42, v44, v36, -v54
	v_fmac_f32_e32 v42, v44, v15
	v_mov_b32_e32 v49, v31
	v_cvt_f32_i32_e32 v11, v11
	v_fmac_f32_e32 v42, v56, v36
	v_pk_add_f32 v[56:57], v[48:49], v[46:47]
	v_mov_b32_e32 v53, v33
	v_sub_f32_e32 v30, v56, v48
	v_sub_f32_e32 v48, v46, v30
	;; [unrolled: 1-line block ×3, first 2 shown]
	v_add_f32_e32 v31, v31, v30
	v_mul_f32_e32 v30, 0x3f317218, v11
	v_pk_add_f32 v[44:45], v[36:37], v[44:45]
	v_ldexp_f32 v37, v36, 1
	v_fma_f32 v36, v11, s57, -v30
	v_pk_add_f32 v[46:47], v[52:53], v[38:39]
	v_fmac_f32_e32 v36, 0xb102e308, v11
	v_sub_f32_e32 v11, v46, v52
	v_mov_b32_e32 v41, v35
	v_sub_f32_e32 v32, v39, v47
	v_mov_b32_e32 v55, v45
	v_sub_f32_e32 v11, v38, v11
	v_pk_add_f32 v[38:39], v[40:41], v[50:51]
	v_ldexp_f32 v59, v13, 1
	v_add_f32_e32 v13, v33, v32
	v_pk_add_f32 v[32:33], v[54:55], v[42:43]
	v_sub_f32_e32 v34, v38, v40
	v_ldexp_f32 v60, v15, 1
	v_sub_f32_e32 v15, v32, v54
	v_sub_f32_e32 v44, v51, v39
	v_pk_mul_f32 v[40:41], v[56:57], v[56:57] op_sel:[0,1] op_sel_hi:[1,0]
	v_sub_f32_e32 v49, v50, v34
	v_add_f32_e32 v52, v35, v44
	v_pk_mul_f32 v[34:35], v[46:47], v[46:47] op_sel:[0,1] op_sel_hi:[1,0]
	v_sub_f32_e32 v15, v42, v15
	v_fma_f32 v42, v56, v57, -v40
	v_sub_f32_e32 v35, v43, v33
	v_fmac_f32_e32 v42, v56, v31
	v_add_f32_e32 v43, v45, v35
	v_pk_mul_f32 v[44:45], v[38:39], v[38:39] op_sel:[0,1] op_sel_hi:[1,0]
	v_fmac_f32_e32 v42, v48, v57
	v_fma_f32 v48, v46, v47, -v34
	v_fmac_f32_e32 v48, v46, v13
	v_pk_mul_f32 v[50:51], v[32:33], v[32:33] op_sel:[0,1] op_sel_hi:[1,0]
	v_fma_f32 v46, v38, v39, -v44
	v_fmac_f32_e32 v46, v38, v52
	v_fma_f32 v38, v32, v33, -v50
	v_fmac_f32_e32 v38, v32, v43
	v_fmac_f32_e32 v38, v15, v33
	v_add_f32_e32 v15, v40, v42
	v_pk_add_f32 v[32:33], v[14:15], v[8:9]
	v_mov_b32_e32 v41, v9
	v_fmac_f32_e32 v48, v11, v47
	v_mov_b32_e32 v52, v15
	v_mov_b32_e32 v53, v33
	v_fmac_f32_e32 v46, v49, v39
	v_add_f32_e32 v13, v34, v48
	v_mov_b32_e32 v43, v15
	v_pk_add_f32 v[40:41], v[52:53], v[40:41] neg_lo:[0,1] neg_hi:[0,1]
	v_ldexp_f32 v58, v58, 1
	v_add_f32_e32 v11, v44, v46
	v_add_f32_e32 v31, v50, v38
	v_pk_add_f32 v[54:55], v[12:13], v[6:7]
	v_pk_add_f32 v[40:41], v[42:43], v[40:41] neg_lo:[0,1] neg_hi:[0,1]
	v_mov_b32_e32 v35, v7
	v_mov_b32_e32 v45, v5
	;; [unrolled: 1-line block ×3, first 2 shown]
	v_pk_add_f32 v[42:43], v[10:11], v[4:5]
	v_add_f32_e32 v5, v58, v40
	v_pk_add_f32 v[56:57], v[30:31], v[36:37]
	v_mov_b32_e32 v53, v55
	v_mov_b32_e32 v51, v37
	v_add_f32_e32 v15, v5, v41
	v_mov_b32_e32 v40, v11
	v_pk_add_f32 v[34:35], v[52:53], v[34:35] neg_lo:[0,1] neg_hi:[0,1]
	v_mov_b32_e32 v52, v31
	v_mov_b32_e32 v41, v43
	;; [unrolled: 1-line block ×6, first 2 shown]
	v_pk_add_f32 v[40:41], v[40:41], v[44:45] neg_lo:[0,1] neg_hi:[0,1]
	v_pk_add_f32 v[50:51], v[52:53], v[50:51] neg_lo:[0,1] neg_hi:[0,1]
	v_ldexp_f32 v29, v29, 1
	v_pk_add_f32 v[34:35], v[48:49], v[34:35] neg_lo:[0,1] neg_hi:[0,1]
	v_pk_add_f32 v[40:41], v[46:47], v[40:41] neg_lo:[0,1] neg_hi:[0,1]
	;; [unrolled: 1-line block ×3, first 2 shown]
	v_add_f32_e32 v11, v29, v34
	v_add_f32_e32 v29, v59, v40
	;; [unrolled: 1-line block ×6, first 2 shown]
	v_pk_add_f32 v[34:35], v[32:33], v[14:15] neg_lo:[0,1] neg_hi:[0,1]
	v_pk_add_f32 v[38:39], v[32:33], v[14:15]
	v_mov_b32_e32 v9, v32
	v_mov_b32_e32 v44, v15
	v_pk_add_f32 v[14:15], v[54:55], v[12:13] neg_lo:[0,1] neg_hi:[0,1]
	v_pk_add_f32 v[40:41], v[54:55], v[12:13]
	v_mov_b32_e32 v52, v13
	v_pk_add_f32 v[12:13], v[42:43], v[10:11] neg_lo:[0,1] neg_hi:[0,1]
	v_pk_add_f32 v[50:51], v[42:43], v[10:11]
	v_mov_b32_e32 v35, v39
	v_mov_b32_e32 v7, v54
	;; [unrolled: 1-line block ×4, first 2 shown]
	v_pk_add_f32 v[10:11], v[56:57], v[30:31] neg_lo:[0,1] neg_hi:[0,1]
	v_pk_add_f32 v[58:59], v[56:57], v[30:31]
	v_mov_b32_e32 v46, v31
	v_mov_b32_e32 v15, v41
	;; [unrolled: 1-line block ×3, first 2 shown]
	v_pk_add_f32 v[30:31], v[8:9], v[34:35] neg_lo:[0,1] neg_hi:[0,1]
	v_pk_add_f32 v[8:9], v[8:9], v[34:35]
	v_mov_b32_e32 v37, v56
	v_mov_b32_e32 v11, v59
	v_pk_add_f32 v[34:35], v[6:7], v[14:15] neg_lo:[0,1] neg_hi:[0,1]
	v_pk_add_f32 v[6:7], v[6:7], v[14:15]
	v_pk_add_f32 v[14:15], v[4:5], v[12:13] neg_lo:[0,1] neg_hi:[0,1]
	v_pk_add_f32 v[12:13], v[4:5], v[12:13]
	v_pk_add_f32 v[4:5], v[8:9], v[32:33] op_sel:[1,0] op_sel_hi:[0,1] neg_lo:[0,1] neg_hi:[0,1]
	v_mov_b32_e32 v45, v32
	v_pk_add_f32 v[60:61], v[36:37], v[10:11] neg_lo:[0,1] neg_hi:[0,1]
	v_pk_add_f32 v[10:11], v[36:37], v[10:11]
	v_pk_mov_b32 v[32:33], v[32:33], v[4:5] op_sel:[1,0]
	v_pk_add_f32 v[36:37], v[38:39], v[4:5] op_sel_hi:[1,0] neg_lo:[0,1] neg_hi:[0,1]
	v_mov_b32_e32 v4, v39
	v_mov_b32_e32 v5, v9
	v_pk_add_f32 v[32:33], v[4:5], v[32:33] neg_lo:[0,1] neg_hi:[0,1]
	v_pk_add_f32 v[4:5], v[6:7], v[54:55] op_sel:[1,0] op_sel_hi:[0,1] neg_lo:[0,1] neg_hi:[0,1]
	v_mov_b32_e32 v53, v54
	v_pk_mov_b32 v[38:39], v[54:55], v[4:5] op_sel:[1,0]
	v_pk_add_f32 v[54:55], v[40:41], v[4:5] op_sel_hi:[1,0] neg_lo:[0,1] neg_hi:[0,1]
	v_mov_b32_e32 v4, v41
	v_mov_b32_e32 v5, v7
	v_pk_add_f32 v[38:39], v[4:5], v[38:39] neg_lo:[0,1] neg_hi:[0,1]
	v_pk_add_f32 v[4:5], v[12:13], v[42:43] op_sel:[1,0] op_sel_hi:[0,1] neg_lo:[0,1] neg_hi:[0,1]
	v_mov_b32_e32 v49, v42
	;; [unrolled: 7-line block ×3, first 2 shown]
	v_pk_mov_b32 v[50:51], v[56:57], v[4:5] op_sel:[1,0]
	v_pk_add_f32 v[56:57], v[58:59], v[4:5] op_sel_hi:[1,0] neg_lo:[0,1] neg_hi:[0,1]
	v_mov_b32_e32 v4, v59
	v_mov_b32_e32 v5, v11
	v_pk_add_f32 v[32:33], v[44:45], v[32:33] neg_lo:[0,1] neg_hi:[0,1]
	v_mov_b32_e32 v36, v30
	v_pk_add_f32 v[50:51], v[4:5], v[50:51] neg_lo:[0,1] neg_hi:[0,1]
	v_trunc_f32_e32 v15, v21
	v_pk_add_f32 v[38:39], v[52:53], v[38:39] neg_lo:[0,1] neg_hi:[0,1]
	v_mov_b32_e32 v54, v34
	v_pk_add_f32 v[36:37], v[36:37], v[32:33]
	v_cmp_eq_f32_e64 s[12:13], v15, v21
	v_trunc_f32_e32 v15, v25
	v_pk_add_f32 v[40:41], v[48:49], v[40:41] neg_lo:[0,1] neg_hi:[0,1]
	v_mov_b32_e32 v42, v14
	v_pk_add_f32 v[44:45], v[46:47], v[50:51] neg_lo:[0,1] neg_hi:[0,1]
	v_pk_add_f32 v[46:47], v[54:55], v[38:39]
	v_pk_add_f32 v[50:51], v[36:37], v[36:37] op_sel:[0,1] op_sel_hi:[1,0]
	v_cmp_eq_f32_e64 s[16:17], v15, v25
	v_trunc_f32_e32 v15, v24
	v_mov_b32_e32 v31, v9
	v_mov_b32_e32 v56, v60
	v_pk_add_f32 v[42:43], v[42:43], v[40:41]
	v_pk_add_f32 v[8:9], v[8:9], v[50:51] op_sel:[1,0] op_sel_hi:[0,1]
	v_mov_b32_e32 v33, v50
	v_pk_add_f32 v[50:51], v[46:47], v[46:47] op_sel:[0,1] op_sel_hi:[1,0]
	v_cmp_eq_f32_e64 s[20:21], v15, v24
	v_trunc_f32_e32 v15, v23
	v_mov_b32_e32 v35, v7
	v_pk_add_f32 v[48:49], v[56:57], v[44:45]
	v_pk_add_f32 v[6:7], v[6:7], v[50:51] op_sel:[1,0] op_sel_hi:[0,1]
	v_mov_b32_e32 v39, v50
	v_pk_add_f32 v[50:51], v[42:43], v[42:43] op_sel:[0,1] op_sel_hi:[1,0]
	v_cmp_eq_f32_e64 s[22:23], v15, v23
	v_mov_b32_e32 v15, v13
	v_pk_add_f32 v[12:13], v[12:13], v[50:51] op_sel:[1,0] op_sel_hi:[0,1]
	v_mov_b32_e32 v41, v50
	v_pk_add_f32 v[50:51], v[48:49], v[48:49] op_sel:[0,1] op_sel_hi:[1,0]
	v_mov_b32_e32 v37, v8
	v_mov_b32_e32 v61, v11
	v_pk_add_f32 v[10:11], v[10:11], v[50:51] op_sel:[1,0] op_sel_hi:[0,1]
	v_mov_b32_e32 v45, v50
	v_pk_add_f32 v[50:51], v[36:37], v[30:31] neg_lo:[0,1] neg_hi:[0,1]
	v_mov_b32_e32 v47, v6
	v_sub_f32_e32 v7, v36, v50
	v_pk_add_f32 v[36:37], v[46:47], v[34:35] neg_lo:[0,1] neg_hi:[0,1]
	v_mov_b32_e32 v43, v12
	v_sub_f32_e32 v11, v46, v36
	v_pk_add_f32 v[36:37], v[38:39], v[36:37] neg_lo:[0,1] neg_hi:[0,1]
	v_pk_add_f32 v[38:39], v[42:43], v[14:15] neg_lo:[0,1] neg_hi:[0,1]
	v_mov_b32_e32 v49, v10
	v_sub_f32_e32 v15, v42, v38
	v_pk_add_f32 v[38:39], v[40:41], v[38:39] neg_lo:[0,1] neg_hi:[0,1]
	v_pk_add_f32 v[40:41], v[48:49], v[60:61] neg_lo:[0,1] neg_hi:[0,1]
	;; [unrolled: 1-line block ×3, first 2 shown]
	v_sub_f32_e32 v42, v48, v40
	v_pk_add_f32 v[40:41], v[44:45], v[40:41] neg_lo:[0,1] neg_hi:[0,1]
	v_sub_f32_e32 v7, v30, v7
	v_sub_f32_e32 v11, v34, v11
	;; [unrolled: 1-line block ×4, first 2 shown]
	v_add_f32_e32 v7, v32, v7
	v_add_f32_e32 v11, v36, v11
	;; [unrolled: 1-line block ×12, first 2 shown]
	v_sub_f32_e32 v8, v30, v8
	v_mul_f32_e32 v36, v21, v30
	v_sub_f32_e32 v6, v32, v6
	v_mul_f32_e32 v37, v25, v32
	;; [unrolled: 2-line block ×4, first 2 shown]
	v_sub_f32_e32 v7, v7, v8
	v_fma_f32 v8, v21, v30, -v36
	v_sub_f32_e32 v6, v11, v6
	v_fma_f32 v11, v25, v32, -v37
	;; [unrolled: 2-line block ×4, first 2 shown]
	s_and_b64 s[6:7], s[12:13], s[6:7]
	s_and_b64 s[4:5], s[16:17], s[4:5]
	;; [unrolled: 1-line block ×4, first 2 shown]
	v_fmac_f32_e32 v8, v21, v7
	v_fmac_f32_e32 v11, v25, v6
	;; [unrolled: 1-line block ×4, first 2 shown]
	v_cndmask_b32_e64 v13, 1.0, v22, s[6:7]
	v_cndmask_b32_e64 v31, 1.0, v26, s[4:5]
	;; [unrolled: 1-line block ×4, first 2 shown]
	v_cndmask_b32_e64 v47, 0, v22, s[6:7]
	v_cndmask_b32_e64 v48, 0, v26, s[4:5]
	;; [unrolled: 1-line block ×4, first 2 shown]
	v_add_f32_e32 v6, v36, v8
	v_cmp_class_f32_e64 s[0:1], v36, s58
	v_add_f32_e32 v7, v37, v11
	v_cmp_class_f32_e64 s[2:3], v37, s58
	;; [unrolled: 2-line block ×4, first 2 shown]
	v_cmp_neq_f32_e64 s[18:19], v21, |v21|
	v_cmp_lt_f32_e64 s[54:55], |v22|, 1.0
	v_sub_f32_e32 v30, v6, v36
	v_cndmask_b32_e64 v6, v6, v36, s[0:1]
	v_sub_f32_e32 v32, v7, v37
	v_cndmask_b32_e64 v7, v7, v37, s[2:3]
	;; [unrolled: 2-line block ×4, first 2 shown]
	s_xor_b64 s[18:19], s[18:19], s[54:55]
	v_cmp_eq_f32_e64 s[0:1], s60, v6
	v_cmp_eq_f32_e64 s[2:3], s60, v7
	;; [unrolled: 1-line block ×4, first 2 shown]
	v_cmp_gt_f32_e64 s[30:31], 0, v23
	v_cndmask_b32_e64 v29, v19, 0, s[18:19]
	v_cmp_eq_f32_e64 s[18:19], 0, v28
	v_sub_f32_e32 v8, v8, v30
	v_cndmask_b32_e64 v30, 0, v18, s[0:1]
	v_sub_f32_e32 v11, v11, v32
	v_cmp_neq_f32_e64 s[0:1], |v7|, s59
	v_cndmask_b32_e64 v32, 0, v18, s[2:3]
	v_sub_f32_e32 v14, v14, v33
	v_cmp_neq_f32_e64 s[2:3], |v10|, s59
	;; [unrolled: 3-line block ×3, first 2 shown]
	v_cndmask_b32_e64 v34, 0, v18, s[6:7]
	v_cmp_neq_f32_e64 s[6:7], |v6|, s59
	s_xor_b64 s[30:31], s[30:31], s[18:19]
	v_sub_f32_e32 v6, v6, v30
	v_cndmask_b32_e64 v8, 0, v8, s[6:7]
	v_cndmask_b32_e64 v11, 0, v11, s[0:1]
	v_sub_f32_e32 v7, v7, v32
	v_cndmask_b32_e64 v14, 0, v14, s[2:3]
	v_sub_f32_e32 v10, v10, v33
	;; [unrolled: 2-line block ×3, first 2 shown]
	v_cndmask_b32_e64 v9, v19, 0, s[30:31]
	v_add_f32_e32 v8, v30, v8
	v_mul_f32_e32 v30, 0x3fb8aa3b, v6
	v_add_f32_e32 v11, v32, v11
	v_mul_f32_e32 v32, 0x3fb8aa3b, v7
	;; [unrolled: 2-line block ×4, first 2 shown]
	v_bfi_b32 v9, s63, v9, v50
	v_fma_f32 v36, v6, s61, -v30
	v_rndne_f32_e32 v37, v30
	v_fma_f32 v38, v7, s61, -v32
	v_rndne_f32_e32 v39, v32
	;; [unrolled: 2-line block ×4, first 2 shown]
	v_fmac_f32_e32 v36, 0x32a5705f, v6
	v_sub_f32_e32 v30, v30, v37
	v_fmac_f32_e32 v38, 0x32a5705f, v7
	v_sub_f32_e32 v32, v32, v39
	;; [unrolled: 2-line block ×4, first 2 shown]
	v_add_f32_e32 v30, v30, v36
	v_add_f32_e32 v32, v32, v38
	;; [unrolled: 1-line block ×4, first 2 shown]
	v_cvt_i32_f32_e32 v37, v37
	v_cvt_i32_f32_e32 v39, v39
	;; [unrolled: 1-line block ×4, first 2 shown]
	v_exp_f32_e32 v30, v30
	v_exp_f32_e32 v32, v32
	;; [unrolled: 1-line block ×4, first 2 shown]
	v_ldexp_f32 v30, v30, v37
	v_ldexp_f32 v32, v32, v39
	v_cmp_ngt_f32_e64 s[0:1], s62, v7
	v_ldexp_f32 v33, v33, v41
	v_cmp_ngt_f32_e64 s[2:3], s62, v10
	;; [unrolled: 2-line block ×3, first 2 shown]
	v_cmp_ngt_f32_e64 s[6:7], s62, v6
	v_cndmask_b32_e64 v32, 0, v32, s[0:1]
	v_cmp_nlt_f32_e64 s[0:1], s60, v7
	v_cndmask_b32_e64 v30, 0, v30, s[6:7]
	v_cndmask_b32_e64 v7, 0, v33, s[2:3]
	v_cmp_nlt_f32_e64 s[2:3], s60, v10
	v_cndmask_b32_e64 v10, 0, v34, s[4:5]
	v_cmp_nlt_f32_e64 s[4:5], s60, v12
	v_cmp_nlt_f32_e64 s[6:7], s60, v6
	v_cndmask_b32_e64 v12, v19, v32, s[0:1]
	v_cndmask_b32_e64 v7, v19, v7, s[2:3]
	;; [unrolled: 1-line block ×4, first 2 shown]
	v_cmp_gt_f32_e64 s[26:27], 0, v25
	v_cmp_gt_f32_e64 s[28:29], 0, v24
	v_cmp_eq_f32_e64 s[10:11], 0, v26
	v_cmp_eq_f32_e64 s[14:15], 0, v27
	v_fma_f32 v8, v6, v8, v6
	v_fma_f32 v11, v12, v11, v12
	v_cmp_class_f32_e64 s[0:1], v12, s58
	v_fma_f32 v14, v7, v14, v7
	v_cmp_class_f32_e64 s[2:3], v7, s58
	v_fma_f32 v15, v10, v15, v10
	v_cmp_class_f32_e64 s[4:5], v10, s58
	v_cmp_class_f32_e64 s[6:7], v6, s58
	v_cmp_gt_f32_e64 s[24:25], 0, v21
	v_cmp_neq_f32_e64 s[34:35], v25, |v25|
	v_cmp_neq_f32_e64 s[64:65], v24, |v24|
	;; [unrolled: 1-line block ×3, first 2 shown]
	v_cmp_eq_f32_e64 s[8:9], 0, v22
	v_cmp_lt_f32_e64 s[68:69], |v26|, 1.0
	v_cmp_lt_f32_e64 s[70:71], |v27|, 1.0
	;; [unrolled: 1-line block ×3, first 2 shown]
	s_xor_b64 s[26:27], s[26:27], s[10:11]
	s_xor_b64 s[28:29], s[28:29], s[14:15]
	v_cndmask_b32_e64 v6, v8, v6, s[6:7]
	v_cndmask_b32_e64 v8, v11, v12, s[0:1]
	;; [unrolled: 1-line block ×4, first 2 shown]
	s_xor_b64 s[24:25], s[24:25], s[8:9]
	s_xor_b64 s[34:35], s[34:35], s[68:69]
	v_cndmask_b32_e64 v52, v19, 0, s[26:27]
	s_xor_b64 s[26:27], s[64:65], s[70:71]
	v_cndmask_b32_e64 v62, v19, 0, s[28:29]
	s_xor_b64 s[28:29], s[66:67], s[72:73]
	v_bfi_b32 v6, s63, v6, v13
	v_bfi_b32 v8, s63, v8, v31
	;; [unrolled: 1-line block ×4, first 2 shown]
	v_cndmask_b32_e64 v58, v19, 0, s[24:25]
	v_cmp_neq_f32_e64 s[24:25], |v22|, 1.0
	v_cndmask_b32_e64 v59, v19, 0, s[34:35]
	v_cmp_neq_f32_e64 s[34:35], |v26|, 1.0
	;; [unrolled: 2-line block ×4, first 2 shown]
	v_cndmask_b32_e64 v11, v20, v6, s[12:13]
	v_cndmask_b32_e64 v12, v20, v8, s[16:17]
	v_cmp_gt_f32_e64 s[0:1], 0, v26
	v_cndmask_b32_e64 v13, v20, v7, s[20:21]
	v_cmp_gt_f32_e64 s[2:3], 0, v27
	;; [unrolled: 2-line block ×3, first 2 shown]
	v_cmp_gt_f32_e64 s[6:7], 0, v22
	v_cmp_class_f32_e64 s[48:49], v22, s58
	v_cmp_class_f32_e64 s[50:51], v26, s58
	;; [unrolled: 1-line block ×4, first 2 shown]
	v_cndmask_b32_e64 v29, 1.0, v29, s[24:25]
	v_cndmask_b32_e64 v35, 1.0, v59, s[34:35]
	;; [unrolled: 1-line block ×4, first 2 shown]
	v_cndmask_b32_e64 v6, v6, v11, s[6:7]
	v_cndmask_b32_e64 v8, v8, v12, s[0:1]
	v_cmp_class_f32_e64 s[0:1], v25, s58
	v_cndmask_b32_e64 v7, v7, v13, s[2:3]
	v_cmp_class_f32_e64 s[2:3], v24, s58
	;; [unrolled: 2-line block ×3, first 2 shown]
	v_cmp_class_f32_e64 s[6:7], v21, s58
	v_cndmask_b32_e64 v8, v8, v35, s[0:1]
	s_or_b64 s[0:1], s[10:11], s[50:51]
	v_cndmask_b32_e64 v6, v6, v29, s[6:7]
	v_cndmask_b32_e64 v7, v7, v46, s[2:3]
	s_or_b64 s[2:3], s[14:15], s[52:53]
	v_cndmask_b32_e64 v10, v10, v45, s[4:5]
	s_or_b64 s[4:5], s[18:19], s[54:55]
	s_or_b64 s[6:7], s[8:9], s[48:49]
	s_add_u32 s36, s36, s33
	v_bfi_b32 v47, s63, v58, v47
	v_bfi_b32 v48, s63, v52, v48
	;; [unrolled: 1-line block ×3, first 2 shown]
	s_addc_u32 s37, s37, 0
	v_lshl_add_u64 v[4:5], s[38:39], 0, v[2:3]
	v_cndmask_b32_e64 v6, v6, v47, s[6:7]
	v_cndmask_b32_e64 v8, v8, v48, s[0:1]
	v_cmp_o_f32_e64 s[0:1], v26, v25
	v_cndmask_b32_e64 v7, v7, v49, s[2:3]
	v_cmp_o_f32_e64 s[2:3], v27, v24
	;; [unrolled: 2-line block ×3, first 2 shown]
	v_cmp_o_f32_e64 s[6:7], v22, v21
	s_add_u32 s38, s38, s33
	v_cndmask_b32_e64 v8, v20, v8, s[0:1]
	v_cndmask_b32_e64 v6, v20, v6, s[6:7]
	;; [unrolled: 1-line block ×4, first 2 shown]
	s_addc_u32 s39, s39, 0
	v_cvt_pk_f16_f32 v6, v6, v8
	v_cvt_pk_f16_f32 v7, v7, v9
	s_or_b64 s[46:47], vcc, s[46:47]
	global_store_dwordx2 v[4:5], v[6:7], off
	s_andn2_b64 exec, exec, s[46:47]
	s_cbranch_execnz .LBB81_24
.LBB81_25:
	s_endpgm
	.section	.rodata,"a",@progbits
	.p2align	6, 0x0
	.amdhsa_kernel _ZN2at6native12_GLOBAL__N_125multi_tensor_apply_kernelINS1_18TensorListMetadataILi2EEENS1_21BinaryOpScalarFunctorIN3c104HalfELi2ELi1ELi1EEEJNS1_21reverse_power_functorIfEEfEEEvT_T0_DpT1_
		.amdhsa_group_segment_fixed_size 0
		.amdhsa_private_segment_fixed_size 0
		.amdhsa_kernarg_size 3408
		.amdhsa_user_sgpr_count 2
		.amdhsa_user_sgpr_dispatch_ptr 0
		.amdhsa_user_sgpr_queue_ptr 0
		.amdhsa_user_sgpr_kernarg_segment_ptr 1
		.amdhsa_user_sgpr_dispatch_id 0
		.amdhsa_user_sgpr_kernarg_preload_length 0
		.amdhsa_user_sgpr_kernarg_preload_offset 0
		.amdhsa_user_sgpr_private_segment_size 0
		.amdhsa_uses_dynamic_stack 0
		.amdhsa_enable_private_segment 0
		.amdhsa_system_sgpr_workgroup_id_x 1
		.amdhsa_system_sgpr_workgroup_id_y 0
		.amdhsa_system_sgpr_workgroup_id_z 0
		.amdhsa_system_sgpr_workgroup_info 0
		.amdhsa_system_vgpr_workitem_id 0
		.amdhsa_next_free_vgpr 64
		.amdhsa_next_free_sgpr 74
		.amdhsa_accum_offset 64
		.amdhsa_reserve_vcc 1
		.amdhsa_float_round_mode_32 0
		.amdhsa_float_round_mode_16_64 0
		.amdhsa_float_denorm_mode_32 3
		.amdhsa_float_denorm_mode_16_64 3
		.amdhsa_dx10_clamp 1
		.amdhsa_ieee_mode 1
		.amdhsa_fp16_overflow 0
		.amdhsa_tg_split 0
		.amdhsa_exception_fp_ieee_invalid_op 0
		.amdhsa_exception_fp_denorm_src 0
		.amdhsa_exception_fp_ieee_div_zero 0
		.amdhsa_exception_fp_ieee_overflow 0
		.amdhsa_exception_fp_ieee_underflow 0
		.amdhsa_exception_fp_ieee_inexact 0
		.amdhsa_exception_int_div_zero 0
	.end_amdhsa_kernel
	.section	.text._ZN2at6native12_GLOBAL__N_125multi_tensor_apply_kernelINS1_18TensorListMetadataILi2EEENS1_21BinaryOpScalarFunctorIN3c104HalfELi2ELi1ELi1EEEJNS1_21reverse_power_functorIfEEfEEEvT_T0_DpT1_,"axG",@progbits,_ZN2at6native12_GLOBAL__N_125multi_tensor_apply_kernelINS1_18TensorListMetadataILi2EEENS1_21BinaryOpScalarFunctorIN3c104HalfELi2ELi1ELi1EEEJNS1_21reverse_power_functorIfEEfEEEvT_T0_DpT1_,comdat
.Lfunc_end81:
	.size	_ZN2at6native12_GLOBAL__N_125multi_tensor_apply_kernelINS1_18TensorListMetadataILi2EEENS1_21BinaryOpScalarFunctorIN3c104HalfELi2ELi1ELi1EEEJNS1_21reverse_power_functorIfEEfEEEvT_T0_DpT1_, .Lfunc_end81-_ZN2at6native12_GLOBAL__N_125multi_tensor_apply_kernelINS1_18TensorListMetadataILi2EEENS1_21BinaryOpScalarFunctorIN3c104HalfELi2ELi1ELi1EEEJNS1_21reverse_power_functorIfEEfEEEvT_T0_DpT1_
                                        ; -- End function
	.set _ZN2at6native12_GLOBAL__N_125multi_tensor_apply_kernelINS1_18TensorListMetadataILi2EEENS1_21BinaryOpScalarFunctorIN3c104HalfELi2ELi1ELi1EEEJNS1_21reverse_power_functorIfEEfEEEvT_T0_DpT1_.num_vgpr, 64
	.set _ZN2at6native12_GLOBAL__N_125multi_tensor_apply_kernelINS1_18TensorListMetadataILi2EEENS1_21BinaryOpScalarFunctorIN3c104HalfELi2ELi1ELi1EEEJNS1_21reverse_power_functorIfEEfEEEvT_T0_DpT1_.num_agpr, 0
	.set _ZN2at6native12_GLOBAL__N_125multi_tensor_apply_kernelINS1_18TensorListMetadataILi2EEENS1_21BinaryOpScalarFunctorIN3c104HalfELi2ELi1ELi1EEEJNS1_21reverse_power_functorIfEEfEEEvT_T0_DpT1_.numbered_sgpr, 74
	.set _ZN2at6native12_GLOBAL__N_125multi_tensor_apply_kernelINS1_18TensorListMetadataILi2EEENS1_21BinaryOpScalarFunctorIN3c104HalfELi2ELi1ELi1EEEJNS1_21reverse_power_functorIfEEfEEEvT_T0_DpT1_.num_named_barrier, 0
	.set _ZN2at6native12_GLOBAL__N_125multi_tensor_apply_kernelINS1_18TensorListMetadataILi2EEENS1_21BinaryOpScalarFunctorIN3c104HalfELi2ELi1ELi1EEEJNS1_21reverse_power_functorIfEEfEEEvT_T0_DpT1_.private_seg_size, 0
	.set _ZN2at6native12_GLOBAL__N_125multi_tensor_apply_kernelINS1_18TensorListMetadataILi2EEENS1_21BinaryOpScalarFunctorIN3c104HalfELi2ELi1ELi1EEEJNS1_21reverse_power_functorIfEEfEEEvT_T0_DpT1_.uses_vcc, 1
	.set _ZN2at6native12_GLOBAL__N_125multi_tensor_apply_kernelINS1_18TensorListMetadataILi2EEENS1_21BinaryOpScalarFunctorIN3c104HalfELi2ELi1ELi1EEEJNS1_21reverse_power_functorIfEEfEEEvT_T0_DpT1_.uses_flat_scratch, 0
	.set _ZN2at6native12_GLOBAL__N_125multi_tensor_apply_kernelINS1_18TensorListMetadataILi2EEENS1_21BinaryOpScalarFunctorIN3c104HalfELi2ELi1ELi1EEEJNS1_21reverse_power_functorIfEEfEEEvT_T0_DpT1_.has_dyn_sized_stack, 0
	.set _ZN2at6native12_GLOBAL__N_125multi_tensor_apply_kernelINS1_18TensorListMetadataILi2EEENS1_21BinaryOpScalarFunctorIN3c104HalfELi2ELi1ELi1EEEJNS1_21reverse_power_functorIfEEfEEEvT_T0_DpT1_.has_recursion, 0
	.set _ZN2at6native12_GLOBAL__N_125multi_tensor_apply_kernelINS1_18TensorListMetadataILi2EEENS1_21BinaryOpScalarFunctorIN3c104HalfELi2ELi1ELi1EEEJNS1_21reverse_power_functorIfEEfEEEvT_T0_DpT1_.has_indirect_call, 0
	.section	.AMDGPU.csdata,"",@progbits
; Kernel info:
; codeLenInByte = 9752
; TotalNumSgprs: 80
; NumVgprs: 64
; NumAgprs: 0
; TotalNumVgprs: 64
; ScratchSize: 0
; MemoryBound: 0
; FloatMode: 240
; IeeeMode: 1
; LDSByteSize: 0 bytes/workgroup (compile time only)
; SGPRBlocks: 9
; VGPRBlocks: 7
; NumSGPRsForWavesPerEU: 80
; NumVGPRsForWavesPerEU: 64
; AccumOffset: 64
; Occupancy: 8
; WaveLimiterHint : 0
; COMPUTE_PGM_RSRC2:SCRATCH_EN: 0
; COMPUTE_PGM_RSRC2:USER_SGPR: 2
; COMPUTE_PGM_RSRC2:TRAP_HANDLER: 0
; COMPUTE_PGM_RSRC2:TGID_X_EN: 1
; COMPUTE_PGM_RSRC2:TGID_Y_EN: 0
; COMPUTE_PGM_RSRC2:TGID_Z_EN: 0
; COMPUTE_PGM_RSRC2:TIDIG_COMP_CNT: 0
; COMPUTE_PGM_RSRC3_GFX90A:ACCUM_OFFSET: 15
; COMPUTE_PGM_RSRC3_GFX90A:TG_SPLIT: 0
	.section	.text._ZN2at6native12_GLOBAL__N_125multi_tensor_apply_kernelINS1_18TensorListMetadataILi2EEENS1_21BinaryOpScalarFunctorIN3c108BFloat16ELi2ELi1ELi1EEEJNS1_21reverse_power_functorIfEEfEEEvT_T0_DpT1_,"axG",@progbits,_ZN2at6native12_GLOBAL__N_125multi_tensor_apply_kernelINS1_18TensorListMetadataILi2EEENS1_21BinaryOpScalarFunctorIN3c108BFloat16ELi2ELi1ELi1EEEJNS1_21reverse_power_functorIfEEfEEEvT_T0_DpT1_,comdat
	.globl	_ZN2at6native12_GLOBAL__N_125multi_tensor_apply_kernelINS1_18TensorListMetadataILi2EEENS1_21BinaryOpScalarFunctorIN3c108BFloat16ELi2ELi1ELi1EEEJNS1_21reverse_power_functorIfEEfEEEvT_T0_DpT1_ ; -- Begin function _ZN2at6native12_GLOBAL__N_125multi_tensor_apply_kernelINS1_18TensorListMetadataILi2EEENS1_21BinaryOpScalarFunctorIN3c108BFloat16ELi2ELi1ELi1EEEJNS1_21reverse_power_functorIfEEfEEEvT_T0_DpT1_
	.p2align	8
	.type	_ZN2at6native12_GLOBAL__N_125multi_tensor_apply_kernelINS1_18TensorListMetadataILi2EEENS1_21BinaryOpScalarFunctorIN3c108BFloat16ELi2ELi1ELi1EEEJNS1_21reverse_power_functorIfEEfEEEvT_T0_DpT1_,@function
_ZN2at6native12_GLOBAL__N_125multi_tensor_apply_kernelINS1_18TensorListMetadataILi2EEENS1_21BinaryOpScalarFunctorIN3c108BFloat16ELi2ELi1ELi1EEEJNS1_21reverse_power_functorIfEEfEEEvT_T0_DpT1_: ; @_ZN2at6native12_GLOBAL__N_125multi_tensor_apply_kernelINS1_18TensorListMetadataILi2EEENS1_21BinaryOpScalarFunctorIN3c108BFloat16ELi2ELi1ELi1EEEJNS1_21reverse_power_functorIfEEfEEEvT_T0_DpT1_
; %bb.0:
	v_mov_b32_e32 v1, s2
	global_load_ubyte v1, v1, s[0:1] offset:1536
	s_add_u32 s4, s0, s2
	s_mul_hi_u32 s7, s2, 3
	s_mul_i32 s2, s2, 3
	s_addc_u32 s8, s1, 0
	s_add_u32 s6, s4, s2
	s_addc_u32 s7, s8, s7
	s_load_dword s6, s[6:7], 0x740
	s_mov_b32 s3, 0
	s_mov_b32 s5, s3
	s_waitcnt lgkmcnt(0)
	s_ashr_i32 s7, s6, 31
	s_lshl_b64 s[16:17], s[6:7], 17
	s_lshl_b64 s[6:7], s[6:7], 16
	s_waitcnt vmcnt(0)
	v_readfirstlane_b32 s2, v1
	s_lshl_b32 s2, s2, 3
	s_load_dword s33, s[0:1], 0xc4c
	s_load_dwordx2 s[8:9], s[0:1], s2 offset:0x400
	s_load_dwordx2 s[44:45], s[0:1], s2 offset:0x0
	;; [unrolled: 1-line block ×3, first 2 shown]
	s_waitcnt lgkmcnt(0)
	s_add_u32 s2, s44, s16
	s_and_b32 s4, s46, 7
	s_and_b32 s2, s2, 7
	s_sub_u32 s18, s8, s6
	s_subb_u32 s19, s9, s7
	s_and_b32 s6, s8, 3
	s_mov_b32 s7, s3
	s_or_b64 s[4:5], s[4:5], s[6:7]
	s_or_b64 s[2:3], s[4:5], s[2:3]
	s_cmp_eq_u64 s[2:3], 0
	s_mov_b64 s[2:3], -1
	s_cbranch_scc1 .LBB82_21
; %bb.1:
	v_cmp_lt_i64_e64 s[2:3], s[18:19], 1
	s_and_b64 vcc, exec, s[2:3]
	s_cbranch_vccnz .LBB82_20
; %bb.2:
	s_load_dword s2, s[0:1], 0xc5c
	v_mov_b64_e32 v[2:3], 0x10000
	v_cmp_lt_i64_e32 vcc, s[18:19], v[2:3]
	s_and_b64 s[4:5], vcc, exec
	s_cselect_b32 s21, s19, 0
	s_cselect_b32 s20, s18, 0x10000
	s_waitcnt lgkmcnt(0)
	s_and_b32 s2, s2, 0xffff
	v_cmp_lt_u64_e32 vcc, s[18:19], v[2:3]
	s_mov_b32 s3, 0
	v_mov_b32_e32 v1, 0
	s_and_b64 s[4:5], vcc, exec
	s_cselect_b32 s23, s19, 0
	s_cselect_b32 s22, s18, 0x10000
	s_lshl_b32 s26, s2, 2
	s_mov_b32 s27, s3
	v_lshlrev_b32_e32 v12, 1, v0
	v_mov_b32_e32 v13, v1
	v_lshl_add_u64 v[18:19], v[0:1], 0, s[2:3]
	s_lshl_b32 s4, s2, 1
	s_mov_b32 s5, s3
	s_mul_i32 s6, s2, 3
	s_mov_b32 s7, s3
	v_mad_u64_u32 v[8:9], s[8:9], s2, 6, v[12:13]
	v_lshl_add_u64 v[14:15], s[26:27], 0, v[12:13]
	v_lshlrev_b32_e32 v22, 1, v18
	v_mov_b32_e32 v23, v1
	s_mov_b32 s34, 0x31739010
	v_cmp_eq_f32_e64 s[24:25], s33, 1.0
	v_lshl_add_u64 v[2:3], s[44:45], 0, v[12:13]
	s_lshl_b32 s28, s2, 3
	s_mov_b32 s29, s3
	v_lshl_add_u64 v[4:5], s[46:47], 0, v[12:13]
	v_lshl_add_u64 v[6:7], s[44:45], 0, v[8:9]
	;; [unrolled: 1-line block ×9, first 2 shown]
	s_mov_b64 s[30:31], 0
	s_movk_i32 s42, 0x204
	s_mov_b32 s43, 0x7f800000
	s_brev_b32 s48, -2
	s_mov_b32 s49, 0x3f2aaaab
	s_mov_b32 s50, 0x3f317218
	v_mov_b32_e32 v26, 0x3e91f4c4
	s_mov_b32 s27, 0x3f2aaaaa
	s_mov_b32 s35, 0xbf2aaaaa
	;; [unrolled: 1-line block ×5, first 2 shown]
	s_movk_i32 s54, 0x7fff
	v_mov_b32_e32 v27, 0x7f800000
	v_mov_b32_e32 v28, 0x37000000
	;; [unrolled: 1-line block ×5, first 2 shown]
                                        ; implicit-def: $vgpr24
	s_branch .LBB82_4
.LBB82_3:                               ;   in Loop: Header=BB82_4 Depth=1
	s_or_b64 exec, exec, s[6:7]
	s_add_u32 s30, s30, s26
	s_addc_u32 s31, s31, 0
	v_mov_b64_e32 v[32:33], s[20:21]
	v_cmp_lt_i64_e32 vcc, s[30:31], v[32:33]
	v_lshl_add_u64 v[2:3], v[2:3], 0, s[28:29]
	v_lshl_add_u64 v[4:5], v[4:5], 0, s[28:29]
	;; [unrolled: 1-line block ×8, first 2 shown]
	s_cbranch_vccz .LBB82_20
.LBB82_4:                               ; =>This Inner Loop Header: Depth=1
	v_lshl_add_u64 v[32:33], v[0:1], 0, s[30:31]
	v_cmp_gt_u64_e32 vcc, s[22:23], v[32:33]
	v_mov_b32_e32 v33, 0
	s_and_saveexec_b64 s[2:3], vcc
	s_cbranch_execz .LBB82_6
; %bb.5:                                ;   in Loop: Header=BB82_4 Depth=1
	v_lshl_add_u64 v[32:33], v[2:3], 0, s[16:17]
	global_load_ushort v24, v[32:33], off
	s_waitcnt vmcnt(0)
	v_lshlrev_b32_e32 v33, 16, v24
.LBB82_6:                               ;   in Loop: Header=BB82_4 Depth=1
	s_or_b64 exec, exec, s[2:3]
	v_lshl_add_u64 v[34:35], v[18:19], 0, s[30:31]
	v_cmp_gt_u64_e64 s[6:7], s[22:23], v[34:35]
	v_mov_b32_e32 v32, 0
	v_mov_b32_e32 v24, 0
	s_and_saveexec_b64 s[2:3], s[6:7]
	s_cbranch_execz .LBB82_8
; %bb.7:                                ;   in Loop: Header=BB82_4 Depth=1
	v_lshl_add_u64 v[34:35], v[20:21], 0, s[16:17]
	global_load_ushort v24, v[34:35], off
	s_waitcnt vmcnt(0)
	v_lshlrev_b32_e32 v24, 16, v24
.LBB82_8:                               ;   in Loop: Header=BB82_4 Depth=1
	s_or_b64 exec, exec, s[2:3]
	v_lshl_add_u64 v[34:35], v[16:17], 0, s[30:31]
	v_cmp_gt_u64_e64 s[4:5], s[22:23], v[34:35]
	s_and_saveexec_b64 s[2:3], s[4:5]
	s_cbranch_execz .LBB82_10
; %bb.9:                                ;   in Loop: Header=BB82_4 Depth=1
	v_lshl_add_u64 v[34:35], v[12:13], 0, s[16:17]
	global_load_ushort v31, v[34:35], off
	s_waitcnt vmcnt(0)
	v_lshlrev_b32_e32 v32, 16, v31
.LBB82_10:                              ;   in Loop: Header=BB82_4 Depth=1
	s_or_b64 exec, exec, s[2:3]
	v_lshl_add_u64 v[34:35], v[10:11], 0, s[30:31]
	v_cmp_gt_u64_e64 s[2:3], s[22:23], v[34:35]
	v_mov_b32_e32 v31, 0
	s_and_saveexec_b64 s[8:9], s[2:3]
	s_cbranch_execnz .LBB82_15
; %bb.11:                               ;   in Loop: Header=BB82_4 Depth=1
	s_or_b64 exec, exec, s[8:9]
	s_and_saveexec_b64 s[36:37], vcc
	s_cbranch_execnz .LBB82_16
.LBB82_12:                              ;   in Loop: Header=BB82_4 Depth=1
	s_or_b64 exec, exec, s[36:37]
	s_and_saveexec_b64 s[10:11], s[6:7]
	s_cbranch_execnz .LBB82_17
.LBB82_13:                              ;   in Loop: Header=BB82_4 Depth=1
	s_or_b64 exec, exec, s[10:11]
	s_and_saveexec_b64 s[8:9], s[4:5]
	s_cbranch_execnz .LBB82_18
.LBB82_14:                              ;   in Loop: Header=BB82_4 Depth=1
	s_or_b64 exec, exec, s[8:9]
	s_and_saveexec_b64 s[6:7], s[2:3]
	s_cbranch_execz .LBB82_3
	s_branch .LBB82_19
.LBB82_15:                              ;   in Loop: Header=BB82_4 Depth=1
	v_lshl_add_u64 v[34:35], v[6:7], 0, s[16:17]
	global_load_ushort v31, v[34:35], off
	s_waitcnt vmcnt(0)
	v_lshlrev_b32_e32 v31, 16, v31
	s_or_b64 exec, exec, s[8:9]
	s_and_saveexec_b64 s[36:37], vcc
	s_cbranch_execz .LBB82_12
.LBB82_16:                              ;   in Loop: Header=BB82_4 Depth=1
	v_cndmask_b32_e64 v33, v33, 1.0, s[24:25]
	v_mov_b32_e32 v36, s33
	v_cmp_neq_f32_e32 vcc, 0, v33
	v_cmp_gt_f32_e64 s[8:9], 0, v33
	v_lshl_add_u64 v[34:35], v[4:5], 0, s[16:17]
	v_cndmask_b32_e32 v50, 1.0, v36, vcc
	v_cmp_eq_f32_e32 vcc, 0, v50
	s_xor_b64 s[8:9], s[8:9], vcc
	v_trunc_f32_e32 v36, v33
	v_cndmask_b32_e64 v38, v27, 0, s[8:9]
	v_cmp_eq_f32_e64 s[8:9], v36, v33
	v_mul_f32_e32 v36, 0.5, v33
	v_trunc_f32_e32 v37, v36
	v_cmp_neq_f32_e64 s[10:11], v37, v36
	v_cvt_f64_f32_e64 v[36:37], |v50|
	v_frexp_exp_i32_f64_e32 v36, v[36:37]
	v_frexp_mant_f32_e64 v37, |v50|
	s_and_b64 s[10:11], s[8:9], s[10:11]
	v_cmp_gt_f32_e64 s[12:13], s49, v37
	v_cndmask_b32_e64 v39, 0, v50, s[10:11]
	v_bfi_b32 v51, s48, v38, v39
	v_subbrev_co_u32_e64 v36, s[14:15], 0, v36, s[12:13]
	v_cvt_f32_i32_e32 v40, v36
	v_cndmask_b32_e64 v39, 1.0, 2.0, s[12:13]
	v_mul_f32_e32 v37, v37, v39
	v_add_f32_e32 v39, 1.0, v37
	v_rcp_f32_e32 v48, v39
	v_mul_f32_e32 v36, 0x3f317218, v40
	v_fma_f32 v38, v40, s50, -v36
	v_fmac_f32_e32 v38, 0xb102e308, v40
	v_add_f32_e32 v40, -1.0, v39
	v_add_f32_e32 v41, -1.0, v37
	v_sub_f32_e32 v40, v37, v40
	v_mul_f32_e32 v37, v41, v48
	v_mul_f32_e32 v42, v39, v37
	v_fma_f32 v44, v37, v39, -v42
	v_fmac_f32_e32 v44, v37, v40
	v_add_f32_e32 v40, v42, v44
	v_sub_f32_e32 v43, v41, v40
	v_pk_add_f32 v[46:47], v[40:41], v[42:43] neg_lo:[0,1] neg_hi:[0,1]
	v_mov_b32_e32 v45, v40
	v_pk_add_f32 v[40:41], v[46:47], v[44:45] neg_lo:[0,1] neg_hi:[0,1]
	v_cmp_neq_f32_e64 s[14:15], v33, |v33|
	v_add_f32_e32 v39, v40, v41
	v_add_f32_e32 v39, v43, v39
	v_mul_f32_e32 v41, v48, v39
	v_add_f32_e32 v40, v37, v41
	v_sub_f32_e32 v37, v40, v37
	v_mul_f32_e32 v43, v40, v40
	v_sub_f32_e32 v52, v41, v37
	v_add_f32_e32 v37, v52, v52
	v_fma_f32 v41, v40, v40, -v43
	v_fmac_f32_e32 v41, v40, v37
	v_add_f32_e32 v42, v43, v41
	v_sub_f32_e32 v37, v42, v43
	v_sub_f32_e32 v37, v41, v37
	v_fmamk_f32 v41, v42, 0x3e76c4e1, v26
	v_fmaak_f32 v41, v42, v41, 0x3ecccdef
	v_mul_f32_e32 v43, v42, v41
	v_fma_f32 v44, v42, v41, -v43
	v_fmac_f32_e32 v44, v37, v41
	v_add_f32_e32 v46, v43, v44
	v_add_f32_e32 v45, 0x3f2aaaaa, v46
	v_sub_f32_e32 v41, v46, v43
	v_sub_f32_e32 v41, v44, v41
	v_add_f32_e32 v43, 0xbf2aaaaa, v45
	v_add_f32_e32 v41, 0x31739010, v41
	v_sub_f32_e32 v43, v46, v43
	v_pk_mul_f32 v[46:47], v[40:41], v[42:43]
	v_pk_add_f32 v[48:49], v[40:41], v[42:43]
	v_fma_f32 v44, v42, v40, -v46
	v_fmac_f32_e32 v44, v42, v52
	v_mov_b32_e32 v47, v49
	v_fmac_f32_e32 v44, v37, v40
	v_ldexp_f32 v39, v40, 1
	v_pk_add_f32 v[40:41], v[46:47], v[44:45]
	v_ldexp_f32 v48, v52, 1
	v_pk_mul_f32 v[42:43], v[40:41], v[40:41] op_sel:[0,1] op_sel_hi:[1,0]
	v_sub_f32_e32 v37, v40, v46
	v_sub_f32_e32 v43, v45, v41
	;; [unrolled: 1-line block ×3, first 2 shown]
	v_add_f32_e32 v43, v49, v43
	v_fma_f32 v44, v40, v41, -v42
	v_fmac_f32_e32 v44, v40, v43
	v_fmac_f32_e32 v44, v37, v41
	v_add_f32_e32 v37, v42, v44
	v_pk_add_f32 v[40:41], v[36:37], v[38:39]
	v_mov_b32_e32 v46, v37
	v_mov_b32_e32 v47, v41
	;; [unrolled: 1-line block ×3, first 2 shown]
	v_pk_add_f32 v[42:43], v[46:47], v[42:43] neg_lo:[0,1] neg_hi:[0,1]
	v_mov_b32_e32 v45, v37
	v_pk_add_f32 v[42:43], v[44:45], v[42:43] neg_lo:[0,1] neg_hi:[0,1]
	v_mov_b32_e32 v39, v40
	v_add_f32_e32 v37, v48, v42
	v_add_f32_e32 v37, v37, v43
	v_pk_add_f32 v[42:43], v[40:41], v[36:37] neg_lo:[0,1] neg_hi:[0,1]
	v_pk_add_f32 v[44:45], v[40:41], v[36:37]
	v_mov_b32_e32 v36, v37
	v_mov_b32_e32 v43, v45
	v_pk_add_f32 v[46:47], v[38:39], v[42:43] neg_lo:[0,1] neg_hi:[0,1]
	v_pk_add_f32 v[38:39], v[38:39], v[42:43]
	v_mov_b32_e32 v37, v40
	v_pk_add_f32 v[42:43], v[38:39], v[40:41] op_sel:[1,0] op_sel_hi:[0,1] neg_lo:[0,1] neg_hi:[0,1]
	v_pk_add_f32 v[48:49], v[44:45], v[42:43] op_sel_hi:[1,0] neg_lo:[0,1] neg_hi:[0,1]
	v_mov_b32_e32 v44, v45
	v_mov_b32_e32 v45, v39
	v_pk_mov_b32 v[42:43], v[40:41], v[42:43] op_sel:[1,0]
	v_mov_b32_e32 v48, v46
	v_pk_add_f32 v[42:43], v[44:45], v[42:43] neg_lo:[0,1] neg_hi:[0,1]
	v_mov_b32_e32 v47, v39
	v_pk_add_f32 v[36:37], v[36:37], v[42:43] neg_lo:[0,1] neg_hi:[0,1]
	v_cmp_lt_f32_e64 s[40:41], |v50|, 1.0
	v_pk_add_f32 v[40:41], v[48:49], v[36:37]
	v_cmp_class_f32_e64 s[38:39], v50, s42
	v_pk_add_f32 v[42:43], v[40:41], v[40:41] op_sel:[0,1] op_sel_hi:[1,0]
	s_or_b64 vcc, vcc, s[38:39]
	v_pk_add_f32 v[38:39], v[38:39], v[42:43] op_sel:[1,0] op_sel_hi:[0,1]
	v_mov_b32_e32 v41, v38
	v_pk_add_f32 v[44:45], v[40:41], v[46:47] neg_lo:[0,1] neg_hi:[0,1]
	v_mov_b32_e32 v37, v42
	v_sub_f32_e32 v39, v40, v44
	v_pk_add_f32 v[36:37], v[36:37], v[44:45] neg_lo:[0,1] neg_hi:[0,1]
	v_sub_f32_e32 v39, v46, v39
	v_add_f32_e32 v36, v36, v39
	v_add_f32_e32 v36, v36, v37
	;; [unrolled: 1-line block ×3, first 2 shown]
	v_mul_f32_e32 v39, v33, v37
	v_sub_f32_e32 v38, v37, v38
	v_sub_f32_e32 v36, v36, v38
	v_fma_f32 v37, v33, v37, -v39
	v_fmac_f32_e32 v37, v33, v36
	v_add_f32_e32 v36, v39, v37
	v_cmp_class_f32_e64 s[12:13], v39, s42
	s_nop 1
	v_cndmask_b32_e64 v38, v36, v39, s[12:13]
	v_cmp_eq_f32_e64 s[12:13], s51, v38
	v_sub_f32_e32 v36, v36, v39
	v_sub_f32_e32 v36, v37, v36
	v_cndmask_b32_e64 v40, 0, v28, s[12:13]
	v_sub_f32_e32 v41, v38, v40
	v_mul_f32_e32 v42, 0x3fb8aa3b, v41
	v_fma_f32 v43, v41, s52, -v42
	v_rndne_f32_e32 v44, v42
	v_fmac_f32_e32 v43, 0x32a5705f, v41
	v_sub_f32_e32 v42, v42, v44
	v_add_f32_e32 v42, v42, v43
	v_exp_f32_e32 v42, v42
	v_cvt_i32_f32_e32 v43, v44
	s_xor_b64 s[12:13], s[14:15], s[40:41]
	v_cndmask_b32_e64 v44, v27, 0, s[12:13]
	v_cmp_neq_f32_e64 s[12:13], |v50|, 1.0
	v_ldexp_f32 v42, v42, v43
	v_cndmask_b32_e64 v37, 1.0, v50, s[10:11]
	v_cndmask_b32_e64 v44, 1.0, v44, s[12:13]
	v_cmp_ngt_f32_e64 s[12:13], s53, v41
	s_nop 1
	v_cndmask_b32_e64 v42, 0, v42, s[12:13]
	v_cmp_nlt_f32_e64 s[12:13], s51, v41
	s_nop 1
	v_cndmask_b32_e64 v41, v27, v42, s[12:13]
	v_cmp_neq_f32_e64 s[12:13], |v38|, s43
	s_nop 1
	v_cndmask_b32_e64 v36, 0, v36, s[12:13]
	v_add_f32_e32 v36, v40, v36
	v_fma_f32 v36, v41, v36, v41
	v_cmp_class_f32_e64 s[12:13], v41, s42
	s_nop 1
	v_cndmask_b32_e64 v36, v36, v41, s[12:13]
	v_bfi_b32 v36, s48, v36, v37
	v_cndmask_b32_e64 v37, v29, v36, s[8:9]
	v_cmp_gt_f32_e64 s[8:9], 0, v50
	s_nop 1
	v_cndmask_b32_e64 v36, v36, v37, s[8:9]
	v_cmp_class_f32_e64 s[8:9], v33, s42
	s_nop 1
	v_cndmask_b32_e64 v36, v36, v44, s[8:9]
	v_cndmask_b32_e32 v36, v36, v51, vcc
	v_cmp_o_f32_e32 vcc, v50, v33
	s_nop 1
	v_cndmask_b32_e32 v33, v29, v36, vcc
	v_bfe_u32 v36, v33, 16, 1
	v_add3_u32 v36, v33, v36, s54
	v_cmp_o_f32_e32 vcc, v33, v33
	s_nop 1
	v_cndmask_b32_sdwa v33, v30, v36, vcc dst_sel:DWORD dst_unused:UNUSED_PAD src0_sel:DWORD src1_sel:WORD_1
	global_store_short v[34:35], v33, off
	s_or_b64 exec, exec, s[36:37]
	s_and_saveexec_b64 s[10:11], s[6:7]
	s_cbranch_execz .LBB82_13
.LBB82_17:                              ;   in Loop: Header=BB82_4 Depth=1
	v_cndmask_b32_e64 v33, v24, 1.0, s[24:25]
	v_mov_b32_e32 v24, s33
	v_cmp_neq_f32_e32 vcc, 0, v33
	v_cmp_neq_f32_e64 s[8:9], v33, |v33|
	s_nop 0
	v_cndmask_b32_e32 v48, 1.0, v24, vcc
	v_frexp_mant_f32_e64 v24, |v48|
	v_cmp_gt_f32_e32 vcc, s49, v24
	v_cmp_lt_f32_e64 s[12:13], |v48|, 1.0
	s_xor_b64 s[8:9], s[8:9], s[12:13]
	v_cndmask_b32_e64 v34, 1.0, 2.0, vcc
	v_mul_f32_e32 v24, v24, v34
	v_add_f32_e32 v34, 1.0, v24
	v_rcp_f32_e32 v42, v34
	v_add_f32_e32 v35, -1.0, v34
	v_sub_f32_e32 v37, v24, v35
	v_add_f32_e32 v35, -1.0, v24
	v_mul_f32_e32 v24, v35, v42
	v_mul_f32_e32 v36, v34, v24
	v_fma_f32 v38, v24, v34, -v36
	v_fmac_f32_e32 v38, v24, v37
	v_add_f32_e32 v34, v36, v38
	v_sub_f32_e32 v37, v35, v34
	v_pk_add_f32 v[40:41], v[34:35], v[36:37] neg_lo:[0,1] neg_hi:[0,1]
	v_mov_b32_e32 v39, v34
	v_pk_add_f32 v[34:35], v[40:41], v[38:39] neg_lo:[0,1] neg_hi:[0,1]
	v_cmp_class_f32_e64 s[12:13], v48, s42
	v_add_f32_e32 v34, v34, v35
	v_add_f32_e32 v34, v37, v34
	v_mul_f32_e32 v35, v42, v34
	v_add_f32_e32 v34, v24, v35
	v_sub_f32_e32 v24, v34, v24
	v_sub_f32_e32 v44, v35, v24
	v_mul_f32_e32 v24, v34, v34
	v_fma_f32 v35, v34, v34, -v24
	v_add_f32_e32 v36, v44, v44
	v_fmac_f32_e32 v35, v34, v36
	v_add_f32_e32 v36, v24, v35
	v_fmamk_f32 v37, v36, 0x3e76c4e1, v26
	v_fmaak_f32 v37, v36, v37, 0x3ecccdef
	v_sub_f32_e32 v24, v36, v24
	v_sub_f32_e32 v45, v35, v24
	v_mul_f32_e32 v35, v36, v37
	v_fma_f32 v24, v36, v37, -v35
	v_fmac_f32_e32 v24, v45, v37
	v_add_f32_e32 v39, v35, v24
	v_sub_f32_e32 v38, v39, v35
	v_pk_add_f32 v[40:41], v[24:25], v[38:39] neg_lo:[0,1] neg_hi:[0,1]
	v_pk_add_f32 v[42:43], v[38:39], s[26:27]
	s_nop 0
	v_mov_b32_e32 v41, v43
	v_pk_add_f32 v[40:41], v[40:41], s[34:35]
	s_nop 0
	v_sub_f32_e32 v37, v39, v41
	v_mov_b32_e32 v35, v40
	v_pk_mul_f32 v[38:39], v[34:35], v[36:37]
	v_pk_add_f32 v[40:41], v[40:41], v[36:37] op_sel_hi:[0,1]
	v_fma_f32 v42, v36, v34, -v38
	v_fmac_f32_e32 v42, v36, v44
	v_mov_b32_e32 v39, v41
	v_fmac_f32_e32 v42, v45, v34
	v_pk_add_f32 v[36:37], v[38:39], v[42:43]
	s_nop 0
	v_sub_f32_e32 v35, v43, v37
	v_sub_f32_e32 v24, v36, v38
	v_add_f32_e32 v35, v41, v35
	v_pk_mul_f32 v[38:39], v[36:37], v[36:37] op_sel:[0,1] op_sel_hi:[1,0]
	v_cvt_f64_f32_e64 v[40:41], |v48|
	v_frexp_exp_i32_f64_e32 v39, v[40:41]
	v_subbrev_co_u32_e32 v39, vcc, 0, v39, vcc
	v_cvt_f32_i32_e32 v39, v39
	v_fma_f32 v40, v36, v37, -v38
	v_sub_f32_e32 v24, v42, v24
	v_fmac_f32_e32 v40, v36, v35
	v_mul_f32_e32 v36, 0x3f317218, v39
	v_fmac_f32_e32 v40, v24, v37
	v_fma_f32 v42, v39, s50, -v36
	v_fmac_f32_e32 v42, 0xb102e308, v39
	v_ldexp_f32 v43, v34, 1
	v_add_f32_e32 v37, v38, v40
	v_pk_add_f32 v[34:35], v[36:37], v[42:43]
	v_ldexp_f32 v24, v44, 1
	v_mov_b32_e32 v44, v37
	v_mov_b32_e32 v45, v35
	;; [unrolled: 1-line block ×3, first 2 shown]
	v_pk_add_f32 v[38:39], v[44:45], v[38:39] neg_lo:[0,1] neg_hi:[0,1]
	v_mov_b32_e32 v41, v37
	v_pk_add_f32 v[38:39], v[40:41], v[38:39] neg_lo:[0,1] neg_hi:[0,1]
	v_mov_b32_e32 v43, v34
	v_add_f32_e32 v24, v24, v38
	v_add_f32_e32 v37, v24, v39
	v_pk_add_f32 v[38:39], v[34:35], v[36:37] neg_lo:[0,1] neg_hi:[0,1]
	v_pk_add_f32 v[40:41], v[34:35], v[36:37]
	v_mov_b32_e32 v36, v37
	v_mov_b32_e32 v39, v41
	v_pk_add_f32 v[44:45], v[42:43], v[38:39] neg_lo:[0,1] neg_hi:[0,1]
	v_pk_add_f32 v[38:39], v[42:43], v[38:39]
	v_mov_b32_e32 v37, v34
	v_pk_add_f32 v[42:43], v[38:39], v[34:35] op_sel:[1,0] op_sel_hi:[0,1] neg_lo:[0,1] neg_hi:[0,1]
	v_pk_add_f32 v[46:47], v[40:41], v[42:43] op_sel_hi:[1,0] neg_lo:[0,1] neg_hi:[0,1]
	v_mov_b32_e32 v40, v41
	v_mov_b32_e32 v41, v39
	v_pk_mov_b32 v[42:43], v[34:35], v[42:43] op_sel:[1,0]
	v_mov_b32_e32 v46, v44
	v_pk_add_f32 v[40:41], v[40:41], v[42:43] neg_lo:[0,1] neg_hi:[0,1]
	v_mov_b32_e32 v45, v39
	v_pk_add_f32 v[34:35], v[36:37], v[40:41] neg_lo:[0,1] neg_hi:[0,1]
	s_nop 0
	v_pk_add_f32 v[36:37], v[46:47], v[34:35]
	s_nop 0
	v_pk_add_f32 v[40:41], v[36:37], v[36:37] op_sel:[0,1] op_sel_hi:[1,0]
	s_nop 0
	v_pk_add_f32 v[38:39], v[38:39], v[40:41] op_sel:[1,0] op_sel_hi:[0,1]
	v_mov_b32_e32 v37, v38
	v_pk_add_f32 v[42:43], v[36:37], v[44:45] neg_lo:[0,1] neg_hi:[0,1]
	v_mov_b32_e32 v35, v40
	v_sub_f32_e32 v24, v36, v42
	v_pk_add_f32 v[34:35], v[34:35], v[42:43] neg_lo:[0,1] neg_hi:[0,1]
	v_sub_f32_e32 v24, v44, v24
	v_add_f32_e32 v24, v34, v24
	v_add_f32_e32 v24, v24, v35
	v_add_f32_e32 v34, v38, v24
	v_sub_f32_e32 v35, v34, v38
	v_sub_f32_e32 v24, v24, v35
	v_mul_f32_e32 v35, v33, v34
	v_fma_f32 v34, v33, v34, -v35
	v_fmac_f32_e32 v34, v33, v24
	v_add_f32_e32 v24, v35, v34
	v_cmp_class_f32_e64 vcc, v35, s42
	v_sub_f32_e32 v36, v24, v35
	v_sub_f32_e32 v34, v34, v36
	v_cndmask_b32_e32 v24, v24, v35, vcc
	v_cmp_eq_f32_e32 vcc, s51, v24
	s_nop 1
	v_cndmask_b32_e32 v35, 0, v28, vcc
	v_sub_f32_e32 v36, v24, v35
	v_mul_f32_e32 v37, 0x3fb8aa3b, v36
	v_fma_f32 v38, v36, s52, -v37
	v_rndne_f32_e32 v39, v37
	v_fmac_f32_e32 v38, 0x32a5705f, v36
	v_sub_f32_e32 v37, v37, v39
	v_add_f32_e32 v37, v37, v38
	v_exp_f32_e32 v37, v37
	v_cvt_i32_f32_e32 v38, v39
	v_cmp_neq_f32_e64 vcc, |v24|, s43
	s_nop 1
	v_cndmask_b32_e32 v24, 0, v34, vcc
	v_ldexp_f32 v34, v37, v38
	v_cmp_ngt_f32_e32 vcc, s53, v36
	v_add_f32_e32 v24, v35, v24
	s_nop 0
	v_cndmask_b32_e32 v34, 0, v34, vcc
	v_cmp_nlt_f32_e32 vcc, s51, v36
	s_nop 1
	v_cndmask_b32_e32 v34, v27, v34, vcc
	v_fma_f32 v24, v34, v24, v34
	v_cmp_class_f32_e64 vcc, v34, s42
	s_nop 1
	v_cndmask_b32_e32 v24, v24, v34, vcc
	v_trunc_f32_e32 v34, v33
	v_cmp_eq_f32_e32 vcc, v34, v33
	v_mul_f32_e32 v34, 0.5, v33
	v_trunc_f32_e32 v35, v34
	v_cmp_neq_f32_e64 s[6:7], v35, v34
	s_and_b64 s[6:7], vcc, s[6:7]
	s_nop 0
	v_cndmask_b32_e64 v34, 1.0, v48, s[6:7]
	v_bfi_b32 v24, s48, v24, v34
	v_cndmask_b32_e32 v34, v29, v24, vcc
	v_cmp_gt_f32_e32 vcc, 0, v48
	v_cndmask_b32_e64 v35, 0, v48, s[6:7]
	s_nop 0
	v_cndmask_b32_e32 v24, v24, v34, vcc
	v_cndmask_b32_e64 v34, v27, 0, s[8:9]
	v_cmp_neq_f32_e64 vcc, |v48|, 1.0
	v_cmp_gt_f32_e64 s[8:9], 0, v33
	s_nop 0
	v_cndmask_b32_e32 v34, 1.0, v34, vcc
	v_cmp_class_f32_e64 vcc, v33, s42
	s_nop 1
	v_cndmask_b32_e32 v24, v24, v34, vcc
	v_cmp_eq_f32_e32 vcc, 0, v48
	s_xor_b64 s[8:9], s[8:9], vcc
	v_cndmask_b32_e64 v34, v27, 0, s[8:9]
	v_bfi_b32 v34, s48, v34, v35
	s_or_b64 vcc, vcc, s[12:13]
	v_cndmask_b32_e32 v24, v24, v34, vcc
	v_cmp_o_f32_e32 vcc, v48, v33
	v_lshl_add_u64 v[34:35], v[22:23], 0, s[16:17]
	s_nop 0
	v_cndmask_b32_e32 v24, v29, v24, vcc
	v_bfe_u32 v33, v24, 16, 1
	v_add3_u32 v33, v24, v33, s54
	v_cmp_o_f32_e32 vcc, v24, v24
	s_nop 1
	v_cndmask_b32_sdwa v24, v30, v33, vcc dst_sel:DWORD dst_unused:UNUSED_PAD src0_sel:DWORD src1_sel:WORD_1
	global_store_short v[34:35], v24, off
	s_or_b64 exec, exec, s[10:11]
	s_and_saveexec_b64 s[8:9], s[4:5]
	s_cbranch_execz .LBB82_14
.LBB82_18:                              ;   in Loop: Header=BB82_4 Depth=1
	v_cndmask_b32_e64 v46, v32, 1.0, s[24:25]
	v_mov_b32_e32 v24, s33
	v_cmp_neq_f32_e32 vcc, 0, v46
	v_cmp_neq_f32_e64 s[6:7], v46, |v46|
	s_nop 0
	v_cndmask_b32_e32 v47, 1.0, v24, vcc
	v_frexp_mant_f32_e64 v24, |v47|
	v_cmp_gt_f32_e32 vcc, s49, v24
	v_cmp_lt_f32_e64 s[10:11], |v47|, 1.0
	s_xor_b64 s[6:7], s[6:7], s[10:11]
	v_cndmask_b32_e64 v32, 1.0, 2.0, vcc
	v_mul_f32_e32 v24, v24, v32
	v_add_f32_e32 v32, 1.0, v24
	v_rcp_f32_e32 v40, v32
	v_add_f32_e32 v33, -1.0, v32
	v_sub_f32_e32 v35, v24, v33
	v_add_f32_e32 v33, -1.0, v24
	v_mul_f32_e32 v24, v33, v40
	v_mul_f32_e32 v34, v32, v24
	v_fma_f32 v36, v24, v32, -v34
	v_fmac_f32_e32 v36, v24, v35
	v_add_f32_e32 v32, v34, v36
	v_sub_f32_e32 v35, v33, v32
	v_pk_add_f32 v[38:39], v[32:33], v[34:35] neg_lo:[0,1] neg_hi:[0,1]
	v_mov_b32_e32 v37, v32
	v_pk_add_f32 v[32:33], v[38:39], v[36:37] neg_lo:[0,1] neg_hi:[0,1]
	v_cmp_class_f32_e64 s[10:11], v47, s42
	v_add_f32_e32 v32, v32, v33
	v_add_f32_e32 v32, v35, v32
	v_mul_f32_e32 v33, v40, v32
	v_add_f32_e32 v32, v24, v33
	v_sub_f32_e32 v24, v32, v24
	v_sub_f32_e32 v42, v33, v24
	v_mul_f32_e32 v24, v32, v32
	v_fma_f32 v33, v32, v32, -v24
	v_add_f32_e32 v34, v42, v42
	v_fmac_f32_e32 v33, v32, v34
	v_add_f32_e32 v34, v24, v33
	v_fmamk_f32 v35, v34, 0x3e76c4e1, v26
	v_fmaak_f32 v35, v34, v35, 0x3ecccdef
	v_sub_f32_e32 v24, v34, v24
	v_sub_f32_e32 v43, v33, v24
	v_mul_f32_e32 v33, v34, v35
	v_fma_f32 v24, v34, v35, -v33
	v_fmac_f32_e32 v24, v43, v35
	v_add_f32_e32 v37, v33, v24
	v_sub_f32_e32 v36, v37, v33
	v_pk_add_f32 v[38:39], v[24:25], v[36:37] neg_lo:[0,1] neg_hi:[0,1]
	v_pk_add_f32 v[40:41], v[36:37], s[26:27]
	s_nop 0
	v_mov_b32_e32 v39, v41
	v_pk_add_f32 v[38:39], v[38:39], s[34:35]
	s_nop 0
	v_sub_f32_e32 v35, v37, v39
	v_mov_b32_e32 v33, v38
	v_pk_mul_f32 v[36:37], v[32:33], v[34:35]
	v_pk_add_f32 v[38:39], v[38:39], v[34:35] op_sel_hi:[0,1]
	v_fma_f32 v40, v34, v32, -v36
	v_fmac_f32_e32 v40, v34, v42
	v_mov_b32_e32 v37, v39
	v_fmac_f32_e32 v40, v43, v32
	v_pk_add_f32 v[34:35], v[36:37], v[40:41]
	s_nop 0
	v_sub_f32_e32 v33, v41, v35
	v_sub_f32_e32 v24, v34, v36
	v_add_f32_e32 v33, v39, v33
	v_pk_mul_f32 v[36:37], v[34:35], v[34:35] op_sel:[0,1] op_sel_hi:[1,0]
	v_cvt_f64_f32_e64 v[38:39], |v47|
	v_frexp_exp_i32_f64_e32 v37, v[38:39]
	v_subbrev_co_u32_e32 v37, vcc, 0, v37, vcc
	v_cvt_f32_i32_e32 v37, v37
	v_fma_f32 v38, v34, v35, -v36
	v_sub_f32_e32 v24, v40, v24
	v_fmac_f32_e32 v38, v34, v33
	v_mul_f32_e32 v34, 0x3f317218, v37
	v_fmac_f32_e32 v38, v24, v35
	v_fma_f32 v40, v37, s50, -v34
	v_fmac_f32_e32 v40, 0xb102e308, v37
	v_ldexp_f32 v41, v32, 1
	v_add_f32_e32 v35, v36, v38
	v_pk_add_f32 v[32:33], v[34:35], v[40:41]
	v_ldexp_f32 v24, v42, 1
	v_mov_b32_e32 v42, v35
	v_mov_b32_e32 v43, v33
	;; [unrolled: 1-line block ×3, first 2 shown]
	v_pk_add_f32 v[36:37], v[42:43], v[36:37] neg_lo:[0,1] neg_hi:[0,1]
	v_mov_b32_e32 v39, v35
	v_pk_add_f32 v[36:37], v[38:39], v[36:37] neg_lo:[0,1] neg_hi:[0,1]
	v_mov_b32_e32 v41, v32
	v_add_f32_e32 v24, v24, v36
	v_add_f32_e32 v35, v24, v37
	v_pk_add_f32 v[36:37], v[32:33], v[34:35] neg_lo:[0,1] neg_hi:[0,1]
	v_pk_add_f32 v[38:39], v[32:33], v[34:35]
	v_mov_b32_e32 v34, v35
	v_mov_b32_e32 v37, v39
	v_pk_add_f32 v[42:43], v[40:41], v[36:37] neg_lo:[0,1] neg_hi:[0,1]
	v_pk_add_f32 v[36:37], v[40:41], v[36:37]
	v_mov_b32_e32 v35, v32
	v_pk_add_f32 v[40:41], v[36:37], v[32:33] op_sel:[1,0] op_sel_hi:[0,1] neg_lo:[0,1] neg_hi:[0,1]
	v_pk_add_f32 v[44:45], v[38:39], v[40:41] op_sel_hi:[1,0] neg_lo:[0,1] neg_hi:[0,1]
	v_mov_b32_e32 v38, v39
	v_mov_b32_e32 v39, v37
	v_pk_mov_b32 v[40:41], v[32:33], v[40:41] op_sel:[1,0]
	v_mov_b32_e32 v44, v42
	v_pk_add_f32 v[38:39], v[38:39], v[40:41] neg_lo:[0,1] neg_hi:[0,1]
	v_mov_b32_e32 v43, v37
	v_pk_add_f32 v[32:33], v[34:35], v[38:39] neg_lo:[0,1] neg_hi:[0,1]
	s_nop 0
	v_pk_add_f32 v[34:35], v[44:45], v[32:33]
	s_nop 0
	v_pk_add_f32 v[38:39], v[34:35], v[34:35] op_sel:[0,1] op_sel_hi:[1,0]
	s_nop 0
	v_pk_add_f32 v[36:37], v[36:37], v[38:39] op_sel:[1,0] op_sel_hi:[0,1]
	v_mov_b32_e32 v35, v36
	v_pk_add_f32 v[40:41], v[34:35], v[42:43] neg_lo:[0,1] neg_hi:[0,1]
	v_mov_b32_e32 v33, v38
	v_sub_f32_e32 v24, v34, v40
	v_pk_add_f32 v[32:33], v[32:33], v[40:41] neg_lo:[0,1] neg_hi:[0,1]
	v_sub_f32_e32 v24, v42, v24
	v_add_f32_e32 v24, v32, v24
	v_add_f32_e32 v24, v24, v33
	;; [unrolled: 1-line block ×3, first 2 shown]
	v_sub_f32_e32 v33, v32, v36
	v_sub_f32_e32 v24, v24, v33
	v_mul_f32_e32 v33, v46, v32
	v_fma_f32 v32, v46, v32, -v33
	v_fmac_f32_e32 v32, v46, v24
	v_add_f32_e32 v24, v33, v32
	v_cmp_class_f32_e64 vcc, v33, s42
	v_sub_f32_e32 v34, v24, v33
	v_sub_f32_e32 v32, v32, v34
	v_cndmask_b32_e32 v24, v24, v33, vcc
	v_cmp_eq_f32_e32 vcc, s51, v24
	s_nop 1
	v_cndmask_b32_e32 v33, 0, v28, vcc
	v_sub_f32_e32 v34, v24, v33
	v_mul_f32_e32 v35, 0x3fb8aa3b, v34
	v_fma_f32 v36, v34, s52, -v35
	v_rndne_f32_e32 v37, v35
	v_fmac_f32_e32 v36, 0x32a5705f, v34
	v_sub_f32_e32 v35, v35, v37
	v_add_f32_e32 v35, v35, v36
	v_exp_f32_e32 v35, v35
	v_cvt_i32_f32_e32 v36, v37
	v_cmp_neq_f32_e64 vcc, |v24|, s43
	s_nop 1
	v_cndmask_b32_e32 v24, 0, v32, vcc
	v_ldexp_f32 v32, v35, v36
	v_cmp_ngt_f32_e32 vcc, s53, v34
	v_add_f32_e32 v24, v33, v24
	s_nop 0
	v_cndmask_b32_e32 v32, 0, v32, vcc
	v_cmp_nlt_f32_e32 vcc, s51, v34
	s_nop 1
	v_cndmask_b32_e32 v32, v27, v32, vcc
	v_fma_f32 v24, v32, v24, v32
	v_cmp_class_f32_e64 vcc, v32, s42
	s_nop 1
	v_cndmask_b32_e32 v24, v24, v32, vcc
	v_trunc_f32_e32 v32, v46
	v_cmp_eq_f32_e32 vcc, v32, v46
	v_mul_f32_e32 v32, 0.5, v46
	v_trunc_f32_e32 v33, v32
	v_cmp_neq_f32_e64 s[4:5], v33, v32
	s_and_b64 s[4:5], vcc, s[4:5]
	s_nop 0
	v_cndmask_b32_e64 v32, 1.0, v47, s[4:5]
	v_bfi_b32 v24, s48, v24, v32
	v_cndmask_b32_e32 v32, v29, v24, vcc
	v_cmp_gt_f32_e32 vcc, 0, v47
	v_cndmask_b32_e64 v33, 0, v47, s[4:5]
	s_nop 0
	v_cndmask_b32_e32 v24, v24, v32, vcc
	v_cndmask_b32_e64 v32, v27, 0, s[6:7]
	v_cmp_neq_f32_e64 vcc, |v47|, 1.0
	v_cmp_gt_f32_e64 s[6:7], 0, v46
	s_nop 0
	v_cndmask_b32_e32 v32, 1.0, v32, vcc
	v_cmp_class_f32_e64 vcc, v46, s42
	s_nop 1
	v_cndmask_b32_e32 v24, v24, v32, vcc
	v_cmp_eq_f32_e32 vcc, 0, v47
	s_xor_b64 s[6:7], s[6:7], vcc
	v_cndmask_b32_e64 v32, v27, 0, s[6:7]
	v_bfi_b32 v32, s48, v32, v33
	s_or_b64 vcc, vcc, s[10:11]
	v_cndmask_b32_e32 v24, v24, v32, vcc
	v_cmp_o_f32_e32 vcc, v47, v46
	s_nop 1
	v_cndmask_b32_e32 v24, v29, v24, vcc
	v_bfe_u32 v32, v24, 16, 1
	v_add3_u32 v32, v24, v32, s54
	v_cmp_o_f32_e32 vcc, v24, v24
	s_nop 1
	v_cndmask_b32_sdwa v24, v30, v32, vcc dst_sel:DWORD dst_unused:UNUSED_PAD src0_sel:DWORD src1_sel:WORD_1
	v_lshl_add_u64 v[32:33], v[14:15], 0, s[16:17]
	global_store_short v[32:33], v24, off
	s_or_b64 exec, exec, s[8:9]
	s_and_saveexec_b64 s[6:7], s[2:3]
	s_cbranch_execz .LBB82_3
.LBB82_19:                              ;   in Loop: Header=BB82_4 Depth=1
	v_cndmask_b32_e64 v31, v31, 1.0, s[24:25]
	v_mov_b32_e32 v24, s33
	v_cmp_neq_f32_e32 vcc, 0, v31
	v_cmp_neq_f32_e64 s[4:5], v31, |v31|
	s_nop 0
	v_cndmask_b32_e32 v46, 1.0, v24, vcc
	v_frexp_mant_f32_e64 v24, |v46|
	v_cmp_gt_f32_e32 vcc, s49, v24
	v_cmp_lt_f32_e64 s[8:9], |v46|, 1.0
	s_xor_b64 s[4:5], s[4:5], s[8:9]
	v_cndmask_b32_e64 v32, 1.0, 2.0, vcc
	v_mul_f32_e32 v24, v24, v32
	v_add_f32_e32 v32, 1.0, v24
	v_rcp_f32_e32 v40, v32
	v_add_f32_e32 v33, -1.0, v32
	v_sub_f32_e32 v35, v24, v33
	v_add_f32_e32 v33, -1.0, v24
	v_mul_f32_e32 v24, v33, v40
	v_mul_f32_e32 v34, v32, v24
	v_fma_f32 v36, v24, v32, -v34
	v_fmac_f32_e32 v36, v24, v35
	v_add_f32_e32 v32, v34, v36
	v_sub_f32_e32 v35, v33, v32
	v_pk_add_f32 v[38:39], v[32:33], v[34:35] neg_lo:[0,1] neg_hi:[0,1]
	v_mov_b32_e32 v37, v32
	v_pk_add_f32 v[32:33], v[38:39], v[36:37] neg_lo:[0,1] neg_hi:[0,1]
	v_cmp_class_f32_e64 s[8:9], v46, s42
	v_add_f32_e32 v32, v32, v33
	v_add_f32_e32 v32, v35, v32
	v_mul_f32_e32 v33, v40, v32
	v_add_f32_e32 v32, v24, v33
	v_sub_f32_e32 v24, v32, v24
	v_sub_f32_e32 v42, v33, v24
	v_mul_f32_e32 v24, v32, v32
	v_fma_f32 v33, v32, v32, -v24
	v_add_f32_e32 v34, v42, v42
	v_fmac_f32_e32 v33, v32, v34
	v_add_f32_e32 v34, v24, v33
	v_fmamk_f32 v35, v34, 0x3e76c4e1, v26
	v_fmaak_f32 v35, v34, v35, 0x3ecccdef
	v_sub_f32_e32 v24, v34, v24
	v_sub_f32_e32 v43, v33, v24
	v_mul_f32_e32 v33, v34, v35
	v_fma_f32 v24, v34, v35, -v33
	v_fmac_f32_e32 v24, v43, v35
	v_add_f32_e32 v37, v33, v24
	v_sub_f32_e32 v36, v37, v33
	v_pk_add_f32 v[38:39], v[24:25], v[36:37] neg_lo:[0,1] neg_hi:[0,1]
	v_pk_add_f32 v[40:41], v[36:37], s[26:27]
	s_nop 0
	v_mov_b32_e32 v39, v41
	v_pk_add_f32 v[38:39], v[38:39], s[34:35]
	s_nop 0
	v_sub_f32_e32 v35, v37, v39
	v_mov_b32_e32 v33, v38
	v_pk_mul_f32 v[36:37], v[32:33], v[34:35]
	v_pk_add_f32 v[38:39], v[38:39], v[34:35] op_sel_hi:[0,1]
	v_fma_f32 v40, v34, v32, -v36
	v_fmac_f32_e32 v40, v34, v42
	v_mov_b32_e32 v37, v39
	v_fmac_f32_e32 v40, v43, v32
	v_pk_add_f32 v[34:35], v[36:37], v[40:41]
	s_nop 0
	v_sub_f32_e32 v33, v41, v35
	v_sub_f32_e32 v24, v34, v36
	v_add_f32_e32 v33, v39, v33
	v_pk_mul_f32 v[36:37], v[34:35], v[34:35] op_sel:[0,1] op_sel_hi:[1,0]
	v_cvt_f64_f32_e64 v[38:39], |v46|
	v_frexp_exp_i32_f64_e32 v37, v[38:39]
	v_subbrev_co_u32_e32 v37, vcc, 0, v37, vcc
	v_cvt_f32_i32_e32 v37, v37
	v_fma_f32 v38, v34, v35, -v36
	v_sub_f32_e32 v24, v40, v24
	v_fmac_f32_e32 v38, v34, v33
	v_mul_f32_e32 v34, 0x3f317218, v37
	v_fmac_f32_e32 v38, v24, v35
	v_fma_f32 v40, v37, s50, -v34
	v_fmac_f32_e32 v40, 0xb102e308, v37
	v_ldexp_f32 v41, v32, 1
	v_add_f32_e32 v35, v36, v38
	v_pk_add_f32 v[32:33], v[34:35], v[40:41]
	v_ldexp_f32 v24, v42, 1
	v_mov_b32_e32 v42, v35
	v_mov_b32_e32 v43, v33
	;; [unrolled: 1-line block ×3, first 2 shown]
	v_pk_add_f32 v[36:37], v[42:43], v[36:37] neg_lo:[0,1] neg_hi:[0,1]
	v_mov_b32_e32 v39, v35
	v_pk_add_f32 v[36:37], v[38:39], v[36:37] neg_lo:[0,1] neg_hi:[0,1]
	v_mov_b32_e32 v41, v32
	v_add_f32_e32 v24, v24, v36
	v_add_f32_e32 v35, v24, v37
	v_pk_add_f32 v[36:37], v[32:33], v[34:35] neg_lo:[0,1] neg_hi:[0,1]
	v_pk_add_f32 v[38:39], v[32:33], v[34:35]
	v_mov_b32_e32 v34, v35
	v_mov_b32_e32 v37, v39
	v_pk_add_f32 v[42:43], v[40:41], v[36:37] neg_lo:[0,1] neg_hi:[0,1]
	v_pk_add_f32 v[36:37], v[40:41], v[36:37]
	v_mov_b32_e32 v35, v32
	v_pk_add_f32 v[40:41], v[36:37], v[32:33] op_sel:[1,0] op_sel_hi:[0,1] neg_lo:[0,1] neg_hi:[0,1]
	v_pk_add_f32 v[44:45], v[38:39], v[40:41] op_sel_hi:[1,0] neg_lo:[0,1] neg_hi:[0,1]
	v_mov_b32_e32 v38, v39
	v_mov_b32_e32 v39, v37
	v_pk_mov_b32 v[40:41], v[32:33], v[40:41] op_sel:[1,0]
	v_mov_b32_e32 v44, v42
	v_pk_add_f32 v[38:39], v[38:39], v[40:41] neg_lo:[0,1] neg_hi:[0,1]
	v_mov_b32_e32 v43, v37
	v_pk_add_f32 v[32:33], v[34:35], v[38:39] neg_lo:[0,1] neg_hi:[0,1]
	s_nop 0
	v_pk_add_f32 v[34:35], v[44:45], v[32:33]
	s_nop 0
	v_pk_add_f32 v[38:39], v[34:35], v[34:35] op_sel:[0,1] op_sel_hi:[1,0]
	s_nop 0
	v_pk_add_f32 v[36:37], v[36:37], v[38:39] op_sel:[1,0] op_sel_hi:[0,1]
	v_mov_b32_e32 v35, v36
	v_pk_add_f32 v[40:41], v[34:35], v[42:43] neg_lo:[0,1] neg_hi:[0,1]
	v_mov_b32_e32 v33, v38
	v_sub_f32_e32 v24, v34, v40
	v_pk_add_f32 v[32:33], v[32:33], v[40:41] neg_lo:[0,1] neg_hi:[0,1]
	v_sub_f32_e32 v24, v42, v24
	v_add_f32_e32 v24, v32, v24
	v_add_f32_e32 v24, v24, v33
	;; [unrolled: 1-line block ×3, first 2 shown]
	v_sub_f32_e32 v33, v32, v36
	v_sub_f32_e32 v24, v24, v33
	v_mul_f32_e32 v33, v31, v32
	v_fma_f32 v32, v31, v32, -v33
	v_fmac_f32_e32 v32, v31, v24
	v_add_f32_e32 v24, v33, v32
	v_cmp_class_f32_e64 vcc, v33, s42
	v_sub_f32_e32 v34, v24, v33
	v_sub_f32_e32 v32, v32, v34
	v_cndmask_b32_e32 v24, v24, v33, vcc
	v_cmp_eq_f32_e32 vcc, s51, v24
	s_nop 1
	v_cndmask_b32_e32 v33, 0, v28, vcc
	v_sub_f32_e32 v34, v24, v33
	v_mul_f32_e32 v35, 0x3fb8aa3b, v34
	v_fma_f32 v36, v34, s52, -v35
	v_rndne_f32_e32 v37, v35
	v_fmac_f32_e32 v36, 0x32a5705f, v34
	v_sub_f32_e32 v35, v35, v37
	v_add_f32_e32 v35, v35, v36
	v_exp_f32_e32 v35, v35
	v_cvt_i32_f32_e32 v36, v37
	v_cmp_neq_f32_e64 vcc, |v24|, s43
	s_nop 1
	v_cndmask_b32_e32 v24, 0, v32, vcc
	v_ldexp_f32 v32, v35, v36
	v_cmp_ngt_f32_e32 vcc, s53, v34
	v_add_f32_e32 v24, v33, v24
	s_nop 0
	v_cndmask_b32_e32 v32, 0, v32, vcc
	v_cmp_nlt_f32_e32 vcc, s51, v34
	s_nop 1
	v_cndmask_b32_e32 v32, v27, v32, vcc
	v_fma_f32 v24, v32, v24, v32
	v_cmp_class_f32_e64 vcc, v32, s42
	s_nop 1
	v_cndmask_b32_e32 v24, v24, v32, vcc
	v_trunc_f32_e32 v32, v31
	v_cmp_eq_f32_e32 vcc, v32, v31
	v_mul_f32_e32 v32, 0.5, v31
	v_trunc_f32_e32 v33, v32
	v_cmp_neq_f32_e64 s[2:3], v33, v32
	s_and_b64 s[2:3], vcc, s[2:3]
	s_nop 0
	v_cndmask_b32_e64 v32, 1.0, v46, s[2:3]
	v_bfi_b32 v24, s48, v24, v32
	v_cndmask_b32_e32 v32, v29, v24, vcc
	v_cmp_gt_f32_e32 vcc, 0, v46
	v_cndmask_b32_e64 v33, 0, v46, s[2:3]
	s_nop 0
	v_cndmask_b32_e32 v24, v24, v32, vcc
	v_cndmask_b32_e64 v32, v27, 0, s[4:5]
	v_cmp_neq_f32_e64 vcc, |v46|, 1.0
	v_cmp_gt_f32_e64 s[4:5], 0, v31
	s_nop 0
	v_cndmask_b32_e32 v32, 1.0, v32, vcc
	v_cmp_class_f32_e64 vcc, v31, s42
	s_nop 1
	v_cndmask_b32_e32 v24, v24, v32, vcc
	v_cmp_eq_f32_e32 vcc, 0, v46
	s_xor_b64 s[4:5], s[4:5], vcc
	v_cndmask_b32_e64 v32, v27, 0, s[4:5]
	v_bfi_b32 v32, s48, v32, v33
	s_or_b64 vcc, vcc, s[8:9]
	v_cndmask_b32_e32 v24, v24, v32, vcc
	v_cmp_o_f32_e32 vcc, v46, v31
	v_lshl_add_u64 v[32:33], v[8:9], 0, s[16:17]
	s_nop 0
	v_cndmask_b32_e32 v24, v29, v24, vcc
	v_bfe_u32 v31, v24, 16, 1
	v_add3_u32 v31, v24, v31, s54
	v_cmp_o_f32_e32 vcc, v24, v24
	s_nop 1
	v_cndmask_b32_sdwa v24, v30, v31, vcc dst_sel:DWORD dst_unused:UNUSED_PAD src0_sel:DWORD src1_sel:WORD_1
	global_store_short v[32:33], v24, off
	s_branch .LBB82_3
.LBB82_20:
	s_mov_b64 s[2:3], 0
.LBB82_21:
	s_andn2_b64 vcc, exec, s[2:3]
	s_cbranch_vccnz .LBB82_25
; %bb.22:
	v_mov_b64_e32 v[4:5], 0x10000
	v_cmp_lt_i64_e32 vcc, s[18:19], v[4:5]
	s_and_b64 s[2:3], vcc, exec
	v_mov_b32_e32 v3, 0
	s_cselect_b32 s51, s19, 0
	s_cselect_b32 s50, s18, 0x10000
	v_lshlrev_b32_e32 v2, 2, v0
	s_mov_b32 s49, 0
	v_cmp_gt_i64_e32 vcc, s[50:51], v[2:3]
	s_and_saveexec_b64 s[2:3], vcc
	s_cbranch_execz .LBB82_25
; %bb.23:
	s_load_dword s0, s[0:1], 0xc5c
	v_lshlrev_b32_e32 v2, 3, v0
	s_mov_b32 s60, 0x31739010
	v_mov_b32_e32 v1, v3
	v_cmp_eq_f32_e64 s[52:53], s33, 1.0
	s_waitcnt lgkmcnt(0)
	s_and_b32 s48, s0, 0xffff
	v_lshl_add_u64 v[2:3], s[16:17], 0, v[2:3]
	s_lshl_b32 s54, s48, 3
	s_mov_b32 s55, s49
	s_mov_b64 s[56:57], 0
	v_mov_b32_e32 v16, s33
	v_mov_b32_e32 v17, s33
	s_mov_b32 s33, 0x3f2aaaab
	v_mov_b32_e32 v18, 0x3e91f4c4
	s_mov_b32 s59, 0x3f2aaaaa
	s_mov_b32 s61, 0xbf2aaaaa
	;; [unrolled: 1-line block ×3, first 2 shown]
	s_movk_i32 s66, 0x204
	s_mov_b32 s67, 0x42b17218
	v_mov_b32_e32 v19, 0x37000000
	s_mov_b32 s68, 0x3fb8aa3b
	s_mov_b32 s69, 0xc2ce8ed0
	v_mov_b32_e32 v20, 0x7f800000
	v_mov_b32_e32 v21, 0x204
	s_brev_b32 s70, -2
	v_mov_b32_e32 v22, 0x7fc00000
	s_movk_i32 s71, 0x7fff
	v_mov_b32_e32 v23, 0x7fc0
	v_mov_b32_e32 v5, 0x3f2aaaaa
                                        ; implicit-def: $vgpr4
.LBB82_24:                              ; =>This Inner Loop Header: Depth=1
	v_lshl_add_u64 v[6:7], s[44:45], 0, v[2:3]
	global_load_dwordx2 v[6:7], v[6:7], off
	v_lshl_add_u64 v[0:1], v[0:1], 0, s[48:49]
	v_lshlrev_b64 v[8:9], 2, v[0:1]
	v_cmp_le_i64_e32 vcc, s[50:51], v[8:9]
	s_waitcnt vmcnt(0)
	v_and_b32_e32 v4, 0xffff0000, v6
	v_lshlrev_b32_e32 v8, 16, v6
	v_cndmask_b32_e64 v9, v8, 1.0, s[52:53]
	v_cndmask_b32_e64 v8, v4, 1.0, s[52:53]
	v_alignbit_b32 v6, v7, v6, 16
	v_and_b32_e32 v7, 0xffff0000, v7
	v_cmp_neq_f32_e64 s[0:1], 0, v8
	v_and_b32_e32 v4, 0xffff0000, v6
	v_cndmask_b32_e64 v6, v7, 1.0, s[52:53]
	v_cndmask_b32_e64 v26, 1.0, v16, s[0:1]
	v_cmp_neq_f32_e64 s[0:1], 0, v9
	v_trunc_f32_e32 v28, v8
	v_cndmask_b32_e64 v7, v4, 1.0, s[52:53]
	v_cndmask_b32_e64 v27, 1.0, v17, s[0:1]
	v_cmp_neq_f32_e64 s[0:1], 0, v6
	v_frexp_mant_f32_e64 v32, |v27|
	v_trunc_f32_e32 v25, v9
	v_cndmask_b32_e64 v24, 1.0, v16, s[0:1]
	v_pk_mul_f32 v[10:11], v[8:9], 0.5 op_sel_hi:[1,0]
	v_trunc_f32_e32 v4, v6
	v_cvt_f64_f32_e64 v[12:13], |v27|
	v_frexp_mant_f32_e64 v33, |v26|
	v_cvt_f64_f32_e64 v[14:15], |v26|
	v_cmp_eq_f32_e64 s[4:5], v28, v8
	v_cmp_neq_f32_e64 s[0:1], 0, v7
	v_frexp_mant_f32_e64 v36, |v24|
	v_cvt_f64_f32_e64 v[28:29], |v24|
	v_cmp_gt_f32_e64 s[6:7], s33, v32
	v_cmp_eq_f32_e64 s[2:3], v25, v9
	v_trunc_f32_e32 v35, v10
	v_cndmask_b32_e64 v25, 1.0, v17, s[0:1]
	v_pk_mul_f32 v[30:31], v[6:7], 0.5 op_sel_hi:[1,0]
	v_cmp_eq_f32_e64 s[0:1], v4, v6
	v_cndmask_b32_e64 v4, 1.0, 2.0, s[6:7]
	v_frexp_exp_i32_f64_e32 v12, v[12:13]
	v_cmp_gt_f32_e64 s[8:9], s33, v33
	v_frexp_exp_i32_f64_e32 v14, v[14:15]
	v_cmp_gt_f32_e64 s[14:15], s33, v36
	v_frexp_exp_i32_f64_e32 v28, v[28:29]
	v_cmp_neq_f32_e64 s[12:13], v35, v10
	v_trunc_f32_e32 v35, v30
	v_mul_f32_e32 v4, v32, v4
	v_subbrev_co_u32_e64 v12, s[6:7], 0, v12, s[6:7]
	v_subbrev_co_u32_e64 v14, s[6:7], 0, v14, s[8:9]
	;; [unrolled: 1-line block ×3, first 2 shown]
	v_cmp_neq_f32_e64 s[6:7], v35, v30
	v_add_f32_e32 v30, 1.0, v4
	v_trunc_f32_e32 v34, v11
	v_frexp_mant_f32_e64 v15, |v25|
	v_rcp_f32_e32 v48, v30
	v_cndmask_b32_e64 v13, 1.0, 2.0, s[8:9]
	v_cmp_neq_f32_e64 s[10:11], v34, v11
	v_cvt_f64_f32_e64 v[10:11], |v25|
	v_cndmask_b32_e64 v34, 1.0, 2.0, s[14:15]
	v_cmp_gt_f32_e64 s[26:27], s33, v15
	v_mul_f32_e32 v13, v33, v13
	v_frexp_exp_i32_f64_e32 v56, v[10:11]
	v_cndmask_b32_e64 v32, 1.0, 2.0, s[26:27]
	v_mul_f32_e32 v10, v36, v34
	v_add_f32_e32 v11, -1.0, v4
	v_cvt_f32_i32_e32 v35, v12
	v_add_f32_e32 v37, 1.0, v13
	v_mul_f32_e32 v12, v15, v32
	v_add_f32_e32 v15, 1.0, v10
	v_trunc_f32_e32 v29, v31
	v_cvt_f32_i32_e32 v51, v28
	v_add_f32_e32 v28, -1.0, v37
	v_add_f32_e32 v34, -1.0, v15
	v_mul_f32_e32 v54, v11, v48
	v_cmp_neq_f32_e64 s[8:9], v29, v31
	v_add_f32_e32 v29, -1.0, v13
	v_cvt_f32_i32_e32 v50, v14
	v_add_f32_e32 v14, -1.0, v30
	v_rcp_f32_e32 v49, v37
	v_add_f32_e32 v32, 1.0, v12
	v_sub_f32_e32 v13, v13, v28
	v_sub_f32_e32 v28, v10, v34
	v_mul_f32_e32 v34, v30, v54
	v_rcp_f32_e32 v52, v15
	v_sub_f32_e32 v4, v4, v14
	v_add_f32_e32 v14, -1.0, v32
	v_rcp_f32_e32 v53, v32
	v_fma_f32 v40, v54, v30, -v34
	v_sub_f32_e32 v39, v12, v14
	v_mul_f32_e32 v14, 0x3f317218, v35
	v_fmac_f32_e32 v40, v54, v4
	v_add_f32_e32 v31, -1.0, v10
	v_add_f32_e32 v33, -1.0, v12
	v_fma_f32 v12, v35, s58, -v14
	v_add_f32_e32 v10, v34, v40
	v_mul_f32_e32 v55, v29, v49
	v_fmac_f32_e32 v12, 0xb102e308, v35
	v_sub_f32_e32 v35, v11, v10
	v_mul_f32_e32 v57, v31, v52
	v_mul_f32_e32 v36, v37, v55
	v_mul_f32_e32 v58, v33, v53
	v_mov_b32_e32 v41, v10
	v_pk_add_f32 v[10:11], v[10:11], v[34:35] neg_lo:[0,1] neg_hi:[0,1]
	v_mul_f32_e32 v38, v15, v57
	v_fma_f32 v42, v55, v37, -v36
	v_pk_add_f32 v[10:11], v[10:11], v[40:41] neg_lo:[0,1] neg_hi:[0,1]
	v_mul_f32_e32 v40, v32, v58
	v_fmac_f32_e32 v42, v55, v13
	v_fma_f32 v44, v57, v15, -v38
	v_fma_f32 v46, v58, v32, -v40
	v_fmac_f32_e32 v44, v57, v28
	v_add_f32_e32 v28, v36, v42
	v_fmac_f32_e32 v46, v58, v39
	v_sub_f32_e32 v37, v29, v28
	v_add_f32_e32 v32, v40, v46
	v_add_f32_e32 v30, v38, v44
	v_mov_b32_e32 v43, v28
	v_pk_add_f32 v[28:29], v[28:29], v[36:37] neg_lo:[0,1] neg_hi:[0,1]
	v_sub_f32_e32 v41, v33, v32
	v_sub_f32_e32 v39, v31, v30
	v_mov_b32_e32 v47, v32
	v_pk_add_f32 v[28:29], v[28:29], v[42:43] neg_lo:[0,1] neg_hi:[0,1]
	v_pk_add_f32 v[32:33], v[32:33], v[40:41] neg_lo:[0,1] neg_hi:[0,1]
	v_add_f32_e32 v4, v10, v11
	v_mov_b32_e32 v45, v30
	v_pk_add_f32 v[30:31], v[30:31], v[38:39] neg_lo:[0,1] neg_hi:[0,1]
	v_add_f32_e32 v13, v28, v29
	v_pk_add_f32 v[10:11], v[32:33], v[46:47] neg_lo:[0,1] neg_hi:[0,1]
	v_add_f32_e32 v4, v35, v4
	;; [unrolled: 2-line block ×3, first 2 shown]
	v_add_f32_e32 v10, v10, v11
	v_mul_f32_e32 v4, v48, v4
	v_add_f32_e32 v15, v30, v31
	v_mul_f32_e32 v11, v49, v13
	v_add_f32_e32 v13, v41, v10
	v_add_f32_e32 v10, v54, v4
	;; [unrolled: 1-line block ×4, first 2 shown]
	v_mul_f32_e32 v15, v53, v13
	v_sub_f32_e32 v29, v10, v54
	v_mul_f32_e32 v31, v10, v10
	v_sub_f32_e32 v32, v28, v55
	v_add_f32_e32 v30, v58, v15
	v_sub_f32_e32 v53, v4, v29
	v_mul_f32_e32 v33, v28, v28
	v_fma_f32 v4, v10, v10, -v31
	v_sub_f32_e32 v54, v11, v32
	v_sub_f32_e32 v29, v30, v58
	v_add_f32_e32 v32, v53, v53
	v_fma_f32 v11, v28, v28, -v33
	v_mul_f32_e32 v35, v30, v30
	v_add_f32_e32 v34, v54, v54
	v_sub_f32_e32 v58, v15, v29
	v_fmac_f32_e32 v4, v10, v32
	v_fma_f32 v15, v30, v30, -v35
	v_fmac_f32_e32 v11, v28, v34
	v_add_f32_e32 v29, v58, v58
	v_add_f32_e32 v32, v31, v4
	v_add_f32_e32 v34, v33, v11
	v_fmac_f32_e32 v15, v30, v29
	v_fmamk_f32 v29, v32, 0x3e76c4e1, v18
	v_sub_f32_e32 v31, v32, v31
	v_sub_f32_e32 v33, v34, v33
	v_add_f32_e32 v36, v35, v15
	v_fmaak_f32 v29, v32, v29, 0x3ecccdef
	v_sub_f32_e32 v31, v4, v31
	v_sub_f32_e32 v48, v11, v33
	v_fmamk_f32 v4, v36, 0x3e76c4e1, v18
	v_mul_f32_e32 v33, v32, v29
	v_fmaak_f32 v46, v36, v4, 0x3ecccdef
	v_fma_f32 v4, v32, v29, -v33
	v_fmac_f32_e32 v4, v31, v29
	v_add_f32_e32 v39, v33, v4
	v_sub_f32_e32 v38, v39, v33
	v_fmamk_f32 v37, v34, 0x3e76c4e1, v18
	v_pk_add_f32 v[40:41], v[4:5], v[38:39] neg_lo:[0,1] neg_hi:[0,1]
	v_pk_add_f32 v[42:43], v[38:39], s[58:59]
	v_fmaak_f32 v37, v34, v37, 0x3ecccdef
	v_mov_b32_e32 v41, v43
	v_sub_f32_e32 v11, v36, v35
	v_mul_f32_e32 v35, v34, v37
	v_pk_add_f32 v[40:41], v[40:41], s[60:61]
	v_sub_f32_e32 v55, v15, v11
	v_fma_f32 v4, v34, v37, -v35
	v_sub_f32_e32 v33, v39, v41
	v_mov_b32_e32 v11, v40
	v_fmac_f32_e32 v4, v48, v37
	v_pk_mul_f32 v[44:45], v[10:11], v[32:33]
	v_add_f32_e32 v39, v35, v4
	v_fma_f32 v42, v32, v10, -v44
	v_sub_f32_e32 v38, v39, v35
	v_fmac_f32_e32 v42, v32, v53
	v_ldexp_f32 v13, v10, 1
	v_pk_add_f32 v[40:41], v[40:41], v[32:33] op_sel_hi:[0,1]
	v_pk_add_f32 v[32:33], v[4:5], v[38:39] neg_lo:[0,1] neg_hi:[0,1]
	v_fmac_f32_e32 v42, v31, v10
	v_pk_add_f32 v[10:11], v[38:39], s[58:59]
	v_mul_f32_e32 v15, v36, v46
	v_mov_b32_e32 v33, v11
	v_fma_f32 v4, v36, v46, -v15
	v_mov_b32_e32 v45, v41
	v_pk_add_f32 v[32:33], v[32:33], s[60:61]
	v_fmac_f32_e32 v4, v55, v46
	v_sub_f32_e32 v35, v39, v33
	v_pk_add_f32 v[38:39], v[44:45], v[42:43]
	v_add_f32_e32 v47, v15, v4
	v_sub_f32_e32 v10, v38, v44
	v_mov_b32_e32 v29, v32
	v_sub_f32_e32 v46, v47, v15
	v_sub_f32_e32 v15, v42, v10
	;; [unrolled: 1-line block ×3, first 2 shown]
	v_pk_mul_f32 v[44:45], v[28:29], v[34:35]
	v_pk_add_f32 v[32:33], v[32:33], v[34:35] op_sel_hi:[0,1]
	v_add_f32_e32 v29, v41, v10
	v_pk_mul_f32 v[40:41], v[38:39], v[38:39] op_sel:[0,1] op_sel_hi:[1,0]
	v_fma_f32 v10, v34, v28, -v44
	v_fma_f32 v32, v38, v39, -v40
	v_fmac_f32_e32 v32, v38, v29
	v_fmac_f32_e32 v32, v15, v39
	v_pk_add_f32 v[38:39], v[4:5], v[46:47] neg_lo:[0,1] neg_hi:[0,1]
	v_pk_add_f32 v[42:43], v[46:47], s[58:59]
	v_fmac_f32_e32 v10, v34, v54
	v_mov_b32_e32 v39, v43
	v_fmac_f32_e32 v10, v48, v28
	v_mov_b32_e32 v45, v33
	v_pk_add_f32 v[38:39], v[38:39], s[60:61]
	v_mov_b32_e32 v41, v13
	v_sub_f32_e32 v37, v47, v39
	v_pk_add_f32 v[46:47], v[44:45], v[10:11]
	v_mov_b32_e32 v31, v38
	v_sub_f32_e32 v4, v46, v44
	v_sub_f32_e32 v15, v11, v47
	;; [unrolled: 1-line block ×3, first 2 shown]
	v_pk_mul_f32 v[10:11], v[46:47], v[46:47] op_sel:[0,1] op_sel_hi:[1,0]
	v_pk_add_f32 v[38:39], v[38:39], v[36:37] op_sel_hi:[0,1]
	v_add_f32_e32 v11, v33, v15
	v_fma_f32 v44, v46, v47, -v10
	v_fmac_f32_e32 v44, v46, v11
	v_fmac_f32_e32 v44, v4, v47
	v_pk_mul_f32 v[46:47], v[30:31], v[36:37]
	v_add_f32_e32 v15, v40, v32
	v_fma_f32 v42, v36, v30, -v46
	v_pk_add_f32 v[48:49], v[14:15], v[12:13]
	v_fmac_f32_e32 v42, v36, v58
	v_mov_b32_e32 v36, v15
	v_mov_b32_e32 v37, v49
	v_pk_add_f32 v[36:37], v[36:37], v[40:41] neg_lo:[0,1] neg_hi:[0,1]
	v_mul_f32_e32 v4, v52, v59
	v_mov_b32_e32 v33, v15
	v_pk_add_f32 v[32:33], v[32:33], v[36:37] neg_lo:[0,1] neg_hi:[0,1]
	v_add_f32_e32 v36, v57, v4
	v_sub_f32_e32 v11, v36, v57
	v_mul_f32_e32 v13, v36, v36
	v_sub_f32_e32 v57, v4, v11
	v_mul_f32_e32 v34, 0x3f317218, v50
	v_mul_f32_e32 v38, 0x3f317218, v51
	v_fma_f32 v4, v36, v36, -v13
	v_add_f32_e32 v11, v57, v57
	v_ldexp_f32 v29, v28, 1
	v_fma_f32 v28, v50, s58, -v34
	v_fma_f32 v40, v51, s58, -v38
	v_fmac_f32_e32 v4, v36, v11
	v_ldexp_f32 v11, v53, 1
	v_mov_b32_e32 v47, v39
	v_fmac_f32_e32 v42, v55, v30
	v_fmac_f32_e32 v28, 0xb102e308, v50
	;; [unrolled: 1-line block ×3, first 2 shown]
	v_add_f32_e32 v11, v11, v32
	v_pk_add_f32 v[50:51], v[46:47], v[42:43]
	v_add_f32_e32 v15, v11, v33
	v_add_f32_e32 v32, v13, v4
	v_sub_f32_e32 v33, v50, v46
	v_fmamk_f32 v11, v32, 0x3e76c4e1, v18
	v_sub_f32_e32 v37, v43, v51
	v_sub_f32_e32 v33, v42, v33
	v_pk_mul_f32 v[42:43], v[50:51], v[50:51] op_sel:[0,1] op_sel_hi:[1,0]
	v_fmaak_f32 v11, v32, v11, 0x3ecccdef
	v_add_f32_e32 v37, v39, v37
	v_fma_f32 v46, v50, v51, -v42
	v_sub_f32_e32 v13, v32, v13
	v_mul_f32_e32 v31, v32, v11
	v_add_f32_e32 v35, v10, v44
	v_fmac_f32_e32 v46, v50, v37
	v_sub_f32_e32 v13, v4, v13
	v_fma_f32 v4, v32, v11, -v31
	v_fmac_f32_e32 v46, v33, v51
	v_pk_add_f32 v[50:51], v[34:35], v[28:29]
	v_fmac_f32_e32 v4, v13, v11
	v_mov_b32_e32 v11, v29
	v_mov_b32_e32 v52, v35
	;; [unrolled: 1-line block ×3, first 2 shown]
	v_pk_add_f32 v[52:53], v[52:53], v[10:11] neg_lo:[0,1] neg_hi:[0,1]
	v_mov_b32_e32 v45, v35
	v_ldexp_f32 v29, v54, 1
	v_pk_add_f32 v[44:45], v[44:45], v[52:53] neg_lo:[0,1] neg_hi:[0,1]
	v_add_f32_e32 v53, v31, v4
	v_sub_f32_e32 v52, v53, v31
	v_add_f32_e32 v29, v29, v44
	v_add_f32_e32 v35, v29, v45
	v_pk_add_f32 v[44:45], v[4:5], v[52:53] neg_lo:[0,1] neg_hi:[0,1]
	v_pk_add_f32 v[54:55], v[52:53], s[58:59]
	v_ldexp_f32 v41, v36, 1
	v_mov_b32_e32 v45, v55
	v_pk_add_f32 v[44:45], v[44:45], s[60:61]
	v_ldexp_f32 v31, v30, 1
	v_sub_f32_e32 v33, v53, v45
	v_mov_b32_e32 v37, v44
	v_pk_mul_f32 v[52:53], v[36:37], v[32:33]
	v_add_f32_e32 v37, v42, v46
	v_fma_f32 v54, v32, v36, -v52
	v_fmac_f32_e32 v54, v32, v57
	v_fmac_f32_e32 v54, v13, v36
	v_subbrev_co_u32_e64 v13, s[26:27], 0, v56, s[26:27]
	v_cvt_f32_i32_e32 v13, v13
	v_pk_add_f32 v[32:33], v[44:45], v[32:33] op_sel_hi:[0,1]
	v_mov_b32_e32 v53, v33
	v_pk_add_f32 v[44:45], v[52:53], v[54:55]
	v_mul_f32_e32 v36, 0x3f317218, v13
	v_sub_f32_e32 v29, v44, v52
	v_sub_f32_e32 v32, v55, v45
	v_pk_mul_f32 v[52:53], v[44:45], v[44:45] op_sel:[0,1] op_sel_hi:[1,0]
	v_fma_f32 v30, v13, s58, -v36
	v_add_f32_e32 v33, v33, v32
	v_fma_f32 v32, v44, v45, -v52
	v_fmac_f32_e32 v30, 0xb102e308, v13
	v_sub_f32_e32 v29, v54, v29
	v_fmac_f32_e32 v32, v44, v33
	v_fmac_f32_e32 v32, v29, v45
	v_pk_add_f32 v[44:45], v[36:37], v[30:31]
	v_mov_b32_e32 v43, v31
	v_mov_b32_e32 v54, v37
	v_mov_b32_e32 v55, v45
	v_pk_add_f32 v[42:43], v[54:55], v[42:43] neg_lo:[0,1] neg_hi:[0,1]
	v_mov_b32_e32 v47, v37
	v_ldexp_f32 v56, v57, 1
	v_ldexp_f32 v57, v58, 1
	v_pk_add_f32 v[42:43], v[46:47], v[42:43] neg_lo:[0,1] neg_hi:[0,1]
	v_add_f32_e32 v39, v52, v32
	v_add_f32_e32 v31, v57, v42
	v_pk_add_f32 v[46:47], v[38:39], v[40:41]
	v_mov_b32_e32 v53, v41
	v_add_f32_e32 v37, v31, v43
	v_mov_b32_e32 v42, v39
	v_mov_b32_e32 v43, v47
	v_pk_add_f32 v[42:43], v[42:43], v[52:53] neg_lo:[0,1] neg_hi:[0,1]
	v_mov_b32_e32 v33, v39
	v_pk_add_f32 v[32:33], v[32:33], v[42:43] neg_lo:[0,1] neg_hi:[0,1]
	v_pk_add_f32 v[42:43], v[48:49], v[14:15] neg_lo:[0,1] neg_hi:[0,1]
	v_mov_b32_e32 v54, v15
	v_pk_add_f32 v[14:15], v[48:49], v[14:15]
	v_mov_b32_e32 v13, v48
	v_mov_b32_e32 v43, v15
	v_add_f32_e32 v31, v56, v32
	v_pk_add_f32 v[56:57], v[12:13], v[42:43] neg_lo:[0,1] neg_hi:[0,1]
	v_pk_add_f32 v[12:13], v[12:13], v[42:43]
	v_mov_b32_e32 v55, v48
	v_pk_add_f32 v[42:43], v[12:13], v[48:49] op_sel:[1,0] op_sel_hi:[0,1] neg_lo:[0,1] neg_hi:[0,1]
	v_add_f32_e32 v39, v31, v33
	v_mov_b32_e32 v32, v15
	v_mov_b32_e32 v33, v13
	v_pk_add_f32 v[14:15], v[14:15], v[42:43] op_sel_hi:[1,0] neg_lo:[0,1] neg_hi:[0,1]
	v_pk_mov_b32 v[42:43], v[48:49], v[42:43] op_sel:[1,0]
	v_pk_add_f32 v[48:49], v[50:51], v[34:35] neg_lo:[0,1] neg_hi:[0,1]
	v_mov_b32_e32 v52, v35
	v_pk_add_f32 v[34:35], v[50:51], v[34:35]
	v_mov_b32_e32 v29, v50
	v_pk_add_f32 v[32:33], v[32:33], v[42:43] neg_lo:[0,1] neg_hi:[0,1]
	v_mov_b32_e32 v49, v35
	v_mov_b32_e32 v14, v56
	v_pk_add_f32 v[32:33], v[54:55], v[32:33] neg_lo:[0,1] neg_hi:[0,1]
	v_pk_add_f32 v[54:55], v[28:29], v[48:49] neg_lo:[0,1] neg_hi:[0,1]
	v_pk_add_f32 v[28:29], v[28:29], v[48:49]
	v_pk_add_f32 v[14:15], v[14:15], v[32:33]
	v_pk_add_f32 v[48:49], v[28:29], v[50:51] op_sel:[1,0] op_sel_hi:[0,1] neg_lo:[0,1] neg_hi:[0,1]
	v_mov_b32_e32 v53, v50
	v_mov_b32_e32 v42, v35
	;; [unrolled: 1-line block ×3, first 2 shown]
	v_pk_add_f32 v[34:35], v[34:35], v[48:49] op_sel_hi:[1,0] neg_lo:[0,1] neg_hi:[0,1]
	v_pk_mov_b32 v[48:49], v[50:51], v[48:49] op_sel:[1,0]
	v_pk_add_f32 v[50:51], v[14:15], v[14:15] op_sel:[0,1] op_sel_hi:[1,0]
	v_mov_b32_e32 v57, v13
	v_pk_add_f32 v[12:13], v[12:13], v[50:51] op_sel:[1,0] op_sel_hi:[0,1]
	v_mov_b32_e32 v33, v50
	v_pk_add_f32 v[50:51], v[44:45], v[36:37] neg_lo:[0,1] neg_hi:[0,1]
	v_pk_add_f32 v[42:43], v[42:43], v[48:49] neg_lo:[0,1] neg_hi:[0,1]
	v_pk_add_f32 v[48:49], v[44:45], v[36:37]
	v_mov_b32_e32 v31, v44
	v_mov_b32_e32 v51, v49
	;; [unrolled: 1-line block ×3, first 2 shown]
	v_pk_add_f32 v[42:43], v[52:53], v[42:43] neg_lo:[0,1] neg_hi:[0,1]
	v_mov_b32_e32 v34, v54
	v_pk_add_f32 v[52:53], v[30:31], v[50:51] neg_lo:[0,1] neg_hi:[0,1]
	v_pk_add_f32 v[30:31], v[30:31], v[50:51]
	v_pk_add_f32 v[50:51], v[14:15], v[56:57] neg_lo:[0,1] neg_hi:[0,1]
	v_pk_add_f32 v[34:35], v[34:35], v[42:43]
	v_sub_f32_e32 v13, v14, v50
	v_mov_b32_e32 v14, v37
	v_pk_add_f32 v[32:33], v[32:33], v[50:51] neg_lo:[0,1] neg_hi:[0,1]
	v_pk_add_f32 v[36:37], v[30:31], v[44:45] op_sel:[1,0] op_sel_hi:[0,1] neg_lo:[0,1] neg_hi:[0,1]
	v_pk_add_f32 v[50:51], v[34:35], v[34:35] op_sel:[0,1] op_sel_hi:[1,0]
	v_mov_b32_e32 v15, v44
	v_mov_b32_e32 v55, v29
	v_pk_mov_b32 v[44:45], v[44:45], v[36:37] op_sel:[1,0]
	v_pk_add_f32 v[36:37], v[48:49], v[36:37] op_sel_hi:[1,0] neg_lo:[0,1] neg_hi:[0,1]
	v_mov_b32_e32 v48, v49
	v_mov_b32_e32 v49, v31
	v_sub_f32_e32 v13, v56, v13
	v_pk_add_f32 v[28:29], v[28:29], v[50:51] op_sel:[1,0] op_sel_hi:[0,1]
	v_pk_add_f32 v[44:45], v[48:49], v[44:45] neg_lo:[0,1] neg_hi:[0,1]
	v_add_f32_e32 v13, v32, v13
	v_mov_b32_e32 v35, v28
	v_cmp_neq_f32_e64 s[38:39], v8, |v8|
	v_cmp_neq_f32_e64 s[36:37], v9, |v9|
	v_cmp_lt_f32_e64 s[40:41], |v26|, 1.0
	v_cmp_lt_f32_e64 s[72:73], |v27|, 1.0
	v_mov_b32_e32 v43, v50
	v_pk_add_f32 v[50:51], v[46:47], v[38:39] neg_lo:[0,1] neg_hi:[0,1]
	v_pk_add_f32 v[48:49], v[46:47], v[38:39]
	v_pk_add_f32 v[14:15], v[14:15], v[44:45] neg_lo:[0,1] neg_hi:[0,1]
	v_add_f32_e32 v13, v13, v33
	v_pk_add_f32 v[32:33], v[34:35], v[54:55] neg_lo:[0,1] neg_hi:[0,1]
	v_mov_b32_e32 v36, v52
	s_xor_b64 s[72:73], s[36:37], s[72:73]
	s_xor_b64 s[38:39], s[38:39], s[40:41]
	v_mov_b32_e32 v41, v46
	v_mov_b32_e32 v51, v49
	v_sub_f32_e32 v38, v34, v32
	v_pk_add_f32 v[36:37], v[36:37], v[14:15]
	v_cmp_gt_f32_e64 s[30:31], 0, v9
	v_cmp_eq_f32_e64 s[20:21], 0, v27
	v_cndmask_b32_e64 v59, v20, 0, s[38:39]
	v_cndmask_b32_e64 v53, v20, 0, s[72:73]
	v_cmp_neq_f32_e64 s[38:39], |v27|, 1.0
	v_pk_add_f32 v[44:45], v[40:41], v[50:51] neg_lo:[0,1] neg_hi:[0,1]
	v_pk_add_f32 v[40:41], v[40:41], v[50:51]
	v_mov_b32_e32 v34, v39
	v_sub_f32_e32 v54, v54, v38
	v_pk_add_f32 v[38:39], v[36:37], v[36:37] op_sel:[0,1] op_sel_hi:[1,0]
	v_cmp_gt_f32_e64 s[28:29], 0, v8
	v_cmp_gt_f32_e64 s[34:35], 0, v6
	v_cmp_eq_f32_e64 s[24:25], 0, v26
	v_trunc_f32_e32 v4, v7
	v_cmp_eq_f32_e64 s[16:17], 0, v24
	s_xor_b64 s[26:27], s[30:31], s[20:21]
	s_and_b64 s[10:11], s[2:3], s[10:11]
	v_cndmask_b32_e64 v56, 1.0, v53, s[38:39]
	v_mov_b32_e32 v53, v31
	v_pk_add_f32 v[30:31], v[30:31], v[38:39] op_sel:[1,0] op_sel_hi:[0,1]
	v_mov_b32_e32 v15, v38
	v_pk_add_f32 v[38:39], v[40:41], v[46:47] op_sel:[1,0] op_sel_hi:[0,1] neg_lo:[0,1] neg_hi:[0,1]
	v_cmp_gt_f32_e64 s[36:37], 0, v7
	v_cndmask_b32_e64 v29, v20, 0, s[26:27]
	s_xor_b64 s[26:27], s[28:29], s[24:25]
	v_cmp_eq_f32_e64 s[30:31], v4, v7
	v_cmp_eq_f32_e64 s[28:29], 0, v25
	s_xor_b64 s[34:35], s[34:35], s[16:17]
	v_pk_add_f32 v[32:33], v[42:43], v[32:33] neg_lo:[0,1] neg_hi:[0,1]
	v_mov_b32_e32 v35, v46
	v_pk_mov_b32 v[42:43], v[46:47], v[38:39] op_sel:[1,0]
	v_mov_b32_e32 v46, v49
	v_mov_b32_e32 v47, v41
	v_cndmask_b32_e64 v37, 0, v27, s[10:11]
	s_and_b64 s[6:7], s[0:1], s[6:7]
	v_cmp_neq_f32_e64 s[62:63], v7, |v7|
	v_cmp_lt_f32_e64 s[72:73], |v25|, 1.0
	v_cndmask_b32_e64 v50, v20, 0, s[34:35]
	s_xor_b64 s[36:37], s[36:37], s[28:29]
	v_pk_add_f32 v[42:43], v[46:47], v[42:43] neg_lo:[0,1] neg_hi:[0,1]
	s_and_b64 s[8:9], s[30:31], s[8:9]
	v_bfi_b32 v47, s70, v29, v37
	v_cndmask_b32_e64 v29, 0, v24, s[6:7]
	s_xor_b64 s[34:35], s[62:63], s[72:73]
	v_pk_add_f32 v[38:39], v[48:49], v[38:39] op_sel_hi:[1,0] neg_lo:[0,1] neg_hi:[0,1]
	v_cndmask_b32_e64 v31, v20, 0, s[36:37]
	v_bfi_b32 v48, s70, v50, v29
	v_cndmask_b32_e64 v29, 0, v25, s[8:9]
	s_and_b64 s[12:13], s[4:5], s[12:13]
	v_pk_add_f32 v[34:35], v[34:35], v[42:43] neg_lo:[0,1] neg_hi:[0,1]
	v_cndmask_b32_e64 v42, 1.0, v24, s[6:7]
	v_bfi_b32 v49, s70, v31, v29
	v_add_f32_e32 v29, v12, v13
	v_cndmask_b32_e64 v31, v20, 0, s[34:35]
	v_cmp_neq_f32_e64 s[6:7], |v25|, 1.0
	v_cndmask_b32_e64 v45, v20, 0, s[26:27]
	v_cndmask_b32_e64 v38, 0, v26, s[12:13]
	v_sub_f32_e32 v12, v29, v12
	v_cndmask_b32_e64 v50, 1.0, v31, s[6:7]
	v_mul_f32_e32 v31, v9, v29
	v_bfi_b32 v43, s70, v45, v38
	v_sub_f32_e32 v12, v13, v12
	v_mov_b32_e32 v38, v44
	v_fma_f32 v58, v9, v29, -v31
	v_add_f32_e32 v13, v32, v54
	v_mov_b32_e32 v37, v30
	v_fmac_f32_e32 v58, v9, v12
	v_add_f32_e32 v54, v13, v33
	v_pk_add_f32 v[12:13], v[36:37], v[52:53] neg_lo:[0,1] neg_hi:[0,1]
	v_pk_add_f32 v[32:33], v[38:39], v[34:35]
	v_add_f32_e32 v29, v31, v58
	v_cmp_class_f32_e64 s[6:7], v31, s66
	v_sub_f32_e32 v35, v36, v12
	v_add_f32_e32 v36, v28, v54
	v_pk_add_f32 v[12:13], v[14:15], v[12:13] neg_lo:[0,1] neg_hi:[0,1]
	v_pk_add_f32 v[14:15], v[32:33], v[32:33] op_sel:[0,1] op_sel_hi:[1,0]
	v_sub_f32_e32 v37, v29, v31
	v_cndmask_b32_e64 v31, v29, v31, s[6:7]
	v_sub_f32_e32 v33, v36, v28
	v_mul_f32_e32 v38, v8, v36
	v_pk_add_f32 v[28:29], v[40:41], v[14:15] op_sel:[1,0] op_sel_hi:[0,1]
	v_sub_f32_e32 v39, v52, v35
	v_sub_f32_e32 v29, v54, v33
	v_fma_f32 v36, v8, v36, -v38
	v_cmp_eq_f32_e64 s[6:7], s67, v31
	v_mov_b32_e32 v45, v41
	v_mov_b32_e32 v35, v14
	v_sub_f32_e32 v14, v58, v37
	v_cndmask_b32_e64 v15, 0, v19, s[6:7]
	v_cmp_class_f32_e64 s[6:7], v31, s66
	v_add_f32_e32 v12, v12, v39
	v_mov_b32_e32 v33, v28
	v_fmac_f32_e32 v36, v8, v29
	v_sub_f32_e32 v37, v31, v15
	v_cndmask_b32_e64 v31, v14, 0, s[6:7]
	v_add_f32_e32 v14, v12, v13
	v_pk_add_f32 v[12:13], v[32:33], v[44:45] neg_lo:[0,1] neg_hi:[0,1]
	v_add_f32_e32 v29, v38, v36
	v_cmp_class_f32_e64 s[6:7], v38, s66
	v_mul_f32_e32 v33, 0x3fb8aa3b, v37
	v_add_f32_e32 v39, v30, v14
	v_pk_add_f32 v[34:35], v[34:35], v[12:13] neg_lo:[0,1] neg_hi:[0,1]
	v_sub_f32_e32 v12, v32, v12
	v_sub_f32_e32 v13, v29, v38
	v_cndmask_b32_e64 v29, v29, v38, s[6:7]
	v_fma_f32 v32, v37, s68, -v33
	v_rndne_f32_e32 v38, v33
	v_sub_f32_e32 v40, v39, v30
	v_mul_f32_e32 v41, v7, v39
	v_sub_f32_e32 v12, v44, v12
	v_cmp_eq_f32_e64 s[6:7], s67, v29
	v_sub_f32_e32 v13, v36, v13
	v_fmac_f32_e32 v32, 0x32a5705f, v37
	v_sub_f32_e32 v33, v33, v38
	v_cvt_i32_f32_e32 v36, v38
	v_cndmask_b32_e64 v30, 0, v19, s[6:7]
	v_sub_f32_e32 v38, v14, v40
	v_fma_f32 v39, v7, v39, -v41
	v_add_f32_e32 v12, v34, v12
	v_cmp_class_f32_e64 s[6:7], v29, s66
	v_fmac_f32_e32 v39, v7, v38
	v_cndmask_b32_e64 v46, 1.0, v25, s[8:9]
	v_cndmask_b32_e64 v14, v13, 0, s[6:7]
	v_add_f32_e32 v13, v33, v32
	v_sub_f32_e32 v32, v29, v30
	v_add_f32_e32 v29, v12, v35
	v_exp_f32_e32 v33, v13
	v_pk_add_f32 v[12:13], v[14:15], v[30:31]
	v_mul_f32_e32 v14, 0x3fb8aa3b, v32
	v_add_f32_e32 v15, v41, v39
	v_cmp_class_f32_e64 s[6:7], v41, s66
	v_add_f32_e32 v30, v28, v29
	v_fma_f32 v31, v32, s68, -v14
	v_rndne_f32_e32 v34, v14
	v_sub_f32_e32 v35, v15, v41
	v_cndmask_b32_e64 v38, v15, v41, s[6:7]
	v_sub_f32_e32 v15, v30, v28
	v_mul_f32_e32 v28, v6, v30
	v_fmac_f32_e32 v31, 0x32a5705f, v32
	v_sub_f32_e32 v14, v14, v34
	v_sub_f32_e32 v29, v29, v15
	v_fma_f32 v30, v6, v30, -v28
	v_cmp_eq_f32_e64 s[6:7], s67, v38
	v_sub_f32_e32 v35, v39, v35
	v_add_f32_e32 v14, v14, v31
	v_cndmask_b32_e64 v15, 0, v19, s[6:7]
	v_cmp_class_f32_e64 s[6:7], v38, s66
	v_fmac_f32_e32 v30, v6, v29
	v_sub_f32_e32 v38, v38, v15
	v_cndmask_b32_e64 v29, v35, 0, s[6:7]
	v_ldexp_f32 v31, v33, v36
	v_exp_f32_e32 v33, v14
	v_add_f32_e32 v14, v28, v30
	v_cmp_class_f32_e64 s[6:7], v28, s66
	v_cmp_ngt_f32_e64 s[8:9], s69, v37
	v_cvt_i32_f32_e32 v34, v34
	v_mul_f32_e32 v35, 0x3fb8aa3b, v38
	v_cndmask_b32_e64 v31, 0, v31, s[8:9]
	v_cndmask_b32_e64 v39, v14, v28, s[6:7]
	v_cmp_nlt_f32_e64 s[6:7], s67, v37
	v_sub_f32_e32 v36, v14, v28
	v_fma_f32 v40, v38, s68, -v35
	v_rndne_f32_e32 v14, v35
	v_cndmask_b32_e64 v31, v20, v31, s[6:7]
	v_cmp_eq_f32_e64 s[6:7], s67, v39
	v_sub_f32_e32 v30, v30, v36
	v_fmac_f32_e32 v40, 0x32a5705f, v38
	v_sub_f32_e32 v35, v35, v14
	v_cndmask_b32_e64 v28, 0, v19, s[6:7]
	v_cmp_class_f32_e64 s[6:7], v39, s66
	v_cvt_i32_f32_e32 v36, v14
	v_ldexp_f32 v33, v33, v34
	v_cndmask_b32_e64 v14, v30, 0, s[6:7]
	v_add_f32_e32 v30, v35, v40
	v_sub_f32_e32 v35, v39, v28
	v_pk_add_f32 v[14:15], v[14:15], v[28:29]
	v_mul_f32_e32 v28, 0x3fb8aa3b, v35
	v_cmp_ngt_f32_e64 s[6:7], s69, v32
	v_exp_f32_e32 v34, v30
	v_rndne_f32_e32 v37, v28
	v_cndmask_b32_e64 v29, 0, v33, s[6:7]
	v_fma_f32 v33, v35, s68, -v28
	v_cmp_nlt_f32_e64 s[6:7], s67, v32
	v_fmac_f32_e32 v33, 0x32a5705f, v35
	v_sub_f32_e32 v28, v28, v37
	v_cndmask_b32_e64 v30, v20, v29, s[6:7]
	v_pk_fma_f32 v[12:13], v[30:31], v[12:13], v[30:31]
	v_cmp_class_f32_e64 s[6:7], v31, v21
	v_add_f32_e32 v28, v28, v33
	v_cmp_class_f32_e64 s[8:9], v30, v21
	v_cndmask_b32_e64 v51, 1.0, v26, s[12:13]
	v_cndmask_b32_e64 v55, 1.0, v27, s[10:11]
	v_cvt_i32_f32_e32 v29, v37
	v_cndmask_b32_e64 v12, v12, v30, s[8:9]
	v_cndmask_b32_e64 v13, v13, v31, s[6:7]
	v_exp_f32_e32 v28, v28
	v_ldexp_f32 v30, v34, v36
	v_cmp_ngt_f32_e64 s[6:7], s69, v38
	v_bfi_b32 v31, s70, v13, v55
	v_bfi_b32 v12, s70, v12, v51
	v_cmp_neq_f32_e64 s[40:41], |v26|, 1.0
	v_cndmask_b32_e64 v13, 0, v30, s[6:7]
	v_cndmask_b32_e64 v30, v22, v12, s[4:5]
	v_cmp_gt_f32_e64 s[4:5], 0, v26
	v_cndmask_b32_e64 v32, v22, v31, s[2:3]
	v_cmp_gt_f32_e64 s[2:3], 0, v27
	v_cmp_class_f32_e64 s[18:19], v27, v21
	v_cmp_class_f32_e64 s[22:23], v26, v21
	v_cndmask_b32_e64 v57, 1.0, v59, s[40:41]
	v_cmp_nlt_f32_e64 s[6:7], s67, v38
	v_cndmask_b32_e64 v31, v31, v32, s[2:3]
	v_cndmask_b32_e64 v12, v12, v30, s[4:5]
	v_cmp_class_f32_e64 s[2:3], v9, v21
	v_cmp_class_f32_e64 s[4:5], v8, v21
	v_cndmask_b32_e64 v13, v20, v13, s[6:7]
	v_cndmask_b32_e64 v30, v31, v56, s[2:3]
	;; [unrolled: 1-line block ×3, first 2 shown]
	s_or_b64 s[2:3], s[24:25], s[22:23]
	v_ldexp_f32 v28, v28, v29
	v_cmp_ngt_f32_e64 s[4:5], s69, v35
	s_or_b64 s[6:7], s[20:21], s[18:19]
	v_cndmask_b32_e64 v29, v30, v47, s[6:7]
	v_cndmask_b32_e64 v12, v12, v43, s[2:3]
	v_cmp_o_f32_e64 s[2:3], v27, v9
	v_cndmask_b32_e64 v9, 0, v28, s[4:5]
	v_cmp_nlt_f32_e64 s[4:5], s67, v35
	v_cmp_o_f32_e64 s[6:7], v26, v8
	v_cndmask_b32_e64 v27, v22, v29, s[2:3]
	v_cmp_class_f32_e64 s[2:3], v13, v21
	v_cndmask_b32_e64 v26, v22, v12, s[6:7]
	v_cndmask_b32_e64 v12, v20, v9, s[4:5]
	v_bfe_u32 v29, v26, 16, 1
	v_pk_fma_f32 v[8:9], v[12:13], v[14:15], v[12:13]
	v_cmp_class_f32_e64 s[4:5], v12, v21
	v_cmp_neq_f32_e64 s[42:43], v6, |v6|
	v_cmp_lt_f32_e64 s[64:65], |v24|, 1.0
	v_bfe_u32 v28, v27, 16, 1
	v_add3_u32 v15, v26, v29, s71
	v_cndmask_b32_e64 v8, v8, v12, s[4:5]
	v_cndmask_b32_e64 v9, v9, v13, s[2:3]
	s_xor_b64 s[26:27], s[42:43], s[64:65]
	v_add3_u32 v14, v27, v28, s71
	v_and_b32_e32 v13, 0xffff0000, v15
	v_bfi_b32 v9, s70, v9, v46
	v_bfi_b32 v8, s70, v8, v42
	v_cmp_o_f32_e64 s[2:3], v26, v26
	v_cndmask_b32_e64 v4, v20, 0, s[26:27]
	v_cmp_neq_f32_e64 s[42:43], |v24|, 1.0
	v_lshrrev_b32_e32 v12, 16, v14
	v_cndmask_b32_e64 v14, v22, v8, s[0:1]
	v_cmp_gt_f32_e64 s[0:1], 0, v24
	v_cndmask_b32_e64 v15, v22, v9, s[30:31]
	v_cndmask_b32_e64 v13, v22, v13, s[2:3]
	v_cmp_gt_f32_e64 s[2:3], 0, v25
	v_cmp_class_f32_e64 s[14:15], v24, v21
	v_cmp_class_f32_e64 s[26:27], v25, v21
	v_cndmask_b32_e64 v4, 1.0, v4, s[42:43]
	v_cndmask_b32_e64 v9, v9, v15, s[2:3]
	v_cndmask_b32_e64 v8, v8, v14, s[0:1]
	v_cmp_class_f32_e64 s[0:1], v7, v21
	v_cmp_class_f32_e64 s[2:3], v6, v21
	v_cmp_o_f32_e64 s[4:5], v27, v27
	v_cndmask_b32_e64 v9, v9, v50, s[0:1]
	v_cndmask_b32_e64 v4, v8, v4, s[2:3]
	s_or_b64 s[0:1], s[16:17], s[14:15]
	s_or_b64 s[2:3], s[28:29], s[26:27]
	v_cndmask_b32_e64 v9, v9, v49, s[2:3]
	v_cndmask_b32_e64 v4, v4, v48, s[0:1]
	v_cmp_o_f32_e64 s[0:1], v25, v7
	s_or_b64 s[56:57], vcc, s[56:57]
	v_cmp_o_f32_e32 vcc, v24, v6
	v_cndmask_b32_e64 v6, v22, v9, s[0:1]
	v_bfe_u32 v7, v6, 16, 1
	v_cndmask_b32_e32 v4, v22, v4, vcc
	v_bfe_u32 v9, v4, 16, 1
	v_add3_u32 v7, v6, v7, s71
	v_add3_u32 v9, v4, v9, s71
	v_cndmask_b32_e64 v12, v23, v12, s[4:5]
	v_lshrrev_b32_e32 v7, 16, v7
	v_and_b32_e32 v9, 0xffff0000, v9
	v_cmp_o_f32_e32 vcc, v6, v6
	v_cmp_o_f32_e64 s[0:1], v4, v4
	v_or_b32_e32 v12, v12, v13
	v_cndmask_b32_e32 v6, v23, v7, vcc
	v_cndmask_b32_e64 v4, v22, v9, s[0:1]
	v_lshl_add_u64 v[10:11], s[46:47], 0, v[2:3]
	v_lshl_add_u64 v[2:3], v[2:3], 0, s[54:55]
	v_or3_b32 v8, v12, 0, 0
	v_or3_b32 v9, 0, v6, v4
	global_store_dwordx2 v[10:11], v[8:9], off
	s_andn2_b64 exec, exec, s[56:57]
	s_cbranch_execnz .LBB82_24
.LBB82_25:
	s_endpgm
	.section	.rodata,"a",@progbits
	.p2align	6, 0x0
	.amdhsa_kernel _ZN2at6native12_GLOBAL__N_125multi_tensor_apply_kernelINS1_18TensorListMetadataILi2EEENS1_21BinaryOpScalarFunctorIN3c108BFloat16ELi2ELi1ELi1EEEJNS1_21reverse_power_functorIfEEfEEEvT_T0_DpT1_
		.amdhsa_group_segment_fixed_size 0
		.amdhsa_private_segment_fixed_size 0
		.amdhsa_kernarg_size 3408
		.amdhsa_user_sgpr_count 2
		.amdhsa_user_sgpr_dispatch_ptr 0
		.amdhsa_user_sgpr_queue_ptr 0
		.amdhsa_user_sgpr_kernarg_segment_ptr 1
		.amdhsa_user_sgpr_dispatch_id 0
		.amdhsa_user_sgpr_kernarg_preload_length 0
		.amdhsa_user_sgpr_kernarg_preload_offset 0
		.amdhsa_user_sgpr_private_segment_size 0
		.amdhsa_uses_dynamic_stack 0
		.amdhsa_enable_private_segment 0
		.amdhsa_system_sgpr_workgroup_id_x 1
		.amdhsa_system_sgpr_workgroup_id_y 0
		.amdhsa_system_sgpr_workgroup_id_z 0
		.amdhsa_system_sgpr_workgroup_info 0
		.amdhsa_system_vgpr_workitem_id 0
		.amdhsa_next_free_vgpr 60
		.amdhsa_next_free_sgpr 74
		.amdhsa_accum_offset 60
		.amdhsa_reserve_vcc 1
		.amdhsa_float_round_mode_32 0
		.amdhsa_float_round_mode_16_64 0
		.amdhsa_float_denorm_mode_32 3
		.amdhsa_float_denorm_mode_16_64 3
		.amdhsa_dx10_clamp 1
		.amdhsa_ieee_mode 1
		.amdhsa_fp16_overflow 0
		.amdhsa_tg_split 0
		.amdhsa_exception_fp_ieee_invalid_op 0
		.amdhsa_exception_fp_denorm_src 0
		.amdhsa_exception_fp_ieee_div_zero 0
		.amdhsa_exception_fp_ieee_overflow 0
		.amdhsa_exception_fp_ieee_underflow 0
		.amdhsa_exception_fp_ieee_inexact 0
		.amdhsa_exception_int_div_zero 0
	.end_amdhsa_kernel
	.section	.text._ZN2at6native12_GLOBAL__N_125multi_tensor_apply_kernelINS1_18TensorListMetadataILi2EEENS1_21BinaryOpScalarFunctorIN3c108BFloat16ELi2ELi1ELi1EEEJNS1_21reverse_power_functorIfEEfEEEvT_T0_DpT1_,"axG",@progbits,_ZN2at6native12_GLOBAL__N_125multi_tensor_apply_kernelINS1_18TensorListMetadataILi2EEENS1_21BinaryOpScalarFunctorIN3c108BFloat16ELi2ELi1ELi1EEEJNS1_21reverse_power_functorIfEEfEEEvT_T0_DpT1_,comdat
.Lfunc_end82:
	.size	_ZN2at6native12_GLOBAL__N_125multi_tensor_apply_kernelINS1_18TensorListMetadataILi2EEENS1_21BinaryOpScalarFunctorIN3c108BFloat16ELi2ELi1ELi1EEEJNS1_21reverse_power_functorIfEEfEEEvT_T0_DpT1_, .Lfunc_end82-_ZN2at6native12_GLOBAL__N_125multi_tensor_apply_kernelINS1_18TensorListMetadataILi2EEENS1_21BinaryOpScalarFunctorIN3c108BFloat16ELi2ELi1ELi1EEEJNS1_21reverse_power_functorIfEEfEEEvT_T0_DpT1_
                                        ; -- End function
	.set _ZN2at6native12_GLOBAL__N_125multi_tensor_apply_kernelINS1_18TensorListMetadataILi2EEENS1_21BinaryOpScalarFunctorIN3c108BFloat16ELi2ELi1ELi1EEEJNS1_21reverse_power_functorIfEEfEEEvT_T0_DpT1_.num_vgpr, 60
	.set _ZN2at6native12_GLOBAL__N_125multi_tensor_apply_kernelINS1_18TensorListMetadataILi2EEENS1_21BinaryOpScalarFunctorIN3c108BFloat16ELi2ELi1ELi1EEEJNS1_21reverse_power_functorIfEEfEEEvT_T0_DpT1_.num_agpr, 0
	.set _ZN2at6native12_GLOBAL__N_125multi_tensor_apply_kernelINS1_18TensorListMetadataILi2EEENS1_21BinaryOpScalarFunctorIN3c108BFloat16ELi2ELi1ELi1EEEJNS1_21reverse_power_functorIfEEfEEEvT_T0_DpT1_.numbered_sgpr, 74
	.set _ZN2at6native12_GLOBAL__N_125multi_tensor_apply_kernelINS1_18TensorListMetadataILi2EEENS1_21BinaryOpScalarFunctorIN3c108BFloat16ELi2ELi1ELi1EEEJNS1_21reverse_power_functorIfEEfEEEvT_T0_DpT1_.num_named_barrier, 0
	.set _ZN2at6native12_GLOBAL__N_125multi_tensor_apply_kernelINS1_18TensorListMetadataILi2EEENS1_21BinaryOpScalarFunctorIN3c108BFloat16ELi2ELi1ELi1EEEJNS1_21reverse_power_functorIfEEfEEEvT_T0_DpT1_.private_seg_size, 0
	.set _ZN2at6native12_GLOBAL__N_125multi_tensor_apply_kernelINS1_18TensorListMetadataILi2EEENS1_21BinaryOpScalarFunctorIN3c108BFloat16ELi2ELi1ELi1EEEJNS1_21reverse_power_functorIfEEfEEEvT_T0_DpT1_.uses_vcc, 1
	.set _ZN2at6native12_GLOBAL__N_125multi_tensor_apply_kernelINS1_18TensorListMetadataILi2EEENS1_21BinaryOpScalarFunctorIN3c108BFloat16ELi2ELi1ELi1EEEJNS1_21reverse_power_functorIfEEfEEEvT_T0_DpT1_.uses_flat_scratch, 0
	.set _ZN2at6native12_GLOBAL__N_125multi_tensor_apply_kernelINS1_18TensorListMetadataILi2EEENS1_21BinaryOpScalarFunctorIN3c108BFloat16ELi2ELi1ELi1EEEJNS1_21reverse_power_functorIfEEfEEEvT_T0_DpT1_.has_dyn_sized_stack, 0
	.set _ZN2at6native12_GLOBAL__N_125multi_tensor_apply_kernelINS1_18TensorListMetadataILi2EEENS1_21BinaryOpScalarFunctorIN3c108BFloat16ELi2ELi1ELi1EEEJNS1_21reverse_power_functorIfEEfEEEvT_T0_DpT1_.has_recursion, 0
	.set _ZN2at6native12_GLOBAL__N_125multi_tensor_apply_kernelINS1_18TensorListMetadataILi2EEENS1_21BinaryOpScalarFunctorIN3c108BFloat16ELi2ELi1ELi1EEEJNS1_21reverse_power_functorIfEEfEEEvT_T0_DpT1_.has_indirect_call, 0
	.section	.AMDGPU.csdata,"",@progbits
; Kernel info:
; codeLenInByte = 9908
; TotalNumSgprs: 80
; NumVgprs: 60
; NumAgprs: 0
; TotalNumVgprs: 60
; ScratchSize: 0
; MemoryBound: 0
; FloatMode: 240
; IeeeMode: 1
; LDSByteSize: 0 bytes/workgroup (compile time only)
; SGPRBlocks: 9
; VGPRBlocks: 7
; NumSGPRsForWavesPerEU: 80
; NumVGPRsForWavesPerEU: 60
; AccumOffset: 60
; Occupancy: 8
; WaveLimiterHint : 0
; COMPUTE_PGM_RSRC2:SCRATCH_EN: 0
; COMPUTE_PGM_RSRC2:USER_SGPR: 2
; COMPUTE_PGM_RSRC2:TRAP_HANDLER: 0
; COMPUTE_PGM_RSRC2:TGID_X_EN: 1
; COMPUTE_PGM_RSRC2:TGID_Y_EN: 0
; COMPUTE_PGM_RSRC2:TGID_Z_EN: 0
; COMPUTE_PGM_RSRC2:TIDIG_COMP_CNT: 0
; COMPUTE_PGM_RSRC3_GFX90A:ACCUM_OFFSET: 14
; COMPUTE_PGM_RSRC3_GFX90A:TG_SPLIT: 0
	.section	.text._ZN2at6native12_GLOBAL__N_125multi_tensor_apply_kernelINS1_18TensorListMetadataILi1EEENS1_21BinaryOpScalarFunctorIhLi1ELi1ELi0EEEJSt5minusIhEhEEEvT_T0_DpT1_,"axG",@progbits,_ZN2at6native12_GLOBAL__N_125multi_tensor_apply_kernelINS1_18TensorListMetadataILi1EEENS1_21BinaryOpScalarFunctorIhLi1ELi1ELi0EEEJSt5minusIhEhEEEvT_T0_DpT1_,comdat
	.globl	_ZN2at6native12_GLOBAL__N_125multi_tensor_apply_kernelINS1_18TensorListMetadataILi1EEENS1_21BinaryOpScalarFunctorIhLi1ELi1ELi0EEEJSt5minusIhEhEEEvT_T0_DpT1_ ; -- Begin function _ZN2at6native12_GLOBAL__N_125multi_tensor_apply_kernelINS1_18TensorListMetadataILi1EEENS1_21BinaryOpScalarFunctorIhLi1ELi1ELi0EEEJSt5minusIhEhEEEvT_T0_DpT1_
	.p2align	8
	.type	_ZN2at6native12_GLOBAL__N_125multi_tensor_apply_kernelINS1_18TensorListMetadataILi1EEENS1_21BinaryOpScalarFunctorIhLi1ELi1ELi0EEEJSt5minusIhEhEEEvT_T0_DpT1_,@function
_ZN2at6native12_GLOBAL__N_125multi_tensor_apply_kernelINS1_18TensorListMetadataILi1EEENS1_21BinaryOpScalarFunctorIhLi1ELi1ELi0EEEJSt5minusIhEhEEEvT_T0_DpT1_: ; @_ZN2at6native12_GLOBAL__N_125multi_tensor_apply_kernelINS1_18TensorListMetadataILi1EEENS1_21BinaryOpScalarFunctorIhLi1ELi1ELi0EEEJSt5minusIhEhEEEvT_T0_DpT1_
; %bb.0:
	v_mov_b32_e32 v1, s2
	global_load_ubyte v1, v1, s[0:1] offset:1760
	s_add_u32 s3, s0, s2
	s_mul_hi_u32 s4, s2, 3
	s_mul_i32 s2, s2, 3
	s_addc_u32 s5, s1, 0
	s_add_u32 s2, s3, s2
	s_addc_u32 s3, s5, s4
	s_load_dword s2, s[2:3], 0x820
	s_waitcnt vmcnt(0)
	v_readfirstlane_b32 s3, v1
	s_lshl_b32 s3, s3, 3
	s_load_dwordx2 s[4:5], s[0:1], s3 offset:0x370
	s_load_dword s20, s[0:1], 0xd28
	s_load_dwordx2 s[8:9], s[0:1], s3 offset:0x0
	s_waitcnt lgkmcnt(0)
	s_ashr_i32 s3, s2, 31
	s_lshl_b64 s[10:11], s[2:3], 16
	s_sub_u32 s12, s4, s10
	s_subb_u32 s13, s5, s11
	s_or_b32 s2, s4, s8
	s_and_b32 s2, s2, 3
	s_cmp_eq_u32 s2, 0
	s_cbranch_scc1 .LBB83_21
; %bb.1:
	v_cmp_lt_i64_e64 s[2:3], s[12:13], 1
	s_and_b64 vcc, exec, s[2:3]
	s_cbranch_vccnz .LBB83_20
; %bb.2:
	s_load_dword s2, s[0:1], 0xd3c
	v_mov_b64_e32 v[2:3], 0x10000
	v_cmp_lt_i64_e32 vcc, s[12:13], v[2:3]
	s_and_b64 s[4:5], vcc, exec
	s_cselect_b32 s5, s13, 0
	s_cselect_b32 s4, s12, 0x10000
	s_waitcnt lgkmcnt(0)
	s_and_b32 s2, s2, 0xffff
	v_cmp_lt_u64_e32 vcc, s[12:13], v[2:3]
	s_and_b64 s[6:7], vcc, exec
	s_cselect_b32 s15, s13, 0
	s_cselect_b32 s14, s12, 0x10000
	s_lshl_b32 s6, s2, 1
	s_mul_i32 s16, s2, 3
	s_lshl_b32 s21, s2, 2
	s_add_u32 s18, s10, s16
	s_addc_u32 s19, s11, 0
	s_mov_b32 s3, 0
	s_add_u32 s18, s8, s18
	v_mov_b32_e32 v1, 0
	s_mov_b32 s17, s3
	s_addc_u32 s19, s9, s19
	v_lshl_add_u64 v[6:7], s[16:17], 0, v[0:1]
	s_add_u32 s16, s10, s6
	s_addc_u32 s17, s11, 0
	s_add_u32 s16, s8, s16
	s_mov_b32 s7, s3
	s_addc_u32 s17, s9, s17
	v_lshl_add_u64 v[10:11], s[6:7], 0, v[0:1]
	s_add_u32 s6, s8, s2
	v_lshl_add_u64 v[12:13], s[10:11], 0, v[0:1]
	s_addc_u32 s7, s9, 0
	v_lshl_add_u64 v[2:3], s[8:9], 0, v[12:13]
	v_lshl_add_u64 v[4:5], s[18:19], 0, v[0:1]
	;; [unrolled: 1-line block ×5, first 2 shown]
	s_mov_b64 s[16:17], 0
	s_lshr_b32 s22, s20, 16
	v_mov_b64_e32 v[16:17], s[4:5]
	s_branch .LBB83_4
.LBB83_3:                               ;   in Loop: Header=BB83_4 Depth=1
	s_or_b64 exec, exec, s[2:3]
	s_add_u32 s16, s16, s21
	s_addc_u32 s17, s17, 0
	v_cmp_lt_i64_e32 vcc, s[16:17], v[16:17]
	s_cbranch_vccz .LBB83_20
.LBB83_4:                               ; =>This Inner Loop Header: Depth=1
	v_lshl_add_u64 v[18:19], v[0:1], 0, s[16:17]
	v_cmp_gt_u64_e32 vcc, s[14:15], v[18:19]
	v_lshl_add_u64 v[18:19], v[2:3], 0, s[16:17]
	s_waitcnt vmcnt(0)
	v_mov_b32_e32 v27, 0
	s_and_saveexec_b64 s[2:3], vcc
	s_cbranch_execz .LBB83_6
; %bb.5:                                ;   in Loop: Header=BB83_4 Depth=1
	global_load_ubyte v27, v[18:19], off
.LBB83_6:                               ;   in Loop: Header=BB83_4 Depth=1
	s_or_b64 exec, exec, s[2:3]
	v_lshl_add_u64 v[20:21], v[14:15], 0, s[16:17]
	v_cmp_gt_u64_e64 s[2:3], s[14:15], v[20:21]
	v_mov_b32_e32 v26, 0
	v_lshl_add_u64 v[20:21], v[12:13], 0, s[16:17]
	v_mov_b32_e32 v28, 0
	s_and_saveexec_b64 s[4:5], s[2:3]
	s_cbranch_execz .LBB83_8
; %bb.7:                                ;   in Loop: Header=BB83_4 Depth=1
	global_load_ubyte v28, v[20:21], off
.LBB83_8:                               ;   in Loop: Header=BB83_4 Depth=1
	s_or_b64 exec, exec, s[4:5]
	v_lshl_add_u64 v[22:23], v[10:11], 0, s[16:17]
	v_cmp_gt_u64_e64 s[4:5], s[14:15], v[22:23]
	v_lshl_add_u64 v[22:23], v[8:9], 0, s[16:17]
	s_and_saveexec_b64 s[6:7], s[4:5]
	s_cbranch_execz .LBB83_10
; %bb.9:                                ;   in Loop: Header=BB83_4 Depth=1
	global_load_ubyte v26, v[22:23], off
.LBB83_10:                              ;   in Loop: Header=BB83_4 Depth=1
	s_or_b64 exec, exec, s[6:7]
	v_lshl_add_u64 v[24:25], v[6:7], 0, s[16:17]
	v_cmp_gt_u64_e64 s[6:7], s[14:15], v[24:25]
	v_mov_b32_e32 v29, 0
	v_lshl_add_u64 v[24:25], v[4:5], 0, s[16:17]
	s_and_saveexec_b64 s[18:19], s[6:7]
	s_cbranch_execnz .LBB83_15
; %bb.11:                               ;   in Loop: Header=BB83_4 Depth=1
	s_or_b64 exec, exec, s[18:19]
	s_and_saveexec_b64 s[18:19], vcc
	s_cbranch_execnz .LBB83_16
.LBB83_12:                              ;   in Loop: Header=BB83_4 Depth=1
	s_or_b64 exec, exec, s[18:19]
	s_and_saveexec_b64 s[18:19], s[2:3]
	s_cbranch_execnz .LBB83_17
.LBB83_13:                              ;   in Loop: Header=BB83_4 Depth=1
	s_or_b64 exec, exec, s[18:19]
	s_and_saveexec_b64 s[2:3], s[4:5]
	s_cbranch_execnz .LBB83_18
.LBB83_14:                              ;   in Loop: Header=BB83_4 Depth=1
	s_or_b64 exec, exec, s[2:3]
	s_and_saveexec_b64 s[2:3], s[6:7]
	s_cbranch_execz .LBB83_3
	s_branch .LBB83_19
.LBB83_15:                              ;   in Loop: Header=BB83_4 Depth=1
	global_load_ubyte v29, v[24:25], off
	s_or_b64 exec, exec, s[18:19]
	s_and_saveexec_b64 s[18:19], vcc
	s_cbranch_execz .LBB83_12
.LBB83_16:                              ;   in Loop: Header=BB83_4 Depth=1
	s_waitcnt vmcnt(0)
	v_subrev_u16_e32 v27, s22, v27
	global_store_byte v[18:19], v27, off
	s_or_b64 exec, exec, s[18:19]
	s_and_saveexec_b64 s[18:19], s[2:3]
	s_cbranch_execz .LBB83_13
.LBB83_17:                              ;   in Loop: Header=BB83_4 Depth=1
	s_waitcnt vmcnt(0)
	v_subrev_u16_e32 v18, s22, v28
	global_store_byte v[20:21], v18, off
	s_or_b64 exec, exec, s[18:19]
	s_and_saveexec_b64 s[2:3], s[4:5]
	s_cbranch_execz .LBB83_14
.LBB83_18:                              ;   in Loop: Header=BB83_4 Depth=1
	s_waitcnt vmcnt(0)
	v_subrev_u16_e32 v18, s22, v26
	global_store_byte v[22:23], v18, off
	s_or_b64 exec, exec, s[2:3]
	s_and_saveexec_b64 s[2:3], s[6:7]
	s_cbranch_execz .LBB83_3
.LBB83_19:                              ;   in Loop: Header=BB83_4 Depth=1
	s_waitcnt vmcnt(0)
	v_subrev_u16_e32 v18, s22, v29
	global_store_byte v[24:25], v18, off
	s_branch .LBB83_3
.LBB83_20:
	s_cbranch_execz .LBB83_22
	s_branch .LBB83_25
.LBB83_21:
.LBB83_22:
	v_mov_b64_e32 v[4:5], 0x10000
	v_cmp_lt_i64_e32 vcc, s[12:13], v[4:5]
	s_and_b64 s[4:5], vcc, exec
	v_mov_b32_e32 v3, 0
	s_cselect_b32 s5, s13, 0
	s_cselect_b32 s4, s12, 0x10000
	v_lshlrev_b32_e32 v2, 2, v0
	s_mov_b32 s3, 0
	v_cmp_gt_i64_e32 vcc, s[4:5], v[2:3]
	s_and_saveexec_b64 s[6:7], vcc
	s_cbranch_execz .LBB83_25
; %bb.23:
	s_load_dword s0, s[0:1], 0xd3c
	v_mov_b32_e32 v1, v3
	s_mov_b32 s1, s3
	s_mov_b64 s[6:7], 0
	s_waitcnt lgkmcnt(0)
	s_and_b32 s2, s0, 0xffff
	s_add_u32 s8, s8, s10
	s_addc_u32 s9, s9, s11
	s_lshl_b32 s0, s2, 2
	v_lshl_add_u64 v[2:3], s[8:9], 0, v[2:3]
	s_lshr_b32 s8, s20, 16
	s_movk_i32 s9, 0xff
.LBB83_24:                              ; =>This Inner Loop Header: Depth=1
	global_load_dword v6, v[2:3], off
	v_lshl_add_u64 v[0:1], v[0:1], 0, s[2:3]
	v_lshlrev_b64 v[4:5], 2, v[0:1]
	v_cmp_le_i64_e32 vcc, s[4:5], v[4:5]
	s_or_b64 s[6:7], vcc, s[6:7]
	s_waitcnt vmcnt(0)
	v_subrev_u16_e32 v4, s8, v6
	v_lshrrev_b32_e32 v5, 8, v6
	v_sub_u16_sdwa v7, v6, s8 dst_sel:DWORD dst_unused:UNUSED_PAD src0_sel:WORD_1 src1_sel:DWORD
	v_sub_u16_sdwa v6, v6, s8 dst_sel:BYTE_1 dst_unused:UNUSED_PAD src0_sel:BYTE_3 src1_sel:DWORD
	v_sub_u16_sdwa v5, v5, s8 dst_sel:BYTE_1 dst_unused:UNUSED_PAD src0_sel:DWORD src1_sel:DWORD
	v_bitop3_b16 v6, v7, v6, s9 bitop3:0xec
	v_lshlrev_b32_e32 v6, 16, v6
	v_bitop3_b16 v4, v4, v5, s9 bitop3:0xec
	v_or_b32_sdwa v4, v4, v6 dst_sel:DWORD dst_unused:UNUSED_PAD src0_sel:WORD_0 src1_sel:DWORD
	global_store_dword v[2:3], v4, off
	v_lshl_add_u64 v[2:3], v[2:3], 0, s[0:1]
	s_andn2_b64 exec, exec, s[6:7]
	s_cbranch_execnz .LBB83_24
.LBB83_25:
	s_endpgm
	.section	.rodata,"a",@progbits
	.p2align	6, 0x0
	.amdhsa_kernel _ZN2at6native12_GLOBAL__N_125multi_tensor_apply_kernelINS1_18TensorListMetadataILi1EEENS1_21BinaryOpScalarFunctorIhLi1ELi1ELi0EEEJSt5minusIhEhEEEvT_T0_DpT1_
		.amdhsa_group_segment_fixed_size 0
		.amdhsa_private_segment_fixed_size 0
		.amdhsa_kernarg_size 3632
		.amdhsa_user_sgpr_count 2
		.amdhsa_user_sgpr_dispatch_ptr 0
		.amdhsa_user_sgpr_queue_ptr 0
		.amdhsa_user_sgpr_kernarg_segment_ptr 1
		.amdhsa_user_sgpr_dispatch_id 0
		.amdhsa_user_sgpr_kernarg_preload_length 0
		.amdhsa_user_sgpr_kernarg_preload_offset 0
		.amdhsa_user_sgpr_private_segment_size 0
		.amdhsa_uses_dynamic_stack 0
		.amdhsa_enable_private_segment 0
		.amdhsa_system_sgpr_workgroup_id_x 1
		.amdhsa_system_sgpr_workgroup_id_y 0
		.amdhsa_system_sgpr_workgroup_id_z 0
		.amdhsa_system_sgpr_workgroup_info 0
		.amdhsa_system_vgpr_workitem_id 0
		.amdhsa_next_free_vgpr 30
		.amdhsa_next_free_sgpr 23
		.amdhsa_accum_offset 32
		.amdhsa_reserve_vcc 1
		.amdhsa_float_round_mode_32 0
		.amdhsa_float_round_mode_16_64 0
		.amdhsa_float_denorm_mode_32 3
		.amdhsa_float_denorm_mode_16_64 3
		.amdhsa_dx10_clamp 1
		.amdhsa_ieee_mode 1
		.amdhsa_fp16_overflow 0
		.amdhsa_tg_split 0
		.amdhsa_exception_fp_ieee_invalid_op 0
		.amdhsa_exception_fp_denorm_src 0
		.amdhsa_exception_fp_ieee_div_zero 0
		.amdhsa_exception_fp_ieee_overflow 0
		.amdhsa_exception_fp_ieee_underflow 0
		.amdhsa_exception_fp_ieee_inexact 0
		.amdhsa_exception_int_div_zero 0
	.end_amdhsa_kernel
	.section	.text._ZN2at6native12_GLOBAL__N_125multi_tensor_apply_kernelINS1_18TensorListMetadataILi1EEENS1_21BinaryOpScalarFunctorIhLi1ELi1ELi0EEEJSt5minusIhEhEEEvT_T0_DpT1_,"axG",@progbits,_ZN2at6native12_GLOBAL__N_125multi_tensor_apply_kernelINS1_18TensorListMetadataILi1EEENS1_21BinaryOpScalarFunctorIhLi1ELi1ELi0EEEJSt5minusIhEhEEEvT_T0_DpT1_,comdat
.Lfunc_end83:
	.size	_ZN2at6native12_GLOBAL__N_125multi_tensor_apply_kernelINS1_18TensorListMetadataILi1EEENS1_21BinaryOpScalarFunctorIhLi1ELi1ELi0EEEJSt5minusIhEhEEEvT_T0_DpT1_, .Lfunc_end83-_ZN2at6native12_GLOBAL__N_125multi_tensor_apply_kernelINS1_18TensorListMetadataILi1EEENS1_21BinaryOpScalarFunctorIhLi1ELi1ELi0EEEJSt5minusIhEhEEEvT_T0_DpT1_
                                        ; -- End function
	.set _ZN2at6native12_GLOBAL__N_125multi_tensor_apply_kernelINS1_18TensorListMetadataILi1EEENS1_21BinaryOpScalarFunctorIhLi1ELi1ELi0EEEJSt5minusIhEhEEEvT_T0_DpT1_.num_vgpr, 30
	.set _ZN2at6native12_GLOBAL__N_125multi_tensor_apply_kernelINS1_18TensorListMetadataILi1EEENS1_21BinaryOpScalarFunctorIhLi1ELi1ELi0EEEJSt5minusIhEhEEEvT_T0_DpT1_.num_agpr, 0
	.set _ZN2at6native12_GLOBAL__N_125multi_tensor_apply_kernelINS1_18TensorListMetadataILi1EEENS1_21BinaryOpScalarFunctorIhLi1ELi1ELi0EEEJSt5minusIhEhEEEvT_T0_DpT1_.numbered_sgpr, 23
	.set _ZN2at6native12_GLOBAL__N_125multi_tensor_apply_kernelINS1_18TensorListMetadataILi1EEENS1_21BinaryOpScalarFunctorIhLi1ELi1ELi0EEEJSt5minusIhEhEEEvT_T0_DpT1_.num_named_barrier, 0
	.set _ZN2at6native12_GLOBAL__N_125multi_tensor_apply_kernelINS1_18TensorListMetadataILi1EEENS1_21BinaryOpScalarFunctorIhLi1ELi1ELi0EEEJSt5minusIhEhEEEvT_T0_DpT1_.private_seg_size, 0
	.set _ZN2at6native12_GLOBAL__N_125multi_tensor_apply_kernelINS1_18TensorListMetadataILi1EEENS1_21BinaryOpScalarFunctorIhLi1ELi1ELi0EEEJSt5minusIhEhEEEvT_T0_DpT1_.uses_vcc, 1
	.set _ZN2at6native12_GLOBAL__N_125multi_tensor_apply_kernelINS1_18TensorListMetadataILi1EEENS1_21BinaryOpScalarFunctorIhLi1ELi1ELi0EEEJSt5minusIhEhEEEvT_T0_DpT1_.uses_flat_scratch, 0
	.set _ZN2at6native12_GLOBAL__N_125multi_tensor_apply_kernelINS1_18TensorListMetadataILi1EEENS1_21BinaryOpScalarFunctorIhLi1ELi1ELi0EEEJSt5minusIhEhEEEvT_T0_DpT1_.has_dyn_sized_stack, 0
	.set _ZN2at6native12_GLOBAL__N_125multi_tensor_apply_kernelINS1_18TensorListMetadataILi1EEENS1_21BinaryOpScalarFunctorIhLi1ELi1ELi0EEEJSt5minusIhEhEEEvT_T0_DpT1_.has_recursion, 0
	.set _ZN2at6native12_GLOBAL__N_125multi_tensor_apply_kernelINS1_18TensorListMetadataILi1EEENS1_21BinaryOpScalarFunctorIhLi1ELi1ELi0EEEJSt5minusIhEhEEEvT_T0_DpT1_.has_indirect_call, 0
	.section	.AMDGPU.csdata,"",@progbits
; Kernel info:
; codeLenInByte = 968
; TotalNumSgprs: 29
; NumVgprs: 30
; NumAgprs: 0
; TotalNumVgprs: 30
; ScratchSize: 0
; MemoryBound: 0
; FloatMode: 240
; IeeeMode: 1
; LDSByteSize: 0 bytes/workgroup (compile time only)
; SGPRBlocks: 3
; VGPRBlocks: 3
; NumSGPRsForWavesPerEU: 29
; NumVGPRsForWavesPerEU: 30
; AccumOffset: 32
; Occupancy: 8
; WaveLimiterHint : 0
; COMPUTE_PGM_RSRC2:SCRATCH_EN: 0
; COMPUTE_PGM_RSRC2:USER_SGPR: 2
; COMPUTE_PGM_RSRC2:TRAP_HANDLER: 0
; COMPUTE_PGM_RSRC2:TGID_X_EN: 1
; COMPUTE_PGM_RSRC2:TGID_Y_EN: 0
; COMPUTE_PGM_RSRC2:TGID_Z_EN: 0
; COMPUTE_PGM_RSRC2:TIDIG_COMP_CNT: 0
; COMPUTE_PGM_RSRC3_GFX90A:ACCUM_OFFSET: 7
; COMPUTE_PGM_RSRC3_GFX90A:TG_SPLIT: 0
	.section	.text._ZN2at6native12_GLOBAL__N_125multi_tensor_apply_kernelINS1_18TensorListMetadataILi1EEENS1_21BinaryOpScalarFunctorIaLi1ELi1ELi0EEEJSt5minusIaEaEEEvT_T0_DpT1_,"axG",@progbits,_ZN2at6native12_GLOBAL__N_125multi_tensor_apply_kernelINS1_18TensorListMetadataILi1EEENS1_21BinaryOpScalarFunctorIaLi1ELi1ELi0EEEJSt5minusIaEaEEEvT_T0_DpT1_,comdat
	.globl	_ZN2at6native12_GLOBAL__N_125multi_tensor_apply_kernelINS1_18TensorListMetadataILi1EEENS1_21BinaryOpScalarFunctorIaLi1ELi1ELi0EEEJSt5minusIaEaEEEvT_T0_DpT1_ ; -- Begin function _ZN2at6native12_GLOBAL__N_125multi_tensor_apply_kernelINS1_18TensorListMetadataILi1EEENS1_21BinaryOpScalarFunctorIaLi1ELi1ELi0EEEJSt5minusIaEaEEEvT_T0_DpT1_
	.p2align	8
	.type	_ZN2at6native12_GLOBAL__N_125multi_tensor_apply_kernelINS1_18TensorListMetadataILi1EEENS1_21BinaryOpScalarFunctorIaLi1ELi1ELi0EEEJSt5minusIaEaEEEvT_T0_DpT1_,@function
_ZN2at6native12_GLOBAL__N_125multi_tensor_apply_kernelINS1_18TensorListMetadataILi1EEENS1_21BinaryOpScalarFunctorIaLi1ELi1ELi0EEEJSt5minusIaEaEEEvT_T0_DpT1_: ; @_ZN2at6native12_GLOBAL__N_125multi_tensor_apply_kernelINS1_18TensorListMetadataILi1EEENS1_21BinaryOpScalarFunctorIaLi1ELi1ELi0EEEJSt5minusIaEaEEEvT_T0_DpT1_
; %bb.0:
	v_mov_b32_e32 v1, s2
	global_load_ubyte v1, v1, s[0:1] offset:1760
	s_add_u32 s3, s0, s2
	s_mul_hi_u32 s4, s2, 3
	s_mul_i32 s2, s2, 3
	s_addc_u32 s5, s1, 0
	s_add_u32 s2, s3, s2
	s_addc_u32 s3, s5, s4
	s_load_dword s2, s[2:3], 0x820
	s_waitcnt vmcnt(0)
	v_readfirstlane_b32 s3, v1
	s_lshl_b32 s3, s3, 3
	s_load_dwordx2 s[4:5], s[0:1], s3 offset:0x370
	s_load_dword s20, s[0:1], 0xd28
	s_load_dwordx2 s[8:9], s[0:1], s3 offset:0x0
	s_waitcnt lgkmcnt(0)
	s_ashr_i32 s3, s2, 31
	s_lshl_b64 s[10:11], s[2:3], 16
	s_sub_u32 s12, s4, s10
	s_subb_u32 s13, s5, s11
	s_or_b32 s2, s4, s8
	s_and_b32 s2, s2, 3
	s_cmp_eq_u32 s2, 0
	s_cbranch_scc1 .LBB84_21
; %bb.1:
	v_cmp_lt_i64_e64 s[2:3], s[12:13], 1
	s_and_b64 vcc, exec, s[2:3]
	s_cbranch_vccnz .LBB84_20
; %bb.2:
	s_load_dword s2, s[0:1], 0xd3c
	v_mov_b64_e32 v[2:3], 0x10000
	v_cmp_lt_i64_e32 vcc, s[12:13], v[2:3]
	s_and_b64 s[4:5], vcc, exec
	s_cselect_b32 s5, s13, 0
	s_cselect_b32 s4, s12, 0x10000
	s_waitcnt lgkmcnt(0)
	s_and_b32 s2, s2, 0xffff
	v_cmp_lt_u64_e32 vcc, s[12:13], v[2:3]
	s_and_b64 s[6:7], vcc, exec
	s_cselect_b32 s15, s13, 0
	s_cselect_b32 s14, s12, 0x10000
	s_lshl_b32 s6, s2, 1
	s_mul_i32 s16, s2, 3
	s_lshl_b32 s21, s2, 2
	s_add_u32 s18, s10, s16
	s_addc_u32 s19, s11, 0
	s_mov_b32 s3, 0
	s_add_u32 s18, s8, s18
	v_mov_b32_e32 v1, 0
	s_mov_b32 s17, s3
	s_addc_u32 s19, s9, s19
	v_lshl_add_u64 v[6:7], s[16:17], 0, v[0:1]
	s_add_u32 s16, s10, s6
	s_addc_u32 s17, s11, 0
	s_add_u32 s16, s8, s16
	s_mov_b32 s7, s3
	s_addc_u32 s17, s9, s17
	v_lshl_add_u64 v[10:11], s[6:7], 0, v[0:1]
	s_add_u32 s6, s8, s2
	v_lshl_add_u64 v[12:13], s[10:11], 0, v[0:1]
	s_addc_u32 s7, s9, 0
	v_lshl_add_u64 v[2:3], s[8:9], 0, v[12:13]
	v_lshl_add_u64 v[4:5], s[18:19], 0, v[0:1]
	;; [unrolled: 1-line block ×5, first 2 shown]
	s_mov_b64 s[16:17], 0
	s_lshr_b32 s22, s20, 16
	v_mov_b64_e32 v[16:17], s[4:5]
	s_branch .LBB84_4
.LBB84_3:                               ;   in Loop: Header=BB84_4 Depth=1
	s_or_b64 exec, exec, s[2:3]
	s_add_u32 s16, s16, s21
	s_addc_u32 s17, s17, 0
	v_cmp_lt_i64_e32 vcc, s[16:17], v[16:17]
	s_cbranch_vccz .LBB84_20
.LBB84_4:                               ; =>This Inner Loop Header: Depth=1
	v_lshl_add_u64 v[18:19], v[0:1], 0, s[16:17]
	v_cmp_gt_u64_e32 vcc, s[14:15], v[18:19]
	v_lshl_add_u64 v[18:19], v[2:3], 0, s[16:17]
	s_waitcnt vmcnt(0)
	v_mov_b32_e32 v27, 0
	s_and_saveexec_b64 s[2:3], vcc
	s_cbranch_execz .LBB84_6
; %bb.5:                                ;   in Loop: Header=BB84_4 Depth=1
	global_load_ubyte v27, v[18:19], off
.LBB84_6:                               ;   in Loop: Header=BB84_4 Depth=1
	s_or_b64 exec, exec, s[2:3]
	v_lshl_add_u64 v[20:21], v[14:15], 0, s[16:17]
	v_cmp_gt_u64_e64 s[2:3], s[14:15], v[20:21]
	v_mov_b32_e32 v26, 0
	v_lshl_add_u64 v[20:21], v[12:13], 0, s[16:17]
	v_mov_b32_e32 v28, 0
	s_and_saveexec_b64 s[4:5], s[2:3]
	s_cbranch_execz .LBB84_8
; %bb.7:                                ;   in Loop: Header=BB84_4 Depth=1
	global_load_ubyte v28, v[20:21], off
.LBB84_8:                               ;   in Loop: Header=BB84_4 Depth=1
	s_or_b64 exec, exec, s[4:5]
	v_lshl_add_u64 v[22:23], v[10:11], 0, s[16:17]
	v_cmp_gt_u64_e64 s[4:5], s[14:15], v[22:23]
	v_lshl_add_u64 v[22:23], v[8:9], 0, s[16:17]
	s_and_saveexec_b64 s[6:7], s[4:5]
	s_cbranch_execz .LBB84_10
; %bb.9:                                ;   in Loop: Header=BB84_4 Depth=1
	global_load_ubyte v26, v[22:23], off
.LBB84_10:                              ;   in Loop: Header=BB84_4 Depth=1
	s_or_b64 exec, exec, s[6:7]
	v_lshl_add_u64 v[24:25], v[6:7], 0, s[16:17]
	v_cmp_gt_u64_e64 s[6:7], s[14:15], v[24:25]
	v_mov_b32_e32 v29, 0
	v_lshl_add_u64 v[24:25], v[4:5], 0, s[16:17]
	s_and_saveexec_b64 s[18:19], s[6:7]
	s_cbranch_execnz .LBB84_15
; %bb.11:                               ;   in Loop: Header=BB84_4 Depth=1
	s_or_b64 exec, exec, s[18:19]
	s_and_saveexec_b64 s[18:19], vcc
	s_cbranch_execnz .LBB84_16
.LBB84_12:                              ;   in Loop: Header=BB84_4 Depth=1
	s_or_b64 exec, exec, s[18:19]
	s_and_saveexec_b64 s[18:19], s[2:3]
	s_cbranch_execnz .LBB84_17
.LBB84_13:                              ;   in Loop: Header=BB84_4 Depth=1
	s_or_b64 exec, exec, s[18:19]
	s_and_saveexec_b64 s[2:3], s[4:5]
	s_cbranch_execnz .LBB84_18
.LBB84_14:                              ;   in Loop: Header=BB84_4 Depth=1
	s_or_b64 exec, exec, s[2:3]
	s_and_saveexec_b64 s[2:3], s[6:7]
	s_cbranch_execz .LBB84_3
	s_branch .LBB84_19
.LBB84_15:                              ;   in Loop: Header=BB84_4 Depth=1
	global_load_ubyte v29, v[24:25], off
	s_or_b64 exec, exec, s[18:19]
	s_and_saveexec_b64 s[18:19], vcc
	s_cbranch_execz .LBB84_12
.LBB84_16:                              ;   in Loop: Header=BB84_4 Depth=1
	s_waitcnt vmcnt(0)
	v_subrev_u16_e32 v27, s22, v27
	global_store_byte v[18:19], v27, off
	s_or_b64 exec, exec, s[18:19]
	s_and_saveexec_b64 s[18:19], s[2:3]
	s_cbranch_execz .LBB84_13
.LBB84_17:                              ;   in Loop: Header=BB84_4 Depth=1
	s_waitcnt vmcnt(0)
	v_subrev_u16_e32 v18, s22, v28
	global_store_byte v[20:21], v18, off
	s_or_b64 exec, exec, s[18:19]
	s_and_saveexec_b64 s[2:3], s[4:5]
	s_cbranch_execz .LBB84_14
.LBB84_18:                              ;   in Loop: Header=BB84_4 Depth=1
	s_waitcnt vmcnt(0)
	v_subrev_u16_e32 v18, s22, v26
	global_store_byte v[22:23], v18, off
	s_or_b64 exec, exec, s[2:3]
	s_and_saveexec_b64 s[2:3], s[6:7]
	s_cbranch_execz .LBB84_3
.LBB84_19:                              ;   in Loop: Header=BB84_4 Depth=1
	s_waitcnt vmcnt(0)
	v_subrev_u16_e32 v18, s22, v29
	global_store_byte v[24:25], v18, off
	s_branch .LBB84_3
.LBB84_20:
	s_cbranch_execz .LBB84_22
	s_branch .LBB84_25
.LBB84_21:
.LBB84_22:
	v_mov_b64_e32 v[4:5], 0x10000
	v_cmp_lt_i64_e32 vcc, s[12:13], v[4:5]
	s_and_b64 s[4:5], vcc, exec
	v_mov_b32_e32 v3, 0
	s_cselect_b32 s5, s13, 0
	s_cselect_b32 s4, s12, 0x10000
	v_lshlrev_b32_e32 v2, 2, v0
	s_mov_b32 s3, 0
	v_cmp_gt_i64_e32 vcc, s[4:5], v[2:3]
	s_and_saveexec_b64 s[6:7], vcc
	s_cbranch_execz .LBB84_25
; %bb.23:
	s_load_dword s0, s[0:1], 0xd3c
	v_mov_b32_e32 v1, v3
	s_mov_b32 s1, s3
	s_mov_b64 s[6:7], 0
	s_waitcnt lgkmcnt(0)
	s_and_b32 s2, s0, 0xffff
	s_add_u32 s8, s8, s10
	s_addc_u32 s9, s9, s11
	s_lshl_b32 s0, s2, 2
	v_lshl_add_u64 v[2:3], s[8:9], 0, v[2:3]
	s_lshr_b32 s8, s20, 16
	s_movk_i32 s9, 0xff
.LBB84_24:                              ; =>This Inner Loop Header: Depth=1
	global_load_dword v6, v[2:3], off
	v_lshl_add_u64 v[0:1], v[0:1], 0, s[2:3]
	v_lshlrev_b64 v[4:5], 2, v[0:1]
	v_cmp_le_i64_e32 vcc, s[4:5], v[4:5]
	s_or_b64 s[6:7], vcc, s[6:7]
	s_waitcnt vmcnt(0)
	v_subrev_u16_e32 v4, s8, v6
	v_lshrrev_b32_e32 v5, 8, v6
	v_sub_u16_sdwa v7, v6, s8 dst_sel:DWORD dst_unused:UNUSED_PAD src0_sel:WORD_1 src1_sel:DWORD
	v_sub_u16_sdwa v6, v6, s8 dst_sel:BYTE_1 dst_unused:UNUSED_PAD src0_sel:BYTE_3 src1_sel:DWORD
	v_sub_u16_sdwa v5, v5, s8 dst_sel:BYTE_1 dst_unused:UNUSED_PAD src0_sel:DWORD src1_sel:DWORD
	v_bitop3_b16 v6, v7, v6, s9 bitop3:0xec
	v_lshlrev_b32_e32 v6, 16, v6
	v_bitop3_b16 v4, v4, v5, s9 bitop3:0xec
	v_or_b32_sdwa v4, v4, v6 dst_sel:DWORD dst_unused:UNUSED_PAD src0_sel:WORD_0 src1_sel:DWORD
	global_store_dword v[2:3], v4, off
	v_lshl_add_u64 v[2:3], v[2:3], 0, s[0:1]
	s_andn2_b64 exec, exec, s[6:7]
	s_cbranch_execnz .LBB84_24
.LBB84_25:
	s_endpgm
	.section	.rodata,"a",@progbits
	.p2align	6, 0x0
	.amdhsa_kernel _ZN2at6native12_GLOBAL__N_125multi_tensor_apply_kernelINS1_18TensorListMetadataILi1EEENS1_21BinaryOpScalarFunctorIaLi1ELi1ELi0EEEJSt5minusIaEaEEEvT_T0_DpT1_
		.amdhsa_group_segment_fixed_size 0
		.amdhsa_private_segment_fixed_size 0
		.amdhsa_kernarg_size 3632
		.amdhsa_user_sgpr_count 2
		.amdhsa_user_sgpr_dispatch_ptr 0
		.amdhsa_user_sgpr_queue_ptr 0
		.amdhsa_user_sgpr_kernarg_segment_ptr 1
		.amdhsa_user_sgpr_dispatch_id 0
		.amdhsa_user_sgpr_kernarg_preload_length 0
		.amdhsa_user_sgpr_kernarg_preload_offset 0
		.amdhsa_user_sgpr_private_segment_size 0
		.amdhsa_uses_dynamic_stack 0
		.amdhsa_enable_private_segment 0
		.amdhsa_system_sgpr_workgroup_id_x 1
		.amdhsa_system_sgpr_workgroup_id_y 0
		.amdhsa_system_sgpr_workgroup_id_z 0
		.amdhsa_system_sgpr_workgroup_info 0
		.amdhsa_system_vgpr_workitem_id 0
		.amdhsa_next_free_vgpr 30
		.amdhsa_next_free_sgpr 23
		.amdhsa_accum_offset 32
		.amdhsa_reserve_vcc 1
		.amdhsa_float_round_mode_32 0
		.amdhsa_float_round_mode_16_64 0
		.amdhsa_float_denorm_mode_32 3
		.amdhsa_float_denorm_mode_16_64 3
		.amdhsa_dx10_clamp 1
		.amdhsa_ieee_mode 1
		.amdhsa_fp16_overflow 0
		.amdhsa_tg_split 0
		.amdhsa_exception_fp_ieee_invalid_op 0
		.amdhsa_exception_fp_denorm_src 0
		.amdhsa_exception_fp_ieee_div_zero 0
		.amdhsa_exception_fp_ieee_overflow 0
		.amdhsa_exception_fp_ieee_underflow 0
		.amdhsa_exception_fp_ieee_inexact 0
		.amdhsa_exception_int_div_zero 0
	.end_amdhsa_kernel
	.section	.text._ZN2at6native12_GLOBAL__N_125multi_tensor_apply_kernelINS1_18TensorListMetadataILi1EEENS1_21BinaryOpScalarFunctorIaLi1ELi1ELi0EEEJSt5minusIaEaEEEvT_T0_DpT1_,"axG",@progbits,_ZN2at6native12_GLOBAL__N_125multi_tensor_apply_kernelINS1_18TensorListMetadataILi1EEENS1_21BinaryOpScalarFunctorIaLi1ELi1ELi0EEEJSt5minusIaEaEEEvT_T0_DpT1_,comdat
.Lfunc_end84:
	.size	_ZN2at6native12_GLOBAL__N_125multi_tensor_apply_kernelINS1_18TensorListMetadataILi1EEENS1_21BinaryOpScalarFunctorIaLi1ELi1ELi0EEEJSt5minusIaEaEEEvT_T0_DpT1_, .Lfunc_end84-_ZN2at6native12_GLOBAL__N_125multi_tensor_apply_kernelINS1_18TensorListMetadataILi1EEENS1_21BinaryOpScalarFunctorIaLi1ELi1ELi0EEEJSt5minusIaEaEEEvT_T0_DpT1_
                                        ; -- End function
	.set _ZN2at6native12_GLOBAL__N_125multi_tensor_apply_kernelINS1_18TensorListMetadataILi1EEENS1_21BinaryOpScalarFunctorIaLi1ELi1ELi0EEEJSt5minusIaEaEEEvT_T0_DpT1_.num_vgpr, 30
	.set _ZN2at6native12_GLOBAL__N_125multi_tensor_apply_kernelINS1_18TensorListMetadataILi1EEENS1_21BinaryOpScalarFunctorIaLi1ELi1ELi0EEEJSt5minusIaEaEEEvT_T0_DpT1_.num_agpr, 0
	.set _ZN2at6native12_GLOBAL__N_125multi_tensor_apply_kernelINS1_18TensorListMetadataILi1EEENS1_21BinaryOpScalarFunctorIaLi1ELi1ELi0EEEJSt5minusIaEaEEEvT_T0_DpT1_.numbered_sgpr, 23
	.set _ZN2at6native12_GLOBAL__N_125multi_tensor_apply_kernelINS1_18TensorListMetadataILi1EEENS1_21BinaryOpScalarFunctorIaLi1ELi1ELi0EEEJSt5minusIaEaEEEvT_T0_DpT1_.num_named_barrier, 0
	.set _ZN2at6native12_GLOBAL__N_125multi_tensor_apply_kernelINS1_18TensorListMetadataILi1EEENS1_21BinaryOpScalarFunctorIaLi1ELi1ELi0EEEJSt5minusIaEaEEEvT_T0_DpT1_.private_seg_size, 0
	.set _ZN2at6native12_GLOBAL__N_125multi_tensor_apply_kernelINS1_18TensorListMetadataILi1EEENS1_21BinaryOpScalarFunctorIaLi1ELi1ELi0EEEJSt5minusIaEaEEEvT_T0_DpT1_.uses_vcc, 1
	.set _ZN2at6native12_GLOBAL__N_125multi_tensor_apply_kernelINS1_18TensorListMetadataILi1EEENS1_21BinaryOpScalarFunctorIaLi1ELi1ELi0EEEJSt5minusIaEaEEEvT_T0_DpT1_.uses_flat_scratch, 0
	.set _ZN2at6native12_GLOBAL__N_125multi_tensor_apply_kernelINS1_18TensorListMetadataILi1EEENS1_21BinaryOpScalarFunctorIaLi1ELi1ELi0EEEJSt5minusIaEaEEEvT_T0_DpT1_.has_dyn_sized_stack, 0
	.set _ZN2at6native12_GLOBAL__N_125multi_tensor_apply_kernelINS1_18TensorListMetadataILi1EEENS1_21BinaryOpScalarFunctorIaLi1ELi1ELi0EEEJSt5minusIaEaEEEvT_T0_DpT1_.has_recursion, 0
	.set _ZN2at6native12_GLOBAL__N_125multi_tensor_apply_kernelINS1_18TensorListMetadataILi1EEENS1_21BinaryOpScalarFunctorIaLi1ELi1ELi0EEEJSt5minusIaEaEEEvT_T0_DpT1_.has_indirect_call, 0
	.section	.AMDGPU.csdata,"",@progbits
; Kernel info:
; codeLenInByte = 968
; TotalNumSgprs: 29
; NumVgprs: 30
; NumAgprs: 0
; TotalNumVgprs: 30
; ScratchSize: 0
; MemoryBound: 0
; FloatMode: 240
; IeeeMode: 1
; LDSByteSize: 0 bytes/workgroup (compile time only)
; SGPRBlocks: 3
; VGPRBlocks: 3
; NumSGPRsForWavesPerEU: 29
; NumVGPRsForWavesPerEU: 30
; AccumOffset: 32
; Occupancy: 8
; WaveLimiterHint : 0
; COMPUTE_PGM_RSRC2:SCRATCH_EN: 0
; COMPUTE_PGM_RSRC2:USER_SGPR: 2
; COMPUTE_PGM_RSRC2:TRAP_HANDLER: 0
; COMPUTE_PGM_RSRC2:TGID_X_EN: 1
; COMPUTE_PGM_RSRC2:TGID_Y_EN: 0
; COMPUTE_PGM_RSRC2:TGID_Z_EN: 0
; COMPUTE_PGM_RSRC2:TIDIG_COMP_CNT: 0
; COMPUTE_PGM_RSRC3_GFX90A:ACCUM_OFFSET: 7
; COMPUTE_PGM_RSRC3_GFX90A:TG_SPLIT: 0
	.section	.text._ZN2at6native12_GLOBAL__N_125multi_tensor_apply_kernelINS1_18TensorListMetadataILi1EEENS1_21BinaryOpScalarFunctorIiLi1ELi1ELi0EEEJSt5minusIiEiEEEvT_T0_DpT1_,"axG",@progbits,_ZN2at6native12_GLOBAL__N_125multi_tensor_apply_kernelINS1_18TensorListMetadataILi1EEENS1_21BinaryOpScalarFunctorIiLi1ELi1ELi0EEEJSt5minusIiEiEEEvT_T0_DpT1_,comdat
	.globl	_ZN2at6native12_GLOBAL__N_125multi_tensor_apply_kernelINS1_18TensorListMetadataILi1EEENS1_21BinaryOpScalarFunctorIiLi1ELi1ELi0EEEJSt5minusIiEiEEEvT_T0_DpT1_ ; -- Begin function _ZN2at6native12_GLOBAL__N_125multi_tensor_apply_kernelINS1_18TensorListMetadataILi1EEENS1_21BinaryOpScalarFunctorIiLi1ELi1ELi0EEEJSt5minusIiEiEEEvT_T0_DpT1_
	.p2align	8
	.type	_ZN2at6native12_GLOBAL__N_125multi_tensor_apply_kernelINS1_18TensorListMetadataILi1EEENS1_21BinaryOpScalarFunctorIiLi1ELi1ELi0EEEJSt5minusIiEiEEEvT_T0_DpT1_,@function
_ZN2at6native12_GLOBAL__N_125multi_tensor_apply_kernelINS1_18TensorListMetadataILi1EEENS1_21BinaryOpScalarFunctorIiLi1ELi1ELi0EEEJSt5minusIiEiEEEvT_T0_DpT1_: ; @_ZN2at6native12_GLOBAL__N_125multi_tensor_apply_kernelINS1_18TensorListMetadataILi1EEENS1_21BinaryOpScalarFunctorIiLi1ELi1ELi0EEEJSt5minusIiEiEEEvT_T0_DpT1_
; %bb.0:
	v_mov_b32_e32 v1, s2
	global_load_ubyte v1, v1, s[0:1] offset:1760
	s_add_u32 s3, s0, s2
	s_mul_hi_u32 s4, s2, 3
	s_mul_i32 s2, s2, 3
	s_addc_u32 s5, s1, 0
	s_add_u32 s2, s3, s2
	s_addc_u32 s3, s5, s4
	s_load_dword s2, s[2:3], 0x820
	s_mov_b32 s7, 0
	s_waitcnt vmcnt(0)
	v_readfirstlane_b32 s3, v1
	s_lshl_b32 s3, s3, 3
	s_load_dword s10, s[0:1], 0xd2c
	s_load_dwordx2 s[4:5], s[0:1], s3 offset:0x370
	s_load_dwordx2 s[8:9], s[0:1], s3 offset:0x0
	s_waitcnt lgkmcnt(0)
	s_ashr_i32 s3, s2, 31
	s_lshl_b64 s[12:13], s[2:3], 18
	s_lshl_b64 s[2:3], s[2:3], 16
	s_and_b32 s6, s8, 15
	s_sub_u32 s14, s4, s2
	s_subb_u32 s15, s5, s3
	s_and_b32 s2, s4, 3
	s_mov_b32 s3, s7
	s_or_b64 s[2:3], s[6:7], s[2:3]
	s_cmp_eq_u64 s[2:3], 0
	s_cbranch_scc1 .LBB85_21
; %bb.1:
	v_cmp_lt_i64_e64 s[2:3], s[14:15], 1
	s_and_b64 vcc, exec, s[2:3]
	s_cbranch_vccnz .LBB85_20
; %bb.2:
	s_load_dword s2, s[0:1], 0xd3c
	v_mov_b64_e32 v[2:3], 0x10000
	v_cmp_lt_i64_e32 vcc, s[14:15], v[2:3]
	s_and_b64 s[4:5], vcc, exec
	s_cselect_b32 s5, s15, 0
	s_cselect_b32 s4, s14, 0x10000
	s_waitcnt lgkmcnt(0)
	s_and_b32 s2, s2, 0xffff
	v_cmp_lt_u64_e32 vcc, s[14:15], v[2:3]
	s_and_b64 s[6:7], vcc, exec
	s_mov_b32 s3, 0
	v_mov_b32_e32 v1, 0
	s_cselect_b32 s17, s15, 0
	s_cselect_b32 s16, s14, 0x10000
	s_lshl_b32 s6, s2, 1
	s_lshl_b32 s11, s2, 2
	s_add_u32 s24, s8, s12
	v_lshl_add_u64 v[8:9], v[0:1], 0, s[2:3]
	s_mov_b32 s7, s3
	s_mul_i32 s22, s2, 3
	s_mov_b32 s23, s3
	v_lshlrev_b32_e32 v2, 2, v0
	v_mov_b32_e32 v3, v1
	s_addc_u32 s25, s9, s13
	v_lshlrev_b32_e32 v10, 2, v8
	v_mov_b32_e32 v11, v1
	v_lshl_add_u64 v[2:3], s[24:25], 0, v[2:3]
	s_lshl_b32 s18, s2, 4
	s_mov_b32 s19, s3
	s_mul_i32 s20, s2, 12
	s_mov_b32 s21, s3
	v_lshl_add_u64 v[4:5], s[22:23], 0, v[0:1]
	s_lshl_b32 s22, s2, 3
	v_lshl_add_u64 v[6:7], s[6:7], 0, v[0:1]
	v_lshl_add_u64 v[10:11], s[24:25], 0, v[10:11]
	s_mov_b64 s[24:25], 0
	v_mov_b64_e32 v[12:13], s[4:5]
	s_branch .LBB85_4
.LBB85_3:                               ;   in Loop: Header=BB85_4 Depth=1
	s_or_b64 exec, exec, s[2:3]
	s_add_u32 s24, s24, s11
	s_addc_u32 s25, s25, 0
	v_cmp_lt_i64_e32 vcc, s[24:25], v[12:13]
	v_lshl_add_u64 v[2:3], v[2:3], 0, s[18:19]
	v_lshl_add_u64 v[10:11], v[10:11], 0, s[18:19]
	s_cbranch_vccz .LBB85_20
.LBB85_4:                               ; =>This Inner Loop Header: Depth=1
	v_lshl_add_u64 v[14:15], v[0:1], 0, s[24:25]
	v_cmp_gt_u64_e32 vcc, s[16:17], v[14:15]
	s_waitcnt vmcnt(0)
	v_mov_b32_e32 v19, 0
	s_and_saveexec_b64 s[2:3], vcc
	s_cbranch_execz .LBB85_6
; %bb.5:                                ;   in Loop: Header=BB85_4 Depth=1
	global_load_dword v19, v[2:3], off
.LBB85_6:                               ;   in Loop: Header=BB85_4 Depth=1
	s_or_b64 exec, exec, s[2:3]
	v_lshl_add_u64 v[14:15], v[8:9], 0, s[24:25]
	v_cmp_gt_u64_e64 s[2:3], s[16:17], v[14:15]
	v_mov_b32_e32 v18, 0
	v_mov_b32_e32 v20, 0
	s_and_saveexec_b64 s[4:5], s[2:3]
	s_cbranch_execz .LBB85_8
; %bb.7:                                ;   in Loop: Header=BB85_4 Depth=1
	global_load_dword v20, v[10:11], off
.LBB85_8:                               ;   in Loop: Header=BB85_4 Depth=1
	s_or_b64 exec, exec, s[4:5]
	v_lshl_add_u64 v[14:15], v[6:7], 0, s[24:25]
	v_cmp_gt_u64_e64 s[4:5], s[16:17], v[14:15]
	v_lshl_add_u64 v[14:15], v[2:3], 0, s[22:23]
	s_and_saveexec_b64 s[6:7], s[4:5]
	s_cbranch_execz .LBB85_10
; %bb.9:                                ;   in Loop: Header=BB85_4 Depth=1
	global_load_dword v18, v[14:15], off
.LBB85_10:                              ;   in Loop: Header=BB85_4 Depth=1
	s_or_b64 exec, exec, s[6:7]
	v_lshl_add_u64 v[16:17], v[4:5], 0, s[24:25]
	v_cmp_gt_u64_e64 s[6:7], s[16:17], v[16:17]
	v_mov_b32_e32 v21, 0
	v_lshl_add_u64 v[16:17], v[2:3], 0, s[20:21]
	s_and_saveexec_b64 s[26:27], s[6:7]
	s_cbranch_execnz .LBB85_15
; %bb.11:                               ;   in Loop: Header=BB85_4 Depth=1
	s_or_b64 exec, exec, s[26:27]
	s_and_saveexec_b64 s[26:27], vcc
	s_cbranch_execnz .LBB85_16
.LBB85_12:                              ;   in Loop: Header=BB85_4 Depth=1
	s_or_b64 exec, exec, s[26:27]
	s_and_saveexec_b64 s[26:27], s[2:3]
	s_cbranch_execnz .LBB85_17
.LBB85_13:                              ;   in Loop: Header=BB85_4 Depth=1
	s_or_b64 exec, exec, s[26:27]
	s_and_saveexec_b64 s[2:3], s[4:5]
	s_cbranch_execnz .LBB85_18
.LBB85_14:                              ;   in Loop: Header=BB85_4 Depth=1
	s_or_b64 exec, exec, s[2:3]
	s_and_saveexec_b64 s[2:3], s[6:7]
	s_cbranch_execz .LBB85_3
	s_branch .LBB85_19
.LBB85_15:                              ;   in Loop: Header=BB85_4 Depth=1
	global_load_dword v21, v[16:17], off
	s_or_b64 exec, exec, s[26:27]
	s_and_saveexec_b64 s[26:27], vcc
	s_cbranch_execz .LBB85_12
.LBB85_16:                              ;   in Loop: Header=BB85_4 Depth=1
	s_waitcnt vmcnt(0)
	v_subrev_u32_e32 v19, s10, v19
	global_store_dword v[2:3], v19, off
	s_or_b64 exec, exec, s[26:27]
	s_and_saveexec_b64 s[26:27], s[2:3]
	s_cbranch_execz .LBB85_13
.LBB85_17:                              ;   in Loop: Header=BB85_4 Depth=1
	s_waitcnt vmcnt(0)
	v_subrev_u32_e32 v19, s10, v20
	global_store_dword v[10:11], v19, off
	s_or_b64 exec, exec, s[26:27]
	s_and_saveexec_b64 s[2:3], s[4:5]
	s_cbranch_execz .LBB85_14
.LBB85_18:                              ;   in Loop: Header=BB85_4 Depth=1
	s_waitcnt vmcnt(0)
	v_subrev_u32_e32 v18, s10, v18
	global_store_dword v[14:15], v18, off
	s_or_b64 exec, exec, s[2:3]
	s_and_saveexec_b64 s[2:3], s[6:7]
	s_cbranch_execz .LBB85_3
.LBB85_19:                              ;   in Loop: Header=BB85_4 Depth=1
	s_waitcnt vmcnt(0)
	v_subrev_u32_e32 v14, s10, v21
	global_store_dword v[16:17], v14, off
	s_branch .LBB85_3
.LBB85_20:
	s_cbranch_execz .LBB85_22
	s_branch .LBB85_32
.LBB85_21:
.LBB85_22:
	v_mov_b64_e32 v[4:5], 0x10000
	v_cmp_lt_i64_e32 vcc, s[14:15], v[4:5]
	s_and_b64 s[2:3], vcc, exec
	v_mov_b32_e32 v3, 0
	s_cselect_b32 s3, s15, 0
	s_cselect_b32 s2, s14, 0x10000
	v_lshlrev_b32_e32 v2, 2, v0
	s_mov_b32 s4, 0
	v_cmp_gt_i64_e32 vcc, s[2:3], v[2:3]
	s_and_saveexec_b64 s[6:7], vcc
	s_cbranch_execz .LBB85_32
; %bb.23:
	v_add_u32_e32 v4, 4, v2
	v_mov_b32_e32 v5, v3
	v_mov_b32_e32 v6, s3
	v_cmp_gt_i64_e32 vcc, s[2:3], v[4:5]
	s_load_dword s0, s[0:1], 0xd3c
	v_mov_b32_e32 v1, v3
	v_cndmask_b32_e32 v5, 0, v6, vcc
	v_mov_b32_e32 v6, s2
	v_cndmask_b32_e32 v4, v4, v6, vcc
	v_lshl_add_u64 v[4:5], v[4:5], 0, -4
	v_cmp_ne_u64_e32 vcc, v[4:5], v[2:3]
	s_waitcnt lgkmcnt(0)
	s_and_b32 s0, s0, 0xffff
	v_mov_b32_e32 v7, s4
	v_cndmask_b32_e64 v6, 0, 1, vcc
	v_or_b32_e32 v2, v2, v6
	v_sub_co_u32_e32 v2, vcc, v4, v2
	s_cmp_lg_u32 s0, 1
	s_nop 0
	v_subbrev_co_u32_e32 v3, vcc, 0, v5, vcc
	v_lshrrev_b64 v[2:3], 2, v[2:3]
	v_lshl_add_u64 v[4:5], v[2:3], 0, v[6:7]
	v_cmp_eq_u64_e32 vcc, 0, v[4:5]
	s_cselect_b64 s[6:7], -1, 0
	s_mov_b64 s[4:5], 0
	s_or_b64 s[6:7], vcc, s[6:7]
	s_and_saveexec_b64 s[14:15], s[6:7]
	s_xor_b64 s[6:7], exec, s[14:15]
	s_cbranch_execnz .LBB85_26
; %bb.24:
	s_or_saveexec_b64 s[6:7], s[6:7]
	v_mov_b64_e32 v[2:3], s[10:11]
	s_xor_b64 exec, exec, s[6:7]
	s_cbranch_execnz .LBB85_27
.LBB85_25:
	s_or_b64 exec, exec, s[6:7]
	s_and_b64 exec, exec, s[4:5]
	s_cbranch_execnz .LBB85_30
	s_branch .LBB85_32
.LBB85_26:
	s_mov_b64 s[4:5], exec
                                        ; implicit-def: $vgpr4_vgpr5
	s_or_saveexec_b64 s[6:7], s[6:7]
	v_mov_b64_e32 v[2:3], s[10:11]
	s_xor_b64 exec, exec, s[6:7]
	s_cbranch_execz .LBB85_25
.LBB85_27:
	s_add_u32 s14, s8, s12
	v_lshl_add_u64 v[2:3], v[4:5], 0, 1
	v_lshlrev_b32_e32 v6, 4, v0
	v_mov_b32_e32 v7, 0
	s_addc_u32 s15, s9, s13
	v_and_b32_e32 v4, -2, v2
	v_mov_b32_e32 v5, v3
	v_lshl_add_u64 v[6:7], s[14:15], 0, v[6:7]
	s_mov_b32 s1, s10
	v_lshl_add_u64 v[6:7], v[6:7], 0, 28
	s_mov_b64 s[14:15], 0
	v_mov_b64_e32 v[8:9], v[4:5]
.LBB85_28:                              ; =>This Inner Loop Header: Depth=1
	global_load_dwordx4 v[10:13], v[6:7], off offset:-12
	global_load_dwordx4 v[14:17], v[6:7], off offset:-28
	v_lshl_add_u64 v[8:9], v[8:9], 0, -2
	v_cmp_eq_u64_e32 vcc, 0, v[8:9]
	s_or_b64 s[14:15], vcc, s[14:15]
	s_waitcnt vmcnt(1)
	v_subrev_u32_e32 v10, s1, v10
	s_waitcnt vmcnt(0)
	v_subrev_u32_e32 v14, s10, v14
	v_subrev_u32_e32 v15, s10, v15
	;; [unrolled: 1-line block ×7, first 2 shown]
	global_store_dwordx4 v[6:7], v[14:17], off offset:-28
	global_store_dwordx4 v[6:7], v[10:13], off offset:-12
	v_lshl_add_u64 v[6:7], v[6:7], 0, 32
	s_andn2_b64 exec, exec, s[14:15]
	s_cbranch_execnz .LBB85_28
; %bb.29:
	s_or_b64 exec, exec, s[14:15]
	v_cmp_ne_u64_e32 vcc, v[2:3], v[4:5]
	s_andn2_b64 s[4:5], s[4:5], exec
	s_and_b64 s[14:15], vcc, exec
	v_lshl_add_u64 v[0:1], v[4:5], 0, v[0:1]
	v_mov_b64_e32 v[2:3], s[10:11]
	s_or_b64 s[4:5], s[4:5], s[14:15]
	s_or_b64 exec, exec, s[6:7]
	s_and_b64 exec, exec, s[4:5]
	s_cbranch_execz .LBB85_32
.LBB85_30:
	s_add_u32 s4, s8, s12
	s_addc_u32 s5, s9, s13
	s_mov_b32 s1, 0
	v_lshl_add_u64 v[4:5], v[0:1], 4, s[4:5]
	v_mov_b32_e32 v3, s10
	v_lshl_add_u64 v[4:5], v[4:5], 0, 8
	s_lshl_b32 s4, s0, 4
	s_mov_b32 s5, s1
	s_mov_b64 s[6:7], 0
.LBB85_31:                              ; =>This Inner Loop Header: Depth=1
	global_load_dwordx4 v[6:9], v[4:5], off offset:-8
	v_lshl_add_u64 v[0:1], v[0:1], 0, s[0:1]
	v_lshlrev_b64 v[10:11], 2, v[0:1]
	v_cmp_le_i64_e32 vcc, s[2:3], v[10:11]
	s_or_b64 s[6:7], vcc, s[6:7]
	s_waitcnt vmcnt(0)
	v_sub_u32_e32 v7, v7, v3
	v_sub_u32_e32 v6, v6, v2
	;; [unrolled: 1-line block ×4, first 2 shown]
	global_store_dwordx4 v[4:5], v[6:9], off offset:-8
	v_lshl_add_u64 v[4:5], v[4:5], 0, s[4:5]
	s_andn2_b64 exec, exec, s[6:7]
	s_cbranch_execnz .LBB85_31
.LBB85_32:
	s_endpgm
	.section	.rodata,"a",@progbits
	.p2align	6, 0x0
	.amdhsa_kernel _ZN2at6native12_GLOBAL__N_125multi_tensor_apply_kernelINS1_18TensorListMetadataILi1EEENS1_21BinaryOpScalarFunctorIiLi1ELi1ELi0EEEJSt5minusIiEiEEEvT_T0_DpT1_
		.amdhsa_group_segment_fixed_size 0
		.amdhsa_private_segment_fixed_size 0
		.amdhsa_kernarg_size 3632
		.amdhsa_user_sgpr_count 2
		.amdhsa_user_sgpr_dispatch_ptr 0
		.amdhsa_user_sgpr_queue_ptr 0
		.amdhsa_user_sgpr_kernarg_segment_ptr 1
		.amdhsa_user_sgpr_dispatch_id 0
		.amdhsa_user_sgpr_kernarg_preload_length 0
		.amdhsa_user_sgpr_kernarg_preload_offset 0
		.amdhsa_user_sgpr_private_segment_size 0
		.amdhsa_uses_dynamic_stack 0
		.amdhsa_enable_private_segment 0
		.amdhsa_system_sgpr_workgroup_id_x 1
		.amdhsa_system_sgpr_workgroup_id_y 0
		.amdhsa_system_sgpr_workgroup_id_z 0
		.amdhsa_system_sgpr_workgroup_info 0
		.amdhsa_system_vgpr_workitem_id 0
		.amdhsa_next_free_vgpr 22
		.amdhsa_next_free_sgpr 28
		.amdhsa_accum_offset 24
		.amdhsa_reserve_vcc 1
		.amdhsa_float_round_mode_32 0
		.amdhsa_float_round_mode_16_64 0
		.amdhsa_float_denorm_mode_32 3
		.amdhsa_float_denorm_mode_16_64 3
		.amdhsa_dx10_clamp 1
		.amdhsa_ieee_mode 1
		.amdhsa_fp16_overflow 0
		.amdhsa_tg_split 0
		.amdhsa_exception_fp_ieee_invalid_op 0
		.amdhsa_exception_fp_denorm_src 0
		.amdhsa_exception_fp_ieee_div_zero 0
		.amdhsa_exception_fp_ieee_overflow 0
		.amdhsa_exception_fp_ieee_underflow 0
		.amdhsa_exception_fp_ieee_inexact 0
		.amdhsa_exception_int_div_zero 0
	.end_amdhsa_kernel
	.section	.text._ZN2at6native12_GLOBAL__N_125multi_tensor_apply_kernelINS1_18TensorListMetadataILi1EEENS1_21BinaryOpScalarFunctorIiLi1ELi1ELi0EEEJSt5minusIiEiEEEvT_T0_DpT1_,"axG",@progbits,_ZN2at6native12_GLOBAL__N_125multi_tensor_apply_kernelINS1_18TensorListMetadataILi1EEENS1_21BinaryOpScalarFunctorIiLi1ELi1ELi0EEEJSt5minusIiEiEEEvT_T0_DpT1_,comdat
.Lfunc_end85:
	.size	_ZN2at6native12_GLOBAL__N_125multi_tensor_apply_kernelINS1_18TensorListMetadataILi1EEENS1_21BinaryOpScalarFunctorIiLi1ELi1ELi0EEEJSt5minusIiEiEEEvT_T0_DpT1_, .Lfunc_end85-_ZN2at6native12_GLOBAL__N_125multi_tensor_apply_kernelINS1_18TensorListMetadataILi1EEENS1_21BinaryOpScalarFunctorIiLi1ELi1ELi0EEEJSt5minusIiEiEEEvT_T0_DpT1_
                                        ; -- End function
	.set _ZN2at6native12_GLOBAL__N_125multi_tensor_apply_kernelINS1_18TensorListMetadataILi1EEENS1_21BinaryOpScalarFunctorIiLi1ELi1ELi0EEEJSt5minusIiEiEEEvT_T0_DpT1_.num_vgpr, 22
	.set _ZN2at6native12_GLOBAL__N_125multi_tensor_apply_kernelINS1_18TensorListMetadataILi1EEENS1_21BinaryOpScalarFunctorIiLi1ELi1ELi0EEEJSt5minusIiEiEEEvT_T0_DpT1_.num_agpr, 0
	.set _ZN2at6native12_GLOBAL__N_125multi_tensor_apply_kernelINS1_18TensorListMetadataILi1EEENS1_21BinaryOpScalarFunctorIiLi1ELi1ELi0EEEJSt5minusIiEiEEEvT_T0_DpT1_.numbered_sgpr, 28
	.set _ZN2at6native12_GLOBAL__N_125multi_tensor_apply_kernelINS1_18TensorListMetadataILi1EEENS1_21BinaryOpScalarFunctorIiLi1ELi1ELi0EEEJSt5minusIiEiEEEvT_T0_DpT1_.num_named_barrier, 0
	.set _ZN2at6native12_GLOBAL__N_125multi_tensor_apply_kernelINS1_18TensorListMetadataILi1EEENS1_21BinaryOpScalarFunctorIiLi1ELi1ELi0EEEJSt5minusIiEiEEEvT_T0_DpT1_.private_seg_size, 0
	.set _ZN2at6native12_GLOBAL__N_125multi_tensor_apply_kernelINS1_18TensorListMetadataILi1EEENS1_21BinaryOpScalarFunctorIiLi1ELi1ELi0EEEJSt5minusIiEiEEEvT_T0_DpT1_.uses_vcc, 1
	.set _ZN2at6native12_GLOBAL__N_125multi_tensor_apply_kernelINS1_18TensorListMetadataILi1EEENS1_21BinaryOpScalarFunctorIiLi1ELi1ELi0EEEJSt5minusIiEiEEEvT_T0_DpT1_.uses_flat_scratch, 0
	.set _ZN2at6native12_GLOBAL__N_125multi_tensor_apply_kernelINS1_18TensorListMetadataILi1EEENS1_21BinaryOpScalarFunctorIiLi1ELi1ELi0EEEJSt5minusIiEiEEEvT_T0_DpT1_.has_dyn_sized_stack, 0
	.set _ZN2at6native12_GLOBAL__N_125multi_tensor_apply_kernelINS1_18TensorListMetadataILi1EEENS1_21BinaryOpScalarFunctorIiLi1ELi1ELi0EEEJSt5minusIiEiEEEvT_T0_DpT1_.has_recursion, 0
	.set _ZN2at6native12_GLOBAL__N_125multi_tensor_apply_kernelINS1_18TensorListMetadataILi1EEENS1_21BinaryOpScalarFunctorIiLi1ELi1ELi0EEEJSt5minusIiEiEEEvT_T0_DpT1_.has_indirect_call, 0
	.section	.AMDGPU.csdata,"",@progbits
; Kernel info:
; codeLenInByte = 1300
; TotalNumSgprs: 34
; NumVgprs: 22
; NumAgprs: 0
; TotalNumVgprs: 22
; ScratchSize: 0
; MemoryBound: 0
; FloatMode: 240
; IeeeMode: 1
; LDSByteSize: 0 bytes/workgroup (compile time only)
; SGPRBlocks: 4
; VGPRBlocks: 2
; NumSGPRsForWavesPerEU: 34
; NumVGPRsForWavesPerEU: 22
; AccumOffset: 24
; Occupancy: 8
; WaveLimiterHint : 0
; COMPUTE_PGM_RSRC2:SCRATCH_EN: 0
; COMPUTE_PGM_RSRC2:USER_SGPR: 2
; COMPUTE_PGM_RSRC2:TRAP_HANDLER: 0
; COMPUTE_PGM_RSRC2:TGID_X_EN: 1
; COMPUTE_PGM_RSRC2:TGID_Y_EN: 0
; COMPUTE_PGM_RSRC2:TGID_Z_EN: 0
; COMPUTE_PGM_RSRC2:TIDIG_COMP_CNT: 0
; COMPUTE_PGM_RSRC3_GFX90A:ACCUM_OFFSET: 5
; COMPUTE_PGM_RSRC3_GFX90A:TG_SPLIT: 0
	.section	.text._ZN2at6native12_GLOBAL__N_125multi_tensor_apply_kernelINS1_18TensorListMetadataILi1EEENS1_21BinaryOpScalarFunctorIlLi1ELi1ELi0EEEJSt5minusIlElEEEvT_T0_DpT1_,"axG",@progbits,_ZN2at6native12_GLOBAL__N_125multi_tensor_apply_kernelINS1_18TensorListMetadataILi1EEENS1_21BinaryOpScalarFunctorIlLi1ELi1ELi0EEEJSt5minusIlElEEEvT_T0_DpT1_,comdat
	.globl	_ZN2at6native12_GLOBAL__N_125multi_tensor_apply_kernelINS1_18TensorListMetadataILi1EEENS1_21BinaryOpScalarFunctorIlLi1ELi1ELi0EEEJSt5minusIlElEEEvT_T0_DpT1_ ; -- Begin function _ZN2at6native12_GLOBAL__N_125multi_tensor_apply_kernelINS1_18TensorListMetadataILi1EEENS1_21BinaryOpScalarFunctorIlLi1ELi1ELi0EEEJSt5minusIlElEEEvT_T0_DpT1_
	.p2align	8
	.type	_ZN2at6native12_GLOBAL__N_125multi_tensor_apply_kernelINS1_18TensorListMetadataILi1EEENS1_21BinaryOpScalarFunctorIlLi1ELi1ELi0EEEJSt5minusIlElEEEvT_T0_DpT1_,@function
_ZN2at6native12_GLOBAL__N_125multi_tensor_apply_kernelINS1_18TensorListMetadataILi1EEENS1_21BinaryOpScalarFunctorIlLi1ELi1ELi0EEEJSt5minusIlElEEEvT_T0_DpT1_: ; @_ZN2at6native12_GLOBAL__N_125multi_tensor_apply_kernelINS1_18TensorListMetadataILi1EEENS1_21BinaryOpScalarFunctorIlLi1ELi1ELi0EEEJSt5minusIlElEEEvT_T0_DpT1_
; %bb.0:
	v_mov_b32_e32 v1, s2
	global_load_ubyte v1, v1, s[0:1] offset:1760
	s_add_u32 s3, s0, s2
	s_mul_hi_u32 s4, s2, 3
	s_mul_i32 s2, s2, 3
	s_addc_u32 s5, s1, 0
	s_add_u32 s2, s3, s2
	s_addc_u32 s3, s5, s4
	s_load_dword s2, s[2:3], 0x820
	s_mov_b32 s7, 0
	s_waitcnt vmcnt(0)
	v_readfirstlane_b32 s3, v1
	s_lshl_b32 s3, s3, 3
	s_load_dwordx2 s[8:9], s[0:1], 0xd30
	s_load_dwordx2 s[4:5], s[0:1], s3 offset:0x370
	s_load_dwordx2 s[10:11], s[0:1], s3 offset:0x0
	s_waitcnt lgkmcnt(0)
	s_ashr_i32 s3, s2, 31
	s_lshl_b64 s[12:13], s[2:3], 19
	s_lshl_b64 s[2:3], s[2:3], 16
	s_and_b32 s6, s10, 31
	s_sub_u32 s14, s4, s2
	s_subb_u32 s15, s5, s3
	s_and_b32 s2, s4, 3
	s_mov_b32 s3, s7
	s_or_b64 s[2:3], s[6:7], s[2:3]
	s_cmp_eq_u64 s[2:3], 0
	s_cbranch_scc1 .LBB86_21
; %bb.1:
	v_cmp_lt_i64_e64 s[2:3], s[14:15], 1
	s_and_b64 vcc, exec, s[2:3]
	s_cbranch_vccnz .LBB86_20
; %bb.2:
	s_load_dword s2, s[0:1], 0xd44
	v_mov_b64_e32 v[2:3], 0x10000
	v_cmp_lt_i64_e32 vcc, s[14:15], v[2:3]
	s_and_b64 s[4:5], vcc, exec
	s_cselect_b32 s5, s15, 0
	s_cselect_b32 s4, s14, 0x10000
	s_waitcnt lgkmcnt(0)
	s_and_b32 s2, s2, 0xffff
	v_cmp_lt_u64_e32 vcc, s[14:15], v[2:3]
	s_and_b64 s[6:7], vcc, exec
	s_mov_b32 s3, 0
	v_mov_b32_e32 v1, 0
	s_cselect_b32 s17, s15, 0
	s_cselect_b32 s16, s14, 0x10000
	s_lshl_b32 s6, s2, 1
	s_lshl_b32 s28, s2, 2
	s_add_u32 s24, s10, s12
	v_lshl_add_u64 v[8:9], v[0:1], 0, s[2:3]
	s_mov_b32 s7, s3
	s_mul_i32 s22, s2, 3
	s_mov_b32 s23, s3
	v_lshlrev_b32_e32 v2, 3, v0
	v_mov_b32_e32 v3, v1
	s_addc_u32 s25, s11, s13
	v_lshlrev_b32_e32 v10, 3, v8
	v_mov_b32_e32 v11, v1
	v_lshl_add_u64 v[2:3], s[24:25], 0, v[2:3]
	s_lshl_b32 s18, s2, 5
	s_mov_b32 s19, s3
	s_mul_i32 s20, s2, 24
	s_mov_b32 s21, s3
	v_lshl_add_u64 v[4:5], s[22:23], 0, v[0:1]
	s_lshl_b32 s22, s2, 4
	v_lshl_add_u64 v[6:7], s[6:7], 0, v[0:1]
	v_lshl_add_u64 v[10:11], s[24:25], 0, v[10:11]
	s_mov_b64 s[24:25], 0
	v_mov_b64_e32 v[12:13], s[4:5]
	s_branch .LBB86_4
.LBB86_3:                               ;   in Loop: Header=BB86_4 Depth=1
	s_or_b64 exec, exec, s[2:3]
	s_add_u32 s24, s24, s28
	s_addc_u32 s25, s25, 0
	v_cmp_lt_i64_e32 vcc, s[24:25], v[12:13]
	v_lshl_add_u64 v[2:3], v[2:3], 0, s[18:19]
	v_lshl_add_u64 v[10:11], v[10:11], 0, s[18:19]
	s_cbranch_vccz .LBB86_20
.LBB86_4:                               ; =>This Inner Loop Header: Depth=1
	s_waitcnt vmcnt(0)
	v_lshl_add_u64 v[14:15], v[0:1], 0, s[24:25]
	v_cmp_gt_u64_e64 s[2:3], s[16:17], v[14:15]
	v_mov_b64_e32 v[16:17], 0
	v_mov_b64_e32 v[22:23], 0
	s_and_saveexec_b64 s[4:5], s[2:3]
	s_cbranch_execz .LBB86_6
; %bb.5:                                ;   in Loop: Header=BB86_4 Depth=1
	global_load_dwordx2 v[22:23], v[2:3], off
.LBB86_6:                               ;   in Loop: Header=BB86_4 Depth=1
	s_or_b64 exec, exec, s[4:5]
	v_lshl_add_u64 v[14:15], v[8:9], 0, s[24:25]
	v_cmp_gt_u64_e64 s[4:5], s[16:17], v[14:15]
	s_and_saveexec_b64 s[6:7], s[4:5]
	s_cbranch_execz .LBB86_8
; %bb.7:                                ;   in Loop: Header=BB86_4 Depth=1
	global_load_dwordx2 v[16:17], v[10:11], off
.LBB86_8:                               ;   in Loop: Header=BB86_4 Depth=1
	s_or_b64 exec, exec, s[6:7]
	v_lshl_add_u64 v[14:15], v[6:7], 0, s[24:25]
	v_cmp_gt_u64_e32 vcc, s[16:17], v[14:15]
	v_mov_b64_e32 v[14:15], 0
	v_lshl_add_u64 v[20:21], v[2:3], 0, s[22:23]
	v_mov_b64_e32 v[24:25], 0
	s_and_saveexec_b64 s[6:7], vcc
	s_cbranch_execz .LBB86_10
; %bb.9:                                ;   in Loop: Header=BB86_4 Depth=1
	global_load_dwordx2 v[24:25], v[20:21], off
.LBB86_10:                              ;   in Loop: Header=BB86_4 Depth=1
	s_or_b64 exec, exec, s[6:7]
	v_lshl_add_u64 v[18:19], v[4:5], 0, s[24:25]
	v_cmp_gt_u64_e64 s[6:7], s[16:17], v[18:19]
	v_lshl_add_u64 v[18:19], v[2:3], 0, s[20:21]
	s_and_saveexec_b64 s[26:27], s[6:7]
	s_cbranch_execnz .LBB86_15
; %bb.11:                               ;   in Loop: Header=BB86_4 Depth=1
	s_or_b64 exec, exec, s[26:27]
	s_and_saveexec_b64 s[26:27], s[2:3]
	s_cbranch_execnz .LBB86_16
.LBB86_12:                              ;   in Loop: Header=BB86_4 Depth=1
	s_or_b64 exec, exec, s[26:27]
	s_and_saveexec_b64 s[26:27], s[4:5]
	s_cbranch_execnz .LBB86_17
.LBB86_13:                              ;   in Loop: Header=BB86_4 Depth=1
	s_or_b64 exec, exec, s[26:27]
	s_and_saveexec_b64 s[2:3], vcc
	s_cbranch_execnz .LBB86_18
.LBB86_14:                              ;   in Loop: Header=BB86_4 Depth=1
	s_or_b64 exec, exec, s[2:3]
	s_and_saveexec_b64 s[2:3], s[6:7]
	s_cbranch_execz .LBB86_3
	s_branch .LBB86_19
.LBB86_15:                              ;   in Loop: Header=BB86_4 Depth=1
	global_load_dwordx2 v[14:15], v[18:19], off
	s_or_b64 exec, exec, s[26:27]
	s_and_saveexec_b64 s[26:27], s[2:3]
	s_cbranch_execz .LBB86_12
.LBB86_16:                              ;   in Loop: Header=BB86_4 Depth=1
	v_mov_b32_e32 v26, s9
	s_waitcnt vmcnt(0)
	v_subrev_co_u32_e64 v22, s[2:3], s8, v22
	s_nop 1
	v_subb_co_u32_e64 v23, s[2:3], v23, v26, s[2:3]
	global_store_dwordx2 v[2:3], v[22:23], off
	s_or_b64 exec, exec, s[26:27]
	s_and_saveexec_b64 s[26:27], s[4:5]
	s_cbranch_execz .LBB86_13
.LBB86_17:                              ;   in Loop: Header=BB86_4 Depth=1
	s_waitcnt vmcnt(0)
	v_mov_b32_e32 v22, s9
	v_subrev_co_u32_e64 v16, s[2:3], s8, v16
	s_nop 1
	v_subb_co_u32_e64 v17, s[2:3], v17, v22, s[2:3]
	global_store_dwordx2 v[10:11], v[16:17], off
	s_or_b64 exec, exec, s[26:27]
	s_and_saveexec_b64 s[2:3], vcc
	s_cbranch_execz .LBB86_14
.LBB86_18:                              ;   in Loop: Header=BB86_4 Depth=1
	s_waitcnt vmcnt(0)
	v_mov_b32_e32 v17, s9
	v_subrev_co_u32_e32 v16, vcc, s8, v24
	s_nop 1
	v_subb_co_u32_e32 v17, vcc, v25, v17, vcc
	global_store_dwordx2 v[20:21], v[16:17], off
	s_or_b64 exec, exec, s[2:3]
	s_and_saveexec_b64 s[2:3], s[6:7]
	s_cbranch_execz .LBB86_3
.LBB86_19:                              ;   in Loop: Header=BB86_4 Depth=1
	s_waitcnt vmcnt(0)
	v_mov_b32_e32 v16, s9
	v_subrev_co_u32_e32 v14, vcc, s8, v14
	s_nop 1
	v_subb_co_u32_e32 v15, vcc, v15, v16, vcc
	global_store_dwordx2 v[18:19], v[14:15], off
	s_branch .LBB86_3
.LBB86_20:
	s_cbranch_execz .LBB86_22
	s_branch .LBB86_25
.LBB86_21:
.LBB86_22:
	v_mov_b64_e32 v[4:5], 0x10000
	v_cmp_lt_i64_e32 vcc, s[14:15], v[4:5]
	s_and_b64 s[4:5], vcc, exec
	v_mov_b32_e32 v3, 0
	s_cselect_b32 s5, s15, 0
	s_cselect_b32 s4, s14, 0x10000
	v_lshlrev_b32_e32 v2, 2, v0
	s_mov_b32 s3, 0
	v_cmp_gt_i64_e32 vcc, s[4:5], v[2:3]
	s_and_saveexec_b64 s[6:7], vcc
	s_cbranch_execz .LBB86_25
; %bb.23:
	s_load_dword s0, s[0:1], 0xd44
	v_lshlrev_b32_e32 v2, 5, v0
	v_mov_b32_e32 v1, v3
	s_mov_b32 s1, s3
	v_mov_b32_e32 v4, s9
	s_waitcnt lgkmcnt(0)
	s_and_b32 s2, s0, 0xffff
	s_add_u32 s6, s10, s12
	s_addc_u32 s7, s11, s13
	v_lshl_add_u64 v[2:3], s[6:7], 0, v[2:3]
	s_lshl_b32 s0, s2, 5
	v_lshl_add_u64 v[2:3], v[2:3], 0, 16
	s_mov_b64 s[6:7], 0
.LBB86_24:                              ; =>This Inner Loop Header: Depth=1
	global_load_dwordx4 v[6:9], v[2:3], off offset:-16
	global_load_dwordx4 v[10:13], v[2:3], off
	v_lshl_add_u64 v[0:1], v[0:1], 0, s[2:3]
	s_waitcnt vmcnt(2)
	v_lshlrev_b64 v[14:15], 2, v[0:1]
	v_cmp_le_i64_e32 vcc, s[4:5], v[14:15]
	s_or_b64 s[6:7], vcc, s[6:7]
	s_waitcnt vmcnt(1)
	v_subrev_co_u32_e32 v6, vcc, s8, v6
	s_nop 1
	v_subb_co_u32_e32 v7, vcc, v7, v4, vcc
	v_subrev_co_u32_e32 v8, vcc, s8, v8
	s_nop 1
	v_subb_co_u32_e32 v9, vcc, v9, v4, vcc
	s_waitcnt vmcnt(0)
	v_subrev_co_u32_e32 v10, vcc, s8, v10
	s_nop 1
	v_subb_co_u32_e32 v11, vcc, v11, v4, vcc
	v_subrev_co_u32_e32 v12, vcc, s8, v12
	s_nop 1
	v_subb_co_u32_e32 v13, vcc, v13, v4, vcc
	global_store_dwordx4 v[2:3], v[6:9], off offset:-16
	global_store_dwordx4 v[2:3], v[10:13], off
	v_lshl_add_u64 v[2:3], v[2:3], 0, s[0:1]
	s_andn2_b64 exec, exec, s[6:7]
	s_cbranch_execnz .LBB86_24
.LBB86_25:
	s_endpgm
	.section	.rodata,"a",@progbits
	.p2align	6, 0x0
	.amdhsa_kernel _ZN2at6native12_GLOBAL__N_125multi_tensor_apply_kernelINS1_18TensorListMetadataILi1EEENS1_21BinaryOpScalarFunctorIlLi1ELi1ELi0EEEJSt5minusIlElEEEvT_T0_DpT1_
		.amdhsa_group_segment_fixed_size 0
		.amdhsa_private_segment_fixed_size 0
		.amdhsa_kernarg_size 3640
		.amdhsa_user_sgpr_count 2
		.amdhsa_user_sgpr_dispatch_ptr 0
		.amdhsa_user_sgpr_queue_ptr 0
		.amdhsa_user_sgpr_kernarg_segment_ptr 1
		.amdhsa_user_sgpr_dispatch_id 0
		.amdhsa_user_sgpr_kernarg_preload_length 0
		.amdhsa_user_sgpr_kernarg_preload_offset 0
		.amdhsa_user_sgpr_private_segment_size 0
		.amdhsa_uses_dynamic_stack 0
		.amdhsa_enable_private_segment 0
		.amdhsa_system_sgpr_workgroup_id_x 1
		.amdhsa_system_sgpr_workgroup_id_y 0
		.amdhsa_system_sgpr_workgroup_id_z 0
		.amdhsa_system_sgpr_workgroup_info 0
		.amdhsa_system_vgpr_workitem_id 0
		.amdhsa_next_free_vgpr 27
		.amdhsa_next_free_sgpr 29
		.amdhsa_accum_offset 28
		.amdhsa_reserve_vcc 1
		.amdhsa_float_round_mode_32 0
		.amdhsa_float_round_mode_16_64 0
		.amdhsa_float_denorm_mode_32 3
		.amdhsa_float_denorm_mode_16_64 3
		.amdhsa_dx10_clamp 1
		.amdhsa_ieee_mode 1
		.amdhsa_fp16_overflow 0
		.amdhsa_tg_split 0
		.amdhsa_exception_fp_ieee_invalid_op 0
		.amdhsa_exception_fp_denorm_src 0
		.amdhsa_exception_fp_ieee_div_zero 0
		.amdhsa_exception_fp_ieee_overflow 0
		.amdhsa_exception_fp_ieee_underflow 0
		.amdhsa_exception_fp_ieee_inexact 0
		.amdhsa_exception_int_div_zero 0
	.end_amdhsa_kernel
	.section	.text._ZN2at6native12_GLOBAL__N_125multi_tensor_apply_kernelINS1_18TensorListMetadataILi1EEENS1_21BinaryOpScalarFunctorIlLi1ELi1ELi0EEEJSt5minusIlElEEEvT_T0_DpT1_,"axG",@progbits,_ZN2at6native12_GLOBAL__N_125multi_tensor_apply_kernelINS1_18TensorListMetadataILi1EEENS1_21BinaryOpScalarFunctorIlLi1ELi1ELi0EEEJSt5minusIlElEEEvT_T0_DpT1_,comdat
.Lfunc_end86:
	.size	_ZN2at6native12_GLOBAL__N_125multi_tensor_apply_kernelINS1_18TensorListMetadataILi1EEENS1_21BinaryOpScalarFunctorIlLi1ELi1ELi0EEEJSt5minusIlElEEEvT_T0_DpT1_, .Lfunc_end86-_ZN2at6native12_GLOBAL__N_125multi_tensor_apply_kernelINS1_18TensorListMetadataILi1EEENS1_21BinaryOpScalarFunctorIlLi1ELi1ELi0EEEJSt5minusIlElEEEvT_T0_DpT1_
                                        ; -- End function
	.set _ZN2at6native12_GLOBAL__N_125multi_tensor_apply_kernelINS1_18TensorListMetadataILi1EEENS1_21BinaryOpScalarFunctorIlLi1ELi1ELi0EEEJSt5minusIlElEEEvT_T0_DpT1_.num_vgpr, 27
	.set _ZN2at6native12_GLOBAL__N_125multi_tensor_apply_kernelINS1_18TensorListMetadataILi1EEENS1_21BinaryOpScalarFunctorIlLi1ELi1ELi0EEEJSt5minusIlElEEEvT_T0_DpT1_.num_agpr, 0
	.set _ZN2at6native12_GLOBAL__N_125multi_tensor_apply_kernelINS1_18TensorListMetadataILi1EEENS1_21BinaryOpScalarFunctorIlLi1ELi1ELi0EEEJSt5minusIlElEEEvT_T0_DpT1_.numbered_sgpr, 29
	.set _ZN2at6native12_GLOBAL__N_125multi_tensor_apply_kernelINS1_18TensorListMetadataILi1EEENS1_21BinaryOpScalarFunctorIlLi1ELi1ELi0EEEJSt5minusIlElEEEvT_T0_DpT1_.num_named_barrier, 0
	.set _ZN2at6native12_GLOBAL__N_125multi_tensor_apply_kernelINS1_18TensorListMetadataILi1EEENS1_21BinaryOpScalarFunctorIlLi1ELi1ELi0EEEJSt5minusIlElEEEvT_T0_DpT1_.private_seg_size, 0
	.set _ZN2at6native12_GLOBAL__N_125multi_tensor_apply_kernelINS1_18TensorListMetadataILi1EEENS1_21BinaryOpScalarFunctorIlLi1ELi1ELi0EEEJSt5minusIlElEEEvT_T0_DpT1_.uses_vcc, 1
	.set _ZN2at6native12_GLOBAL__N_125multi_tensor_apply_kernelINS1_18TensorListMetadataILi1EEENS1_21BinaryOpScalarFunctorIlLi1ELi1ELi0EEEJSt5minusIlElEEEvT_T0_DpT1_.uses_flat_scratch, 0
	.set _ZN2at6native12_GLOBAL__N_125multi_tensor_apply_kernelINS1_18TensorListMetadataILi1EEENS1_21BinaryOpScalarFunctorIlLi1ELi1ELi0EEEJSt5minusIlElEEEvT_T0_DpT1_.has_dyn_sized_stack, 0
	.set _ZN2at6native12_GLOBAL__N_125multi_tensor_apply_kernelINS1_18TensorListMetadataILi1EEENS1_21BinaryOpScalarFunctorIlLi1ELi1ELi0EEEJSt5minusIlElEEEvT_T0_DpT1_.has_recursion, 0
	.set _ZN2at6native12_GLOBAL__N_125multi_tensor_apply_kernelINS1_18TensorListMetadataILi1EEENS1_21BinaryOpScalarFunctorIlLi1ELi1ELi0EEEJSt5minusIlElEEEvT_T0_DpT1_.has_indirect_call, 0
	.section	.AMDGPU.csdata,"",@progbits
; Kernel info:
; codeLenInByte = 1044
; TotalNumSgprs: 35
; NumVgprs: 27
; NumAgprs: 0
; TotalNumVgprs: 27
; ScratchSize: 0
; MemoryBound: 0
; FloatMode: 240
; IeeeMode: 1
; LDSByteSize: 0 bytes/workgroup (compile time only)
; SGPRBlocks: 4
; VGPRBlocks: 3
; NumSGPRsForWavesPerEU: 35
; NumVGPRsForWavesPerEU: 27
; AccumOffset: 28
; Occupancy: 8
; WaveLimiterHint : 0
; COMPUTE_PGM_RSRC2:SCRATCH_EN: 0
; COMPUTE_PGM_RSRC2:USER_SGPR: 2
; COMPUTE_PGM_RSRC2:TRAP_HANDLER: 0
; COMPUTE_PGM_RSRC2:TGID_X_EN: 1
; COMPUTE_PGM_RSRC2:TGID_Y_EN: 0
; COMPUTE_PGM_RSRC2:TGID_Z_EN: 0
; COMPUTE_PGM_RSRC2:TIDIG_COMP_CNT: 0
; COMPUTE_PGM_RSRC3_GFX90A:ACCUM_OFFSET: 6
; COMPUTE_PGM_RSRC3_GFX90A:TG_SPLIT: 0
	.section	.text._ZN2at6native12_GLOBAL__N_125multi_tensor_apply_kernelINS1_18TensorListMetadataILi1EEENS1_21BinaryOpScalarFunctorIsLi1ELi1ELi0EEEJSt5minusIsEsEEEvT_T0_DpT1_,"axG",@progbits,_ZN2at6native12_GLOBAL__N_125multi_tensor_apply_kernelINS1_18TensorListMetadataILi1EEENS1_21BinaryOpScalarFunctorIsLi1ELi1ELi0EEEJSt5minusIsEsEEEvT_T0_DpT1_,comdat
	.globl	_ZN2at6native12_GLOBAL__N_125multi_tensor_apply_kernelINS1_18TensorListMetadataILi1EEENS1_21BinaryOpScalarFunctorIsLi1ELi1ELi0EEEJSt5minusIsEsEEEvT_T0_DpT1_ ; -- Begin function _ZN2at6native12_GLOBAL__N_125multi_tensor_apply_kernelINS1_18TensorListMetadataILi1EEENS1_21BinaryOpScalarFunctorIsLi1ELi1ELi0EEEJSt5minusIsEsEEEvT_T0_DpT1_
	.p2align	8
	.type	_ZN2at6native12_GLOBAL__N_125multi_tensor_apply_kernelINS1_18TensorListMetadataILi1EEENS1_21BinaryOpScalarFunctorIsLi1ELi1ELi0EEEJSt5minusIsEsEEEvT_T0_DpT1_,@function
_ZN2at6native12_GLOBAL__N_125multi_tensor_apply_kernelINS1_18TensorListMetadataILi1EEENS1_21BinaryOpScalarFunctorIsLi1ELi1ELi0EEEJSt5minusIsEsEEEvT_T0_DpT1_: ; @_ZN2at6native12_GLOBAL__N_125multi_tensor_apply_kernelINS1_18TensorListMetadataILi1EEENS1_21BinaryOpScalarFunctorIsLi1ELi1ELi0EEEJSt5minusIsEsEEEvT_T0_DpT1_
; %bb.0:
	v_mov_b32_e32 v1, s2
	global_load_ubyte v1, v1, s[0:1] offset:1760
	s_load_dword s3, s[0:1], 0xd28
	s_mul_hi_u32 s4, s2, 3
	s_mul_i32 s5, s2, 3
	s_mov_b32 s7, 0
	s_waitcnt lgkmcnt(0)
	s_lshr_b32 s26, s3, 16
	s_add_u32 s2, s0, s2
	s_addc_u32 s3, s1, 0
	s_add_u32 s2, s2, s5
	s_addc_u32 s3, s3, s4
	s_load_dword s2, s[2:3], 0x820
	s_waitcnt vmcnt(0)
	v_readfirstlane_b32 s3, v1
	s_lshl_b32 s3, s3, 3
	s_load_dwordx2 s[4:5], s[0:1], s3 offset:0x370
	s_load_dwordx2 s[8:9], s[0:1], s3 offset:0x0
	s_waitcnt lgkmcnt(0)
	s_ashr_i32 s3, s2, 31
	s_lshl_b64 s[10:11], s[2:3], 17
	s_lshl_b64 s[2:3], s[2:3], 16
	s_and_b32 s6, s8, 7
	s_sub_u32 s12, s4, s2
	s_subb_u32 s13, s5, s3
	s_and_b32 s2, s4, 3
	s_mov_b32 s3, s7
	s_or_b64 s[2:3], s[6:7], s[2:3]
	s_cmp_eq_u64 s[2:3], 0
	s_cbranch_scc1 .LBB87_21
; %bb.1:
	v_cmp_lt_i64_e64 s[2:3], s[12:13], 1
	s_and_b64 vcc, exec, s[2:3]
	s_cbranch_vccnz .LBB87_20
; %bb.2:
	s_load_dword s2, s[0:1], 0xd3c
	v_mov_b64_e32 v[2:3], 0x10000
	v_cmp_lt_i64_e32 vcc, s[12:13], v[2:3]
	s_and_b64 s[4:5], vcc, exec
	s_cselect_b32 s5, s13, 0
	s_cselect_b32 s4, s12, 0x10000
	s_waitcnt lgkmcnt(0)
	s_and_b32 s2, s2, 0xffff
	v_cmp_lt_u64_e32 vcc, s[12:13], v[2:3]
	s_and_b64 s[6:7], vcc, exec
	s_mov_b32 s3, 0
	v_mov_b32_e32 v1, 0
	s_cselect_b32 s15, s13, 0
	s_cselect_b32 s14, s12, 0x10000
	s_lshl_b32 s6, s2, 1
	s_lshl_b32 s16, s2, 2
	s_add_u32 s24, s8, s10
	v_lshl_add_u64 v[8:9], v[0:1], 0, s[2:3]
	s_mov_b32 s7, s3
	s_mul_i32 s22, s2, 3
	s_mov_b32 s23, s3
	v_lshlrev_b32_e32 v2, 1, v0
	v_mov_b32_e32 v3, v1
	s_addc_u32 s25, s9, s11
	v_lshlrev_b32_e32 v10, 1, v8
	v_mov_b32_e32 v11, v1
	s_mov_b32 s17, s3
	v_lshl_add_u64 v[2:3], s[24:25], 0, v[2:3]
	s_lshl_b32 s18, s2, 3
	s_mov_b32 s19, s3
	s_mul_i32 s20, s2, 6
	s_mov_b32 s21, s3
	v_lshl_add_u64 v[4:5], s[22:23], 0, v[0:1]
	v_lshl_add_u64 v[6:7], s[6:7], 0, v[0:1]
	;; [unrolled: 1-line block ×3, first 2 shown]
	s_mov_b64 s[22:23], 0
	v_mov_b64_e32 v[12:13], s[4:5]
	s_branch .LBB87_4
.LBB87_3:                               ;   in Loop: Header=BB87_4 Depth=1
	s_or_b64 exec, exec, s[2:3]
	s_add_u32 s22, s22, s16
	s_addc_u32 s23, s23, 0
	v_cmp_lt_i64_e32 vcc, s[22:23], v[12:13]
	v_lshl_add_u64 v[2:3], v[2:3], 0, s[18:19]
	v_lshl_add_u64 v[10:11], v[10:11], 0, s[18:19]
	s_cbranch_vccz .LBB87_20
.LBB87_4:                               ; =>This Inner Loop Header: Depth=1
	v_lshl_add_u64 v[14:15], v[0:1], 0, s[22:23]
	v_cmp_gt_u64_e32 vcc, s[14:15], v[14:15]
	s_waitcnt vmcnt(0)
	v_mov_b32_e32 v19, 0
	s_and_saveexec_b64 s[2:3], vcc
	s_cbranch_execz .LBB87_6
; %bb.5:                                ;   in Loop: Header=BB87_4 Depth=1
	global_load_ushort v19, v[2:3], off
.LBB87_6:                               ;   in Loop: Header=BB87_4 Depth=1
	s_or_b64 exec, exec, s[2:3]
	v_lshl_add_u64 v[14:15], v[8:9], 0, s[22:23]
	v_cmp_gt_u64_e64 s[2:3], s[14:15], v[14:15]
	v_mov_b32_e32 v18, 0
	v_mov_b32_e32 v20, 0
	s_and_saveexec_b64 s[4:5], s[2:3]
	s_cbranch_execz .LBB87_8
; %bb.7:                                ;   in Loop: Header=BB87_4 Depth=1
	global_load_ushort v20, v[10:11], off
.LBB87_8:                               ;   in Loop: Header=BB87_4 Depth=1
	s_or_b64 exec, exec, s[4:5]
	v_lshl_add_u64 v[14:15], v[6:7], 0, s[22:23]
	v_cmp_gt_u64_e64 s[4:5], s[14:15], v[14:15]
	v_lshl_add_u64 v[14:15], v[2:3], 0, s[16:17]
	s_and_saveexec_b64 s[6:7], s[4:5]
	s_cbranch_execz .LBB87_10
; %bb.9:                                ;   in Loop: Header=BB87_4 Depth=1
	global_load_ushort v18, v[14:15], off
.LBB87_10:                              ;   in Loop: Header=BB87_4 Depth=1
	s_or_b64 exec, exec, s[6:7]
	v_lshl_add_u64 v[16:17], v[4:5], 0, s[22:23]
	v_cmp_gt_u64_e64 s[6:7], s[14:15], v[16:17]
	v_mov_b32_e32 v21, 0
	v_lshl_add_u64 v[16:17], v[2:3], 0, s[20:21]
	s_and_saveexec_b64 s[24:25], s[6:7]
	s_cbranch_execnz .LBB87_15
; %bb.11:                               ;   in Loop: Header=BB87_4 Depth=1
	s_or_b64 exec, exec, s[24:25]
	s_and_saveexec_b64 s[24:25], vcc
	s_cbranch_execnz .LBB87_16
.LBB87_12:                              ;   in Loop: Header=BB87_4 Depth=1
	s_or_b64 exec, exec, s[24:25]
	s_and_saveexec_b64 s[24:25], s[2:3]
	s_cbranch_execnz .LBB87_17
.LBB87_13:                              ;   in Loop: Header=BB87_4 Depth=1
	s_or_b64 exec, exec, s[24:25]
	s_and_saveexec_b64 s[2:3], s[4:5]
	s_cbranch_execnz .LBB87_18
.LBB87_14:                              ;   in Loop: Header=BB87_4 Depth=1
	s_or_b64 exec, exec, s[2:3]
	s_and_saveexec_b64 s[2:3], s[6:7]
	s_cbranch_execz .LBB87_3
	s_branch .LBB87_19
.LBB87_15:                              ;   in Loop: Header=BB87_4 Depth=1
	global_load_ushort v21, v[16:17], off
	s_or_b64 exec, exec, s[24:25]
	s_and_saveexec_b64 s[24:25], vcc
	s_cbranch_execz .LBB87_12
.LBB87_16:                              ;   in Loop: Header=BB87_4 Depth=1
	s_waitcnt vmcnt(0)
	v_subrev_u16_e32 v19, s26, v19
	global_store_short v[2:3], v19, off
	s_or_b64 exec, exec, s[24:25]
	s_and_saveexec_b64 s[24:25], s[2:3]
	s_cbranch_execz .LBB87_13
.LBB87_17:                              ;   in Loop: Header=BB87_4 Depth=1
	s_waitcnt vmcnt(0)
	v_subrev_u16_e32 v19, s26, v20
	global_store_short v[10:11], v19, off
	s_or_b64 exec, exec, s[24:25]
	s_and_saveexec_b64 s[2:3], s[4:5]
	s_cbranch_execz .LBB87_14
.LBB87_18:                              ;   in Loop: Header=BB87_4 Depth=1
	s_waitcnt vmcnt(0)
	v_subrev_u16_e32 v18, s26, v18
	global_store_short v[14:15], v18, off
	s_or_b64 exec, exec, s[2:3]
	s_and_saveexec_b64 s[2:3], s[6:7]
	s_cbranch_execz .LBB87_3
.LBB87_19:                              ;   in Loop: Header=BB87_4 Depth=1
	s_waitcnt vmcnt(0)
	v_subrev_u16_e32 v14, s26, v21
	global_store_short v[16:17], v14, off
	s_branch .LBB87_3
.LBB87_20:
	s_cbranch_execz .LBB87_22
	s_branch .LBB87_25
.LBB87_21:
.LBB87_22:
	v_mov_b64_e32 v[4:5], 0x10000
	v_cmp_lt_i64_e32 vcc, s[12:13], v[4:5]
	s_and_b64 s[4:5], vcc, exec
	v_mov_b32_e32 v3, 0
	s_cselect_b32 s5, s13, 0
	s_cselect_b32 s4, s12, 0x10000
	v_lshlrev_b32_e32 v2, 2, v0
	s_mov_b32 s3, 0
	v_cmp_gt_i64_e32 vcc, s[4:5], v[2:3]
	s_and_saveexec_b64 s[6:7], vcc
	s_cbranch_execz .LBB87_25
; %bb.23:
	s_load_dword s0, s[0:1], 0xd3c
	v_lshlrev_b32_e32 v2, 3, v0
	v_mov_b32_e32 v1, v3
	s_mov_b32 s1, s3
	s_waitcnt lgkmcnt(0)
	s_and_b32 s2, s0, 0xffff
	s_add_u32 s6, s8, s10
	s_addc_u32 s7, s9, s11
	s_lshl_b32 s0, s2, 3
	v_lshl_add_u64 v[2:3], s[6:7], 0, v[2:3]
	s_mov_b64 s[6:7], 0
	s_mov_b32 s8, 0x5040100
.LBB87_24:                              ; =>This Inner Loop Header: Depth=1
	global_load_dwordx2 v[4:5], v[2:3], off
	v_lshl_add_u64 v[0:1], v[0:1], 0, s[2:3]
	v_lshlrev_b64 v[6:7], 2, v[0:1]
	v_cmp_le_i64_e32 vcc, s[4:5], v[6:7]
	s_or_b64 s[6:7], vcc, s[6:7]
	s_waitcnt vmcnt(0)
	v_subrev_u16_e32 v6, s26, v4
	v_sub_u16_sdwa v4, v4, s26 dst_sel:DWORD dst_unused:UNUSED_PAD src0_sel:WORD_1 src1_sel:DWORD
	v_subrev_u16_e32 v7, s26, v5
	v_sub_u16_sdwa v5, v5, s26 dst_sel:DWORD dst_unused:UNUSED_PAD src0_sel:WORD_1 src1_sel:DWORD
	v_perm_b32 v5, v5, v7, s8
	v_perm_b32 v4, v4, v6, s8
	global_store_dwordx2 v[2:3], v[4:5], off
	v_lshl_add_u64 v[2:3], v[2:3], 0, s[0:1]
	s_andn2_b64 exec, exec, s[6:7]
	s_cbranch_execnz .LBB87_24
.LBB87_25:
	s_endpgm
	.section	.rodata,"a",@progbits
	.p2align	6, 0x0
	.amdhsa_kernel _ZN2at6native12_GLOBAL__N_125multi_tensor_apply_kernelINS1_18TensorListMetadataILi1EEENS1_21BinaryOpScalarFunctorIsLi1ELi1ELi0EEEJSt5minusIsEsEEEvT_T0_DpT1_
		.amdhsa_group_segment_fixed_size 0
		.amdhsa_private_segment_fixed_size 0
		.amdhsa_kernarg_size 3632
		.amdhsa_user_sgpr_count 2
		.amdhsa_user_sgpr_dispatch_ptr 0
		.amdhsa_user_sgpr_queue_ptr 0
		.amdhsa_user_sgpr_kernarg_segment_ptr 1
		.amdhsa_user_sgpr_dispatch_id 0
		.amdhsa_user_sgpr_kernarg_preload_length 0
		.amdhsa_user_sgpr_kernarg_preload_offset 0
		.amdhsa_user_sgpr_private_segment_size 0
		.amdhsa_uses_dynamic_stack 0
		.amdhsa_enable_private_segment 0
		.amdhsa_system_sgpr_workgroup_id_x 1
		.amdhsa_system_sgpr_workgroup_id_y 0
		.amdhsa_system_sgpr_workgroup_id_z 0
		.amdhsa_system_sgpr_workgroup_info 0
		.amdhsa_system_vgpr_workitem_id 0
		.amdhsa_next_free_vgpr 22
		.amdhsa_next_free_sgpr 27
		.amdhsa_accum_offset 24
		.amdhsa_reserve_vcc 1
		.amdhsa_float_round_mode_32 0
		.amdhsa_float_round_mode_16_64 0
		.amdhsa_float_denorm_mode_32 3
		.amdhsa_float_denorm_mode_16_64 3
		.amdhsa_dx10_clamp 1
		.amdhsa_ieee_mode 1
		.amdhsa_fp16_overflow 0
		.amdhsa_tg_split 0
		.amdhsa_exception_fp_ieee_invalid_op 0
		.amdhsa_exception_fp_denorm_src 0
		.amdhsa_exception_fp_ieee_div_zero 0
		.amdhsa_exception_fp_ieee_overflow 0
		.amdhsa_exception_fp_ieee_underflow 0
		.amdhsa_exception_fp_ieee_inexact 0
		.amdhsa_exception_int_div_zero 0
	.end_amdhsa_kernel
	.section	.text._ZN2at6native12_GLOBAL__N_125multi_tensor_apply_kernelINS1_18TensorListMetadataILi1EEENS1_21BinaryOpScalarFunctorIsLi1ELi1ELi0EEEJSt5minusIsEsEEEvT_T0_DpT1_,"axG",@progbits,_ZN2at6native12_GLOBAL__N_125multi_tensor_apply_kernelINS1_18TensorListMetadataILi1EEENS1_21BinaryOpScalarFunctorIsLi1ELi1ELi0EEEJSt5minusIsEsEEEvT_T0_DpT1_,comdat
.Lfunc_end87:
	.size	_ZN2at6native12_GLOBAL__N_125multi_tensor_apply_kernelINS1_18TensorListMetadataILi1EEENS1_21BinaryOpScalarFunctorIsLi1ELi1ELi0EEEJSt5minusIsEsEEEvT_T0_DpT1_, .Lfunc_end87-_ZN2at6native12_GLOBAL__N_125multi_tensor_apply_kernelINS1_18TensorListMetadataILi1EEENS1_21BinaryOpScalarFunctorIsLi1ELi1ELi0EEEJSt5minusIsEsEEEvT_T0_DpT1_
                                        ; -- End function
	.set _ZN2at6native12_GLOBAL__N_125multi_tensor_apply_kernelINS1_18TensorListMetadataILi1EEENS1_21BinaryOpScalarFunctorIsLi1ELi1ELi0EEEJSt5minusIsEsEEEvT_T0_DpT1_.num_vgpr, 22
	.set _ZN2at6native12_GLOBAL__N_125multi_tensor_apply_kernelINS1_18TensorListMetadataILi1EEENS1_21BinaryOpScalarFunctorIsLi1ELi1ELi0EEEJSt5minusIsEsEEEvT_T0_DpT1_.num_agpr, 0
	.set _ZN2at6native12_GLOBAL__N_125multi_tensor_apply_kernelINS1_18TensorListMetadataILi1EEENS1_21BinaryOpScalarFunctorIsLi1ELi1ELi0EEEJSt5minusIsEsEEEvT_T0_DpT1_.numbered_sgpr, 27
	.set _ZN2at6native12_GLOBAL__N_125multi_tensor_apply_kernelINS1_18TensorListMetadataILi1EEENS1_21BinaryOpScalarFunctorIsLi1ELi1ELi0EEEJSt5minusIsEsEEEvT_T0_DpT1_.num_named_barrier, 0
	.set _ZN2at6native12_GLOBAL__N_125multi_tensor_apply_kernelINS1_18TensorListMetadataILi1EEENS1_21BinaryOpScalarFunctorIsLi1ELi1ELi0EEEJSt5minusIsEsEEEvT_T0_DpT1_.private_seg_size, 0
	.set _ZN2at6native12_GLOBAL__N_125multi_tensor_apply_kernelINS1_18TensorListMetadataILi1EEENS1_21BinaryOpScalarFunctorIsLi1ELi1ELi0EEEJSt5minusIsEsEEEvT_T0_DpT1_.uses_vcc, 1
	.set _ZN2at6native12_GLOBAL__N_125multi_tensor_apply_kernelINS1_18TensorListMetadataILi1EEENS1_21BinaryOpScalarFunctorIsLi1ELi1ELi0EEEJSt5minusIsEsEEEvT_T0_DpT1_.uses_flat_scratch, 0
	.set _ZN2at6native12_GLOBAL__N_125multi_tensor_apply_kernelINS1_18TensorListMetadataILi1EEENS1_21BinaryOpScalarFunctorIsLi1ELi1ELi0EEEJSt5minusIsEsEEEvT_T0_DpT1_.has_dyn_sized_stack, 0
	.set _ZN2at6native12_GLOBAL__N_125multi_tensor_apply_kernelINS1_18TensorListMetadataILi1EEENS1_21BinaryOpScalarFunctorIsLi1ELi1ELi0EEEJSt5minusIsEsEEEvT_T0_DpT1_.has_recursion, 0
	.set _ZN2at6native12_GLOBAL__N_125multi_tensor_apply_kernelINS1_18TensorListMetadataILi1EEENS1_21BinaryOpScalarFunctorIsLi1ELi1ELi0EEEJSt5minusIsEsEEEvT_T0_DpT1_.has_indirect_call, 0
	.section	.AMDGPU.csdata,"",@progbits
; Kernel info:
; codeLenInByte = 952
; TotalNumSgprs: 33
; NumVgprs: 22
; NumAgprs: 0
; TotalNumVgprs: 22
; ScratchSize: 0
; MemoryBound: 0
; FloatMode: 240
; IeeeMode: 1
; LDSByteSize: 0 bytes/workgroup (compile time only)
; SGPRBlocks: 4
; VGPRBlocks: 2
; NumSGPRsForWavesPerEU: 33
; NumVGPRsForWavesPerEU: 22
; AccumOffset: 24
; Occupancy: 8
; WaveLimiterHint : 0
; COMPUTE_PGM_RSRC2:SCRATCH_EN: 0
; COMPUTE_PGM_RSRC2:USER_SGPR: 2
; COMPUTE_PGM_RSRC2:TRAP_HANDLER: 0
; COMPUTE_PGM_RSRC2:TGID_X_EN: 1
; COMPUTE_PGM_RSRC2:TGID_Y_EN: 0
; COMPUTE_PGM_RSRC2:TGID_Z_EN: 0
; COMPUTE_PGM_RSRC2:TIDIG_COMP_CNT: 0
; COMPUTE_PGM_RSRC3_GFX90A:ACCUM_OFFSET: 5
; COMPUTE_PGM_RSRC3_GFX90A:TG_SPLIT: 0
	.section	.text._ZN2at6native12_GLOBAL__N_125multi_tensor_apply_kernelINS1_18TensorListMetadataILi1EEENS1_21BinaryOpScalarFunctorIdLi1ELi1ELi0EEEJSt5minusIdEdEEEvT_T0_DpT1_,"axG",@progbits,_ZN2at6native12_GLOBAL__N_125multi_tensor_apply_kernelINS1_18TensorListMetadataILi1EEENS1_21BinaryOpScalarFunctorIdLi1ELi1ELi0EEEJSt5minusIdEdEEEvT_T0_DpT1_,comdat
	.globl	_ZN2at6native12_GLOBAL__N_125multi_tensor_apply_kernelINS1_18TensorListMetadataILi1EEENS1_21BinaryOpScalarFunctorIdLi1ELi1ELi0EEEJSt5minusIdEdEEEvT_T0_DpT1_ ; -- Begin function _ZN2at6native12_GLOBAL__N_125multi_tensor_apply_kernelINS1_18TensorListMetadataILi1EEENS1_21BinaryOpScalarFunctorIdLi1ELi1ELi0EEEJSt5minusIdEdEEEvT_T0_DpT1_
	.p2align	8
	.type	_ZN2at6native12_GLOBAL__N_125multi_tensor_apply_kernelINS1_18TensorListMetadataILi1EEENS1_21BinaryOpScalarFunctorIdLi1ELi1ELi0EEEJSt5minusIdEdEEEvT_T0_DpT1_,@function
_ZN2at6native12_GLOBAL__N_125multi_tensor_apply_kernelINS1_18TensorListMetadataILi1EEENS1_21BinaryOpScalarFunctorIdLi1ELi1ELi0EEEJSt5minusIdEdEEEvT_T0_DpT1_: ; @_ZN2at6native12_GLOBAL__N_125multi_tensor_apply_kernelINS1_18TensorListMetadataILi1EEENS1_21BinaryOpScalarFunctorIdLi1ELi1ELi0EEEJSt5minusIdEdEEEvT_T0_DpT1_
; %bb.0:
	v_mov_b32_e32 v1, s2
	global_load_ubyte v1, v1, s[0:1] offset:1760
	s_add_u32 s3, s0, s2
	s_mul_hi_u32 s4, s2, 3
	s_mul_i32 s2, s2, 3
	s_addc_u32 s5, s1, 0
	s_add_u32 s2, s3, s2
	s_addc_u32 s3, s5, s4
	s_load_dword s2, s[2:3], 0x820
	s_mov_b32 s7, 0
	s_waitcnt vmcnt(0)
	v_readfirstlane_b32 s3, v1
	s_lshl_b32 s3, s3, 3
	s_load_dwordx2 s[8:9], s[0:1], 0xd30
	s_load_dwordx2 s[4:5], s[0:1], s3 offset:0x370
	s_load_dwordx2 s[10:11], s[0:1], s3 offset:0x0
	s_waitcnt lgkmcnt(0)
	s_ashr_i32 s3, s2, 31
	s_lshl_b64 s[12:13], s[2:3], 19
	s_lshl_b64 s[2:3], s[2:3], 16
	s_and_b32 s6, s10, 31
	s_sub_u32 s14, s4, s2
	s_subb_u32 s15, s5, s3
	s_and_b32 s2, s4, 3
	s_mov_b32 s3, s7
	s_or_b64 s[2:3], s[6:7], s[2:3]
	s_cmp_eq_u64 s[2:3], 0
	s_cbranch_scc1 .LBB88_21
; %bb.1:
	v_cmp_lt_i64_e64 s[2:3], s[14:15], 1
	s_and_b64 vcc, exec, s[2:3]
	s_cbranch_vccnz .LBB88_20
; %bb.2:
	s_load_dword s2, s[0:1], 0xd44
	v_mov_b64_e32 v[2:3], 0x10000
	v_cmp_lt_i64_e32 vcc, s[14:15], v[2:3]
	s_and_b64 s[4:5], vcc, exec
	s_cselect_b32 s5, s15, 0
	s_cselect_b32 s4, s14, 0x10000
	s_waitcnt lgkmcnt(0)
	s_and_b32 s2, s2, 0xffff
	v_cmp_lt_u64_e32 vcc, s[14:15], v[2:3]
	s_and_b64 s[6:7], vcc, exec
	s_mov_b32 s3, 0
	v_mov_b32_e32 v1, 0
	s_cselect_b32 s17, s15, 0
	s_cselect_b32 s16, s14, 0x10000
	s_lshl_b32 s6, s2, 1
	s_lshl_b32 s28, s2, 2
	s_add_u32 s24, s10, s12
	v_lshl_add_u64 v[8:9], v[0:1], 0, s[2:3]
	s_mov_b32 s7, s3
	s_mul_i32 s22, s2, 3
	s_mov_b32 s23, s3
	v_lshlrev_b32_e32 v2, 3, v0
	v_mov_b32_e32 v3, v1
	s_addc_u32 s25, s11, s13
	v_lshlrev_b32_e32 v10, 3, v8
	v_mov_b32_e32 v11, v1
	v_lshl_add_u64 v[2:3], s[24:25], 0, v[2:3]
	s_lshl_b32 s18, s2, 5
	s_mov_b32 s19, s3
	s_mul_i32 s20, s2, 24
	s_mov_b32 s21, s3
	v_lshl_add_u64 v[4:5], s[22:23], 0, v[0:1]
	s_lshl_b32 s22, s2, 4
	v_lshl_add_u64 v[6:7], s[6:7], 0, v[0:1]
	v_lshl_add_u64 v[10:11], s[24:25], 0, v[10:11]
	s_mov_b64 s[24:25], 0
	v_mov_b64_e32 v[12:13], s[4:5]
	s_branch .LBB88_4
.LBB88_3:                               ;   in Loop: Header=BB88_4 Depth=1
	s_or_b64 exec, exec, s[2:3]
	s_add_u32 s24, s24, s28
	s_addc_u32 s25, s25, 0
	v_cmp_lt_i64_e32 vcc, s[24:25], v[12:13]
	v_lshl_add_u64 v[2:3], v[2:3], 0, s[18:19]
	v_lshl_add_u64 v[10:11], v[10:11], 0, s[18:19]
	s_cbranch_vccz .LBB88_20
.LBB88_4:                               ; =>This Inner Loop Header: Depth=1
	s_waitcnt vmcnt(0)
	v_lshl_add_u64 v[14:15], v[0:1], 0, s[24:25]
	v_cmp_gt_u64_e32 vcc, s[16:17], v[14:15]
	v_mov_b64_e32 v[14:15], 0
	v_mov_b64_e32 v[18:19], 0
	s_and_saveexec_b64 s[2:3], vcc
	s_cbranch_execz .LBB88_6
; %bb.5:                                ;   in Loop: Header=BB88_4 Depth=1
	global_load_dwordx2 v[18:19], v[2:3], off
.LBB88_6:                               ;   in Loop: Header=BB88_4 Depth=1
	s_or_b64 exec, exec, s[2:3]
	v_lshl_add_u64 v[16:17], v[8:9], 0, s[24:25]
	v_cmp_gt_u64_e64 s[2:3], s[16:17], v[16:17]
	s_and_saveexec_b64 s[4:5], s[2:3]
	s_cbranch_execz .LBB88_8
; %bb.7:                                ;   in Loop: Header=BB88_4 Depth=1
	global_load_dwordx2 v[14:15], v[10:11], off
.LBB88_8:                               ;   in Loop: Header=BB88_4 Depth=1
	s_or_b64 exec, exec, s[4:5]
	v_lshl_add_u64 v[16:17], v[6:7], 0, s[24:25]
	v_cmp_gt_u64_e64 s[4:5], s[16:17], v[16:17]
	v_mov_b64_e32 v[16:17], 0
	v_lshl_add_u64 v[20:21], v[2:3], 0, s[22:23]
	v_mov_b64_e32 v[22:23], 0
	s_and_saveexec_b64 s[6:7], s[4:5]
	s_cbranch_execz .LBB88_10
; %bb.9:                                ;   in Loop: Header=BB88_4 Depth=1
	global_load_dwordx2 v[22:23], v[20:21], off
.LBB88_10:                              ;   in Loop: Header=BB88_4 Depth=1
	s_or_b64 exec, exec, s[6:7]
	v_lshl_add_u64 v[24:25], v[4:5], 0, s[24:25]
	v_cmp_gt_u64_e64 s[6:7], s[16:17], v[24:25]
	v_lshl_add_u64 v[24:25], v[2:3], 0, s[20:21]
	s_and_saveexec_b64 s[26:27], s[6:7]
	s_cbranch_execnz .LBB88_15
; %bb.11:                               ;   in Loop: Header=BB88_4 Depth=1
	s_or_b64 exec, exec, s[26:27]
	s_and_saveexec_b64 s[26:27], vcc
	s_cbranch_execnz .LBB88_16
.LBB88_12:                              ;   in Loop: Header=BB88_4 Depth=1
	s_or_b64 exec, exec, s[26:27]
	s_and_saveexec_b64 s[26:27], s[2:3]
	s_cbranch_execnz .LBB88_17
.LBB88_13:                              ;   in Loop: Header=BB88_4 Depth=1
	s_or_b64 exec, exec, s[26:27]
	s_and_saveexec_b64 s[2:3], s[4:5]
	s_cbranch_execnz .LBB88_18
.LBB88_14:                              ;   in Loop: Header=BB88_4 Depth=1
	s_or_b64 exec, exec, s[2:3]
	s_and_saveexec_b64 s[2:3], s[6:7]
	s_cbranch_execz .LBB88_3
	s_branch .LBB88_19
.LBB88_15:                              ;   in Loop: Header=BB88_4 Depth=1
	global_load_dwordx2 v[16:17], v[24:25], off
	s_or_b64 exec, exec, s[26:27]
	s_and_saveexec_b64 s[26:27], vcc
	s_cbranch_execz .LBB88_12
.LBB88_16:                              ;   in Loop: Header=BB88_4 Depth=1
	s_waitcnt vmcnt(0)
	v_add_f64 v[18:19], v[18:19], -s[8:9]
	global_store_dwordx2 v[2:3], v[18:19], off
	s_or_b64 exec, exec, s[26:27]
	s_and_saveexec_b64 s[26:27], s[2:3]
	s_cbranch_execz .LBB88_13
.LBB88_17:                              ;   in Loop: Header=BB88_4 Depth=1
	s_waitcnt vmcnt(0)
	v_add_f64 v[14:15], v[14:15], -s[8:9]
	global_store_dwordx2 v[10:11], v[14:15], off
	s_or_b64 exec, exec, s[26:27]
	s_and_saveexec_b64 s[2:3], s[4:5]
	s_cbranch_execz .LBB88_14
.LBB88_18:                              ;   in Loop: Header=BB88_4 Depth=1
	s_waitcnt vmcnt(0)
	v_add_f64 v[14:15], v[22:23], -s[8:9]
	global_store_dwordx2 v[20:21], v[14:15], off
	s_or_b64 exec, exec, s[2:3]
	s_and_saveexec_b64 s[2:3], s[6:7]
	s_cbranch_execz .LBB88_3
.LBB88_19:                              ;   in Loop: Header=BB88_4 Depth=1
	s_waitcnt vmcnt(0)
	v_add_f64 v[14:15], v[16:17], -s[8:9]
	global_store_dwordx2 v[24:25], v[14:15], off
	s_branch .LBB88_3
.LBB88_20:
	s_cbranch_execz .LBB88_22
	s_branch .LBB88_25
.LBB88_21:
.LBB88_22:
	v_mov_b64_e32 v[4:5], 0x10000
	v_cmp_lt_i64_e32 vcc, s[14:15], v[4:5]
	s_and_b64 s[4:5], vcc, exec
	v_mov_b32_e32 v3, 0
	s_cselect_b32 s5, s15, 0
	s_cselect_b32 s4, s14, 0x10000
	v_lshlrev_b32_e32 v2, 2, v0
	s_mov_b32 s3, 0
	v_cmp_gt_i64_e32 vcc, s[4:5], v[2:3]
	s_and_saveexec_b64 s[6:7], vcc
	s_cbranch_execz .LBB88_25
; %bb.23:
	s_load_dword s0, s[0:1], 0xd44
	v_lshlrev_b32_e32 v2, 5, v0
	v_mov_b32_e32 v1, v3
	s_mov_b32 s1, s3
	s_waitcnt lgkmcnt(0)
	s_and_b32 s2, s0, 0xffff
	s_add_u32 s6, s10, s12
	s_addc_u32 s7, s11, s13
	v_lshl_add_u64 v[2:3], s[6:7], 0, v[2:3]
	s_lshl_b32 s0, s2, 5
	v_lshl_add_u64 v[2:3], v[2:3], 0, 16
	s_mov_b64 s[6:7], 0
.LBB88_24:                              ; =>This Inner Loop Header: Depth=1
	global_load_dwordx4 v[4:7], v[2:3], off offset:-16
	global_load_dwordx4 v[8:11], v[2:3], off
	v_lshl_add_u64 v[0:1], v[0:1], 0, s[2:3]
	v_lshlrev_b64 v[12:13], 2, v[0:1]
	v_cmp_le_i64_e32 vcc, s[4:5], v[12:13]
	s_or_b64 s[6:7], vcc, s[6:7]
	s_waitcnt vmcnt(1)
	v_add_f64 v[4:5], v[4:5], -s[8:9]
	v_add_f64 v[6:7], v[6:7], -s[8:9]
	s_waitcnt vmcnt(0)
	v_add_f64 v[8:9], v[8:9], -s[8:9]
	v_add_f64 v[10:11], v[10:11], -s[8:9]
	global_store_dwordx4 v[2:3], v[4:7], off offset:-16
	global_store_dwordx4 v[2:3], v[8:11], off
	v_lshl_add_u64 v[2:3], v[2:3], 0, s[0:1]
	s_andn2_b64 exec, exec, s[6:7]
	s_cbranch_execnz .LBB88_24
.LBB88_25:
	s_endpgm
	.section	.rodata,"a",@progbits
	.p2align	6, 0x0
	.amdhsa_kernel _ZN2at6native12_GLOBAL__N_125multi_tensor_apply_kernelINS1_18TensorListMetadataILi1EEENS1_21BinaryOpScalarFunctorIdLi1ELi1ELi0EEEJSt5minusIdEdEEEvT_T0_DpT1_
		.amdhsa_group_segment_fixed_size 0
		.amdhsa_private_segment_fixed_size 0
		.amdhsa_kernarg_size 3640
		.amdhsa_user_sgpr_count 2
		.amdhsa_user_sgpr_dispatch_ptr 0
		.amdhsa_user_sgpr_queue_ptr 0
		.amdhsa_user_sgpr_kernarg_segment_ptr 1
		.amdhsa_user_sgpr_dispatch_id 0
		.amdhsa_user_sgpr_kernarg_preload_length 0
		.amdhsa_user_sgpr_kernarg_preload_offset 0
		.amdhsa_user_sgpr_private_segment_size 0
		.amdhsa_uses_dynamic_stack 0
		.amdhsa_enable_private_segment 0
		.amdhsa_system_sgpr_workgroup_id_x 1
		.amdhsa_system_sgpr_workgroup_id_y 0
		.amdhsa_system_sgpr_workgroup_id_z 0
		.amdhsa_system_sgpr_workgroup_info 0
		.amdhsa_system_vgpr_workitem_id 0
		.amdhsa_next_free_vgpr 26
		.amdhsa_next_free_sgpr 29
		.amdhsa_accum_offset 28
		.amdhsa_reserve_vcc 1
		.amdhsa_float_round_mode_32 0
		.amdhsa_float_round_mode_16_64 0
		.amdhsa_float_denorm_mode_32 3
		.amdhsa_float_denorm_mode_16_64 3
		.amdhsa_dx10_clamp 1
		.amdhsa_ieee_mode 1
		.amdhsa_fp16_overflow 0
		.amdhsa_tg_split 0
		.amdhsa_exception_fp_ieee_invalid_op 0
		.amdhsa_exception_fp_denorm_src 0
		.amdhsa_exception_fp_ieee_div_zero 0
		.amdhsa_exception_fp_ieee_overflow 0
		.amdhsa_exception_fp_ieee_underflow 0
		.amdhsa_exception_fp_ieee_inexact 0
		.amdhsa_exception_int_div_zero 0
	.end_amdhsa_kernel
	.section	.text._ZN2at6native12_GLOBAL__N_125multi_tensor_apply_kernelINS1_18TensorListMetadataILi1EEENS1_21BinaryOpScalarFunctorIdLi1ELi1ELi0EEEJSt5minusIdEdEEEvT_T0_DpT1_,"axG",@progbits,_ZN2at6native12_GLOBAL__N_125multi_tensor_apply_kernelINS1_18TensorListMetadataILi1EEENS1_21BinaryOpScalarFunctorIdLi1ELi1ELi0EEEJSt5minusIdEdEEEvT_T0_DpT1_,comdat
.Lfunc_end88:
	.size	_ZN2at6native12_GLOBAL__N_125multi_tensor_apply_kernelINS1_18TensorListMetadataILi1EEENS1_21BinaryOpScalarFunctorIdLi1ELi1ELi0EEEJSt5minusIdEdEEEvT_T0_DpT1_, .Lfunc_end88-_ZN2at6native12_GLOBAL__N_125multi_tensor_apply_kernelINS1_18TensorListMetadataILi1EEENS1_21BinaryOpScalarFunctorIdLi1ELi1ELi0EEEJSt5minusIdEdEEEvT_T0_DpT1_
                                        ; -- End function
	.set _ZN2at6native12_GLOBAL__N_125multi_tensor_apply_kernelINS1_18TensorListMetadataILi1EEENS1_21BinaryOpScalarFunctorIdLi1ELi1ELi0EEEJSt5minusIdEdEEEvT_T0_DpT1_.num_vgpr, 26
	.set _ZN2at6native12_GLOBAL__N_125multi_tensor_apply_kernelINS1_18TensorListMetadataILi1EEENS1_21BinaryOpScalarFunctorIdLi1ELi1ELi0EEEJSt5minusIdEdEEEvT_T0_DpT1_.num_agpr, 0
	.set _ZN2at6native12_GLOBAL__N_125multi_tensor_apply_kernelINS1_18TensorListMetadataILi1EEENS1_21BinaryOpScalarFunctorIdLi1ELi1ELi0EEEJSt5minusIdEdEEEvT_T0_DpT1_.numbered_sgpr, 29
	.set _ZN2at6native12_GLOBAL__N_125multi_tensor_apply_kernelINS1_18TensorListMetadataILi1EEENS1_21BinaryOpScalarFunctorIdLi1ELi1ELi0EEEJSt5minusIdEdEEEvT_T0_DpT1_.num_named_barrier, 0
	.set _ZN2at6native12_GLOBAL__N_125multi_tensor_apply_kernelINS1_18TensorListMetadataILi1EEENS1_21BinaryOpScalarFunctorIdLi1ELi1ELi0EEEJSt5minusIdEdEEEvT_T0_DpT1_.private_seg_size, 0
	.set _ZN2at6native12_GLOBAL__N_125multi_tensor_apply_kernelINS1_18TensorListMetadataILi1EEENS1_21BinaryOpScalarFunctorIdLi1ELi1ELi0EEEJSt5minusIdEdEEEvT_T0_DpT1_.uses_vcc, 1
	.set _ZN2at6native12_GLOBAL__N_125multi_tensor_apply_kernelINS1_18TensorListMetadataILi1EEENS1_21BinaryOpScalarFunctorIdLi1ELi1ELi0EEEJSt5minusIdEdEEEvT_T0_DpT1_.uses_flat_scratch, 0
	.set _ZN2at6native12_GLOBAL__N_125multi_tensor_apply_kernelINS1_18TensorListMetadataILi1EEENS1_21BinaryOpScalarFunctorIdLi1ELi1ELi0EEEJSt5minusIdEdEEEvT_T0_DpT1_.has_dyn_sized_stack, 0
	.set _ZN2at6native12_GLOBAL__N_125multi_tensor_apply_kernelINS1_18TensorListMetadataILi1EEENS1_21BinaryOpScalarFunctorIdLi1ELi1ELi0EEEJSt5minusIdEdEEEvT_T0_DpT1_.has_recursion, 0
	.set _ZN2at6native12_GLOBAL__N_125multi_tensor_apply_kernelINS1_18TensorListMetadataILi1EEENS1_21BinaryOpScalarFunctorIdLi1ELi1ELi0EEEJSt5minusIdEdEEEvT_T0_DpT1_.has_indirect_call, 0
	.section	.AMDGPU.csdata,"",@progbits
; Kernel info:
; codeLenInByte = 972
; TotalNumSgprs: 35
; NumVgprs: 26
; NumAgprs: 0
; TotalNumVgprs: 26
; ScratchSize: 0
; MemoryBound: 0
; FloatMode: 240
; IeeeMode: 1
; LDSByteSize: 0 bytes/workgroup (compile time only)
; SGPRBlocks: 4
; VGPRBlocks: 3
; NumSGPRsForWavesPerEU: 35
; NumVGPRsForWavesPerEU: 26
; AccumOffset: 28
; Occupancy: 8
; WaveLimiterHint : 0
; COMPUTE_PGM_RSRC2:SCRATCH_EN: 0
; COMPUTE_PGM_RSRC2:USER_SGPR: 2
; COMPUTE_PGM_RSRC2:TRAP_HANDLER: 0
; COMPUTE_PGM_RSRC2:TGID_X_EN: 1
; COMPUTE_PGM_RSRC2:TGID_Y_EN: 0
; COMPUTE_PGM_RSRC2:TGID_Z_EN: 0
; COMPUTE_PGM_RSRC2:TIDIG_COMP_CNT: 0
; COMPUTE_PGM_RSRC3_GFX90A:ACCUM_OFFSET: 6
; COMPUTE_PGM_RSRC3_GFX90A:TG_SPLIT: 0
	.section	.text._ZN2at6native12_GLOBAL__N_125multi_tensor_apply_kernelINS1_18TensorListMetadataILi1EEENS1_21BinaryOpScalarFunctorIfLi1ELi1ELi0EEEJSt5minusIfEfEEEvT_T0_DpT1_,"axG",@progbits,_ZN2at6native12_GLOBAL__N_125multi_tensor_apply_kernelINS1_18TensorListMetadataILi1EEENS1_21BinaryOpScalarFunctorIfLi1ELi1ELi0EEEJSt5minusIfEfEEEvT_T0_DpT1_,comdat
	.globl	_ZN2at6native12_GLOBAL__N_125multi_tensor_apply_kernelINS1_18TensorListMetadataILi1EEENS1_21BinaryOpScalarFunctorIfLi1ELi1ELi0EEEJSt5minusIfEfEEEvT_T0_DpT1_ ; -- Begin function _ZN2at6native12_GLOBAL__N_125multi_tensor_apply_kernelINS1_18TensorListMetadataILi1EEENS1_21BinaryOpScalarFunctorIfLi1ELi1ELi0EEEJSt5minusIfEfEEEvT_T0_DpT1_
	.p2align	8
	.type	_ZN2at6native12_GLOBAL__N_125multi_tensor_apply_kernelINS1_18TensorListMetadataILi1EEENS1_21BinaryOpScalarFunctorIfLi1ELi1ELi0EEEJSt5minusIfEfEEEvT_T0_DpT1_,@function
_ZN2at6native12_GLOBAL__N_125multi_tensor_apply_kernelINS1_18TensorListMetadataILi1EEENS1_21BinaryOpScalarFunctorIfLi1ELi1ELi0EEEJSt5minusIfEfEEEvT_T0_DpT1_: ; @_ZN2at6native12_GLOBAL__N_125multi_tensor_apply_kernelINS1_18TensorListMetadataILi1EEENS1_21BinaryOpScalarFunctorIfLi1ELi1ELi0EEEJSt5minusIfEfEEEvT_T0_DpT1_
; %bb.0:
	v_mov_b32_e32 v1, s2
	global_load_ubyte v1, v1, s[0:1] offset:1760
	s_add_u32 s3, s0, s2
	s_mul_hi_u32 s4, s2, 3
	s_mul_i32 s2, s2, 3
	s_addc_u32 s5, s1, 0
	s_add_u32 s2, s3, s2
	s_addc_u32 s3, s5, s4
	s_load_dword s2, s[2:3], 0x820
	s_mov_b32 s7, 0
	s_waitcnt vmcnt(0)
	v_readfirstlane_b32 s3, v1
	s_lshl_b32 s3, s3, 3
	s_load_dword s10, s[0:1], 0xd2c
	s_load_dwordx2 s[4:5], s[0:1], s3 offset:0x370
	s_load_dwordx2 s[8:9], s[0:1], s3 offset:0x0
	s_waitcnt lgkmcnt(0)
	s_ashr_i32 s3, s2, 31
	s_lshl_b64 s[12:13], s[2:3], 18
	s_lshl_b64 s[2:3], s[2:3], 16
	s_and_b32 s6, s8, 15
	s_sub_u32 s14, s4, s2
	s_subb_u32 s15, s5, s3
	s_and_b32 s2, s4, 3
	s_mov_b32 s3, s7
	s_or_b64 s[2:3], s[6:7], s[2:3]
	s_cmp_eq_u64 s[2:3], 0
	s_cbranch_scc1 .LBB89_21
; %bb.1:
	v_cmp_lt_i64_e64 s[2:3], s[14:15], 1
	s_and_b64 vcc, exec, s[2:3]
	s_cbranch_vccnz .LBB89_20
; %bb.2:
	s_load_dword s2, s[0:1], 0xd3c
	v_mov_b64_e32 v[2:3], 0x10000
	v_cmp_lt_i64_e32 vcc, s[14:15], v[2:3]
	s_and_b64 s[4:5], vcc, exec
	s_cselect_b32 s5, s15, 0
	s_cselect_b32 s4, s14, 0x10000
	s_waitcnt lgkmcnt(0)
	s_and_b32 s2, s2, 0xffff
	v_cmp_lt_u64_e32 vcc, s[14:15], v[2:3]
	s_and_b64 s[6:7], vcc, exec
	s_mov_b32 s3, 0
	v_mov_b32_e32 v1, 0
	s_cselect_b32 s17, s15, 0
	s_cselect_b32 s16, s14, 0x10000
	s_lshl_b32 s6, s2, 1
	s_lshl_b32 s11, s2, 2
	s_add_u32 s24, s8, s12
	v_lshl_add_u64 v[8:9], v[0:1], 0, s[2:3]
	s_mov_b32 s7, s3
	s_mul_i32 s22, s2, 3
	s_mov_b32 s23, s3
	v_lshlrev_b32_e32 v2, 2, v0
	v_mov_b32_e32 v3, v1
	s_addc_u32 s25, s9, s13
	v_lshlrev_b32_e32 v10, 2, v8
	v_mov_b32_e32 v11, v1
	v_lshl_add_u64 v[2:3], s[24:25], 0, v[2:3]
	s_lshl_b32 s18, s2, 4
	s_mov_b32 s19, s3
	s_mul_i32 s20, s2, 12
	s_mov_b32 s21, s3
	v_lshl_add_u64 v[4:5], s[22:23], 0, v[0:1]
	s_lshl_b32 s22, s2, 3
	v_lshl_add_u64 v[6:7], s[6:7], 0, v[0:1]
	v_lshl_add_u64 v[10:11], s[24:25], 0, v[10:11]
	s_mov_b64 s[24:25], 0
	v_mov_b64_e32 v[12:13], s[4:5]
	s_branch .LBB89_4
.LBB89_3:                               ;   in Loop: Header=BB89_4 Depth=1
	s_or_b64 exec, exec, s[2:3]
	s_add_u32 s24, s24, s11
	s_addc_u32 s25, s25, 0
	v_cmp_lt_i64_e32 vcc, s[24:25], v[12:13]
	v_lshl_add_u64 v[2:3], v[2:3], 0, s[18:19]
	v_lshl_add_u64 v[10:11], v[10:11], 0, s[18:19]
	s_cbranch_vccz .LBB89_20
.LBB89_4:                               ; =>This Inner Loop Header: Depth=1
	v_lshl_add_u64 v[14:15], v[0:1], 0, s[24:25]
	v_cmp_gt_u64_e32 vcc, s[16:17], v[14:15]
	s_waitcnt vmcnt(0)
	v_mov_b32_e32 v19, 0
	s_and_saveexec_b64 s[2:3], vcc
	s_cbranch_execz .LBB89_6
; %bb.5:                                ;   in Loop: Header=BB89_4 Depth=1
	global_load_dword v19, v[2:3], off
.LBB89_6:                               ;   in Loop: Header=BB89_4 Depth=1
	s_or_b64 exec, exec, s[2:3]
	v_lshl_add_u64 v[14:15], v[8:9], 0, s[24:25]
	v_cmp_gt_u64_e64 s[2:3], s[16:17], v[14:15]
	v_mov_b32_e32 v18, 0
	v_mov_b32_e32 v20, 0
	s_and_saveexec_b64 s[4:5], s[2:3]
	s_cbranch_execz .LBB89_8
; %bb.7:                                ;   in Loop: Header=BB89_4 Depth=1
	global_load_dword v20, v[10:11], off
.LBB89_8:                               ;   in Loop: Header=BB89_4 Depth=1
	s_or_b64 exec, exec, s[4:5]
	v_lshl_add_u64 v[14:15], v[6:7], 0, s[24:25]
	v_cmp_gt_u64_e64 s[4:5], s[16:17], v[14:15]
	v_lshl_add_u64 v[14:15], v[2:3], 0, s[22:23]
	s_and_saveexec_b64 s[6:7], s[4:5]
	s_cbranch_execz .LBB89_10
; %bb.9:                                ;   in Loop: Header=BB89_4 Depth=1
	global_load_dword v18, v[14:15], off
.LBB89_10:                              ;   in Loop: Header=BB89_4 Depth=1
	s_or_b64 exec, exec, s[6:7]
	v_lshl_add_u64 v[16:17], v[4:5], 0, s[24:25]
	v_cmp_gt_u64_e64 s[6:7], s[16:17], v[16:17]
	v_mov_b32_e32 v21, 0
	v_lshl_add_u64 v[16:17], v[2:3], 0, s[20:21]
	s_and_saveexec_b64 s[26:27], s[6:7]
	s_cbranch_execnz .LBB89_15
; %bb.11:                               ;   in Loop: Header=BB89_4 Depth=1
	s_or_b64 exec, exec, s[26:27]
	s_and_saveexec_b64 s[26:27], vcc
	s_cbranch_execnz .LBB89_16
.LBB89_12:                              ;   in Loop: Header=BB89_4 Depth=1
	s_or_b64 exec, exec, s[26:27]
	s_and_saveexec_b64 s[26:27], s[2:3]
	s_cbranch_execnz .LBB89_17
.LBB89_13:                              ;   in Loop: Header=BB89_4 Depth=1
	s_or_b64 exec, exec, s[26:27]
	s_and_saveexec_b64 s[2:3], s[4:5]
	s_cbranch_execnz .LBB89_18
.LBB89_14:                              ;   in Loop: Header=BB89_4 Depth=1
	s_or_b64 exec, exec, s[2:3]
	s_and_saveexec_b64 s[2:3], s[6:7]
	s_cbranch_execz .LBB89_3
	s_branch .LBB89_19
.LBB89_15:                              ;   in Loop: Header=BB89_4 Depth=1
	global_load_dword v21, v[16:17], off
	s_or_b64 exec, exec, s[26:27]
	s_and_saveexec_b64 s[26:27], vcc
	s_cbranch_execz .LBB89_12
.LBB89_16:                              ;   in Loop: Header=BB89_4 Depth=1
	s_waitcnt vmcnt(0)
	v_subrev_f32_e32 v19, s10, v19
	global_store_dword v[2:3], v19, off
	s_or_b64 exec, exec, s[26:27]
	s_and_saveexec_b64 s[26:27], s[2:3]
	s_cbranch_execz .LBB89_13
.LBB89_17:                              ;   in Loop: Header=BB89_4 Depth=1
	s_waitcnt vmcnt(0)
	v_subrev_f32_e32 v19, s10, v20
	global_store_dword v[10:11], v19, off
	s_or_b64 exec, exec, s[26:27]
	s_and_saveexec_b64 s[2:3], s[4:5]
	s_cbranch_execz .LBB89_14
.LBB89_18:                              ;   in Loop: Header=BB89_4 Depth=1
	s_waitcnt vmcnt(0)
	v_subrev_f32_e32 v18, s10, v18
	global_store_dword v[14:15], v18, off
	s_or_b64 exec, exec, s[2:3]
	s_and_saveexec_b64 s[2:3], s[6:7]
	s_cbranch_execz .LBB89_3
.LBB89_19:                              ;   in Loop: Header=BB89_4 Depth=1
	s_waitcnt vmcnt(0)
	v_subrev_f32_e32 v14, s10, v21
	global_store_dword v[16:17], v14, off
	s_branch .LBB89_3
.LBB89_20:
	s_cbranch_execz .LBB89_22
	s_branch .LBB89_32
.LBB89_21:
.LBB89_22:
	v_mov_b64_e32 v[4:5], 0x10000
	v_cmp_lt_i64_e32 vcc, s[14:15], v[4:5]
	s_and_b64 s[2:3], vcc, exec
	v_mov_b32_e32 v3, 0
	s_cselect_b32 s3, s15, 0
	s_cselect_b32 s2, s14, 0x10000
	v_lshlrev_b32_e32 v2, 2, v0
	s_mov_b32 s4, 0
	v_cmp_gt_i64_e32 vcc, s[2:3], v[2:3]
	s_and_saveexec_b64 s[6:7], vcc
	s_cbranch_execz .LBB89_32
; %bb.23:
	v_add_u32_e32 v4, 4, v2
	v_mov_b32_e32 v5, v3
	v_mov_b32_e32 v6, s3
	v_cmp_gt_i64_e32 vcc, s[2:3], v[4:5]
	s_load_dword s0, s[0:1], 0xd3c
	v_mov_b32_e32 v1, v3
	v_cndmask_b32_e32 v5, 0, v6, vcc
	v_mov_b32_e32 v6, s2
	v_cndmask_b32_e32 v4, v4, v6, vcc
	v_lshl_add_u64 v[4:5], v[4:5], 0, -4
	v_cmp_ne_u64_e32 vcc, v[4:5], v[2:3]
	s_waitcnt lgkmcnt(0)
	s_and_b32 s0, s0, 0xffff
	v_mov_b32_e32 v7, s4
	v_cndmask_b32_e64 v6, 0, 1, vcc
	v_or_b32_e32 v2, v2, v6
	v_sub_co_u32_e32 v2, vcc, v4, v2
	s_cmp_lg_u32 s0, 1
	s_nop 0
	v_subbrev_co_u32_e32 v3, vcc, 0, v5, vcc
	v_lshrrev_b64 v[2:3], 2, v[2:3]
	v_lshl_add_u64 v[4:5], v[2:3], 0, v[6:7]
	v_cmp_eq_u64_e32 vcc, 0, v[4:5]
	s_cselect_b64 s[6:7], -1, 0
	s_mov_b64 s[4:5], 0
	s_or_b64 s[6:7], vcc, s[6:7]
	s_and_saveexec_b64 s[14:15], s[6:7]
	s_xor_b64 s[6:7], exec, s[14:15]
	s_cbranch_execnz .LBB89_26
; %bb.24:
	s_or_saveexec_b64 s[6:7], s[6:7]
	v_mov_b64_e32 v[2:3], s[10:11]
	s_xor_b64 exec, exec, s[6:7]
	s_cbranch_execnz .LBB89_27
.LBB89_25:
	s_or_b64 exec, exec, s[6:7]
	s_and_b64 exec, exec, s[4:5]
	s_cbranch_execnz .LBB89_30
	s_branch .LBB89_32
.LBB89_26:
	s_mov_b64 s[4:5], exec
                                        ; implicit-def: $vgpr4_vgpr5
	s_or_saveexec_b64 s[6:7], s[6:7]
	v_mov_b64_e32 v[2:3], s[10:11]
	s_xor_b64 exec, exec, s[6:7]
	s_cbranch_execz .LBB89_25
.LBB89_27:
	s_add_u32 s14, s8, s12
	v_lshl_add_u64 v[2:3], v[4:5], 0, 1
	v_lshlrev_b32_e32 v6, 4, v0
	v_mov_b32_e32 v7, 0
	s_addc_u32 s15, s9, s13
	v_and_b32_e32 v4, -2, v2
	v_mov_b32_e32 v5, v3
	v_lshl_add_u64 v[6:7], s[14:15], 0, v[6:7]
	s_mov_b32 s11, s10
	v_lshl_add_u64 v[6:7], v[6:7], 0, 28
	s_mov_b64 s[14:15], 0
	v_mov_b64_e32 v[8:9], v[4:5]
.LBB89_28:                              ; =>This Inner Loop Header: Depth=1
	global_load_dwordx4 v[10:13], v[6:7], off offset:-28
	global_load_dwordx4 v[14:17], v[6:7], off offset:-12
	v_lshl_add_u64 v[8:9], v[8:9], 0, -2
	v_cmp_eq_u64_e32 vcc, 0, v[8:9]
	s_or_b64 s[14:15], vcc, s[14:15]
	s_waitcnt vmcnt(1)
	v_mov_b32_e32 v18, v10
	s_waitcnt vmcnt(0)
	v_mov_b32_e32 v19, v14
	v_mov_b32_e32 v14, v11
	;; [unrolled: 1-line block ×5, first 2 shown]
	v_pk_add_f32 v[18:19], v[18:19], s[10:11] neg_lo:[0,1] neg_hi:[0,1]
	v_pk_add_f32 v[10:11], v[14:15], s[10:11] neg_lo:[0,1] neg_hi:[0,1]
	v_pk_add_f32 v[20:21], v[20:21], s[10:11] neg_lo:[0,1] neg_hi:[0,1]
	v_pk_add_f32 v[12:13], v[16:17], s[10:11] neg_lo:[0,1] neg_hi:[0,1]
	v_mov_b32_e32 v14, v18
	v_mov_b32_e32 v15, v10
	;; [unrolled: 1-line block ×6, first 2 shown]
	global_store_dwordx4 v[6:7], v[14:17], off offset:-28
	global_store_dwordx4 v[6:7], v[10:13], off offset:-12
	v_lshl_add_u64 v[6:7], v[6:7], 0, 32
	s_andn2_b64 exec, exec, s[14:15]
	s_cbranch_execnz .LBB89_28
; %bb.29:
	s_or_b64 exec, exec, s[14:15]
	v_cmp_ne_u64_e32 vcc, v[2:3], v[4:5]
	s_andn2_b64 s[4:5], s[4:5], exec
	s_and_b64 s[14:15], vcc, exec
	v_lshl_add_u64 v[0:1], v[4:5], 0, v[0:1]
	v_mov_b64_e32 v[2:3], s[10:11]
	s_or_b64 s[4:5], s[4:5], s[14:15]
	s_or_b64 exec, exec, s[6:7]
	s_and_b64 exec, exec, s[4:5]
	s_cbranch_execz .LBB89_32
.LBB89_30:
	s_add_u32 s4, s8, s12
	s_addc_u32 s5, s9, s13
	s_mov_b32 s1, 0
	v_lshl_add_u64 v[4:5], v[0:1], 4, s[4:5]
	v_mov_b32_e32 v3, s10
	v_lshl_add_u64 v[4:5], v[4:5], 0, 8
	s_lshl_b32 s4, s0, 4
	s_mov_b32 s5, s1
	s_mov_b64 s[6:7], 0
.LBB89_31:                              ; =>This Inner Loop Header: Depth=1
	global_load_dwordx4 v[6:9], v[4:5], off offset:-8
	v_lshl_add_u64 v[0:1], v[0:1], 0, s[0:1]
	v_lshlrev_b64 v[10:11], 2, v[0:1]
	v_cmp_le_i64_e32 vcc, s[2:3], v[10:11]
	s_or_b64 s[6:7], vcc, s[6:7]
	s_waitcnt vmcnt(0)
	v_pk_add_f32 v[6:7], v[6:7], v[2:3] neg_lo:[0,1] neg_hi:[0,1]
	v_pk_add_f32 v[8:9], v[8:9], v[2:3] neg_lo:[0,1] neg_hi:[0,1]
	global_store_dwordx4 v[4:5], v[6:9], off offset:-8
	v_lshl_add_u64 v[4:5], v[4:5], 0, s[4:5]
	s_andn2_b64 exec, exec, s[6:7]
	s_cbranch_execnz .LBB89_31
.LBB89_32:
	s_endpgm
	.section	.rodata,"a",@progbits
	.p2align	6, 0x0
	.amdhsa_kernel _ZN2at6native12_GLOBAL__N_125multi_tensor_apply_kernelINS1_18TensorListMetadataILi1EEENS1_21BinaryOpScalarFunctorIfLi1ELi1ELi0EEEJSt5minusIfEfEEEvT_T0_DpT1_
		.amdhsa_group_segment_fixed_size 0
		.amdhsa_private_segment_fixed_size 0
		.amdhsa_kernarg_size 3632
		.amdhsa_user_sgpr_count 2
		.amdhsa_user_sgpr_dispatch_ptr 0
		.amdhsa_user_sgpr_queue_ptr 0
		.amdhsa_user_sgpr_kernarg_segment_ptr 1
		.amdhsa_user_sgpr_dispatch_id 0
		.amdhsa_user_sgpr_kernarg_preload_length 0
		.amdhsa_user_sgpr_kernarg_preload_offset 0
		.amdhsa_user_sgpr_private_segment_size 0
		.amdhsa_uses_dynamic_stack 0
		.amdhsa_enable_private_segment 0
		.amdhsa_system_sgpr_workgroup_id_x 1
		.amdhsa_system_sgpr_workgroup_id_y 0
		.amdhsa_system_sgpr_workgroup_id_z 0
		.amdhsa_system_sgpr_workgroup_info 0
		.amdhsa_system_vgpr_workitem_id 0
		.amdhsa_next_free_vgpr 22
		.amdhsa_next_free_sgpr 28
		.amdhsa_accum_offset 24
		.amdhsa_reserve_vcc 1
		.amdhsa_float_round_mode_32 0
		.amdhsa_float_round_mode_16_64 0
		.amdhsa_float_denorm_mode_32 3
		.amdhsa_float_denorm_mode_16_64 3
		.amdhsa_dx10_clamp 1
		.amdhsa_ieee_mode 1
		.amdhsa_fp16_overflow 0
		.amdhsa_tg_split 0
		.amdhsa_exception_fp_ieee_invalid_op 0
		.amdhsa_exception_fp_denorm_src 0
		.amdhsa_exception_fp_ieee_div_zero 0
		.amdhsa_exception_fp_ieee_overflow 0
		.amdhsa_exception_fp_ieee_underflow 0
		.amdhsa_exception_fp_ieee_inexact 0
		.amdhsa_exception_int_div_zero 0
	.end_amdhsa_kernel
	.section	.text._ZN2at6native12_GLOBAL__N_125multi_tensor_apply_kernelINS1_18TensorListMetadataILi1EEENS1_21BinaryOpScalarFunctorIfLi1ELi1ELi0EEEJSt5minusIfEfEEEvT_T0_DpT1_,"axG",@progbits,_ZN2at6native12_GLOBAL__N_125multi_tensor_apply_kernelINS1_18TensorListMetadataILi1EEENS1_21BinaryOpScalarFunctorIfLi1ELi1ELi0EEEJSt5minusIfEfEEEvT_T0_DpT1_,comdat
.Lfunc_end89:
	.size	_ZN2at6native12_GLOBAL__N_125multi_tensor_apply_kernelINS1_18TensorListMetadataILi1EEENS1_21BinaryOpScalarFunctorIfLi1ELi1ELi0EEEJSt5minusIfEfEEEvT_T0_DpT1_, .Lfunc_end89-_ZN2at6native12_GLOBAL__N_125multi_tensor_apply_kernelINS1_18TensorListMetadataILi1EEENS1_21BinaryOpScalarFunctorIfLi1ELi1ELi0EEEJSt5minusIfEfEEEvT_T0_DpT1_
                                        ; -- End function
	.set _ZN2at6native12_GLOBAL__N_125multi_tensor_apply_kernelINS1_18TensorListMetadataILi1EEENS1_21BinaryOpScalarFunctorIfLi1ELi1ELi0EEEJSt5minusIfEfEEEvT_T0_DpT1_.num_vgpr, 22
	.set _ZN2at6native12_GLOBAL__N_125multi_tensor_apply_kernelINS1_18TensorListMetadataILi1EEENS1_21BinaryOpScalarFunctorIfLi1ELi1ELi0EEEJSt5minusIfEfEEEvT_T0_DpT1_.num_agpr, 0
	.set _ZN2at6native12_GLOBAL__N_125multi_tensor_apply_kernelINS1_18TensorListMetadataILi1EEENS1_21BinaryOpScalarFunctorIfLi1ELi1ELi0EEEJSt5minusIfEfEEEvT_T0_DpT1_.numbered_sgpr, 28
	.set _ZN2at6native12_GLOBAL__N_125multi_tensor_apply_kernelINS1_18TensorListMetadataILi1EEENS1_21BinaryOpScalarFunctorIfLi1ELi1ELi0EEEJSt5minusIfEfEEEvT_T0_DpT1_.num_named_barrier, 0
	.set _ZN2at6native12_GLOBAL__N_125multi_tensor_apply_kernelINS1_18TensorListMetadataILi1EEENS1_21BinaryOpScalarFunctorIfLi1ELi1ELi0EEEJSt5minusIfEfEEEvT_T0_DpT1_.private_seg_size, 0
	.set _ZN2at6native12_GLOBAL__N_125multi_tensor_apply_kernelINS1_18TensorListMetadataILi1EEENS1_21BinaryOpScalarFunctorIfLi1ELi1ELi0EEEJSt5minusIfEfEEEvT_T0_DpT1_.uses_vcc, 1
	.set _ZN2at6native12_GLOBAL__N_125multi_tensor_apply_kernelINS1_18TensorListMetadataILi1EEENS1_21BinaryOpScalarFunctorIfLi1ELi1ELi0EEEJSt5minusIfEfEEEvT_T0_DpT1_.uses_flat_scratch, 0
	.set _ZN2at6native12_GLOBAL__N_125multi_tensor_apply_kernelINS1_18TensorListMetadataILi1EEENS1_21BinaryOpScalarFunctorIfLi1ELi1ELi0EEEJSt5minusIfEfEEEvT_T0_DpT1_.has_dyn_sized_stack, 0
	.set _ZN2at6native12_GLOBAL__N_125multi_tensor_apply_kernelINS1_18TensorListMetadataILi1EEENS1_21BinaryOpScalarFunctorIfLi1ELi1ELi0EEEJSt5minusIfEfEEEvT_T0_DpT1_.has_recursion, 0
	.set _ZN2at6native12_GLOBAL__N_125multi_tensor_apply_kernelINS1_18TensorListMetadataILi1EEENS1_21BinaryOpScalarFunctorIfLi1ELi1ELi0EEEJSt5minusIfEfEEEvT_T0_DpT1_.has_indirect_call, 0
	.section	.AMDGPU.csdata,"",@progbits
; Kernel info:
; codeLenInByte = 1348
; TotalNumSgprs: 34
; NumVgprs: 22
; NumAgprs: 0
; TotalNumVgprs: 22
; ScratchSize: 0
; MemoryBound: 0
; FloatMode: 240
; IeeeMode: 1
; LDSByteSize: 0 bytes/workgroup (compile time only)
; SGPRBlocks: 4
; VGPRBlocks: 2
; NumSGPRsForWavesPerEU: 34
; NumVGPRsForWavesPerEU: 22
; AccumOffset: 24
; Occupancy: 8
; WaveLimiterHint : 0
; COMPUTE_PGM_RSRC2:SCRATCH_EN: 0
; COMPUTE_PGM_RSRC2:USER_SGPR: 2
; COMPUTE_PGM_RSRC2:TRAP_HANDLER: 0
; COMPUTE_PGM_RSRC2:TGID_X_EN: 1
; COMPUTE_PGM_RSRC2:TGID_Y_EN: 0
; COMPUTE_PGM_RSRC2:TGID_Z_EN: 0
; COMPUTE_PGM_RSRC2:TIDIG_COMP_CNT: 0
; COMPUTE_PGM_RSRC3_GFX90A:ACCUM_OFFSET: 5
; COMPUTE_PGM_RSRC3_GFX90A:TG_SPLIT: 0
	.section	.text._ZN2at6native12_GLOBAL__N_125multi_tensor_apply_kernelINS1_18TensorListMetadataILi1EEENS1_21BinaryOpScalarFunctorIN3c107complexIdEELi1ELi1ELi0EEEJSt5minusIS8_ES8_EEEvT_T0_DpT1_,"axG",@progbits,_ZN2at6native12_GLOBAL__N_125multi_tensor_apply_kernelINS1_18TensorListMetadataILi1EEENS1_21BinaryOpScalarFunctorIN3c107complexIdEELi1ELi1ELi0EEEJSt5minusIS8_ES8_EEEvT_T0_DpT1_,comdat
	.globl	_ZN2at6native12_GLOBAL__N_125multi_tensor_apply_kernelINS1_18TensorListMetadataILi1EEENS1_21BinaryOpScalarFunctorIN3c107complexIdEELi1ELi1ELi0EEEJSt5minusIS8_ES8_EEEvT_T0_DpT1_ ; -- Begin function _ZN2at6native12_GLOBAL__N_125multi_tensor_apply_kernelINS1_18TensorListMetadataILi1EEENS1_21BinaryOpScalarFunctorIN3c107complexIdEELi1ELi1ELi0EEEJSt5minusIS8_ES8_EEEvT_T0_DpT1_
	.p2align	8
	.type	_ZN2at6native12_GLOBAL__N_125multi_tensor_apply_kernelINS1_18TensorListMetadataILi1EEENS1_21BinaryOpScalarFunctorIN3c107complexIdEELi1ELi1ELi0EEEJSt5minusIS8_ES8_EEEvT_T0_DpT1_,@function
_ZN2at6native12_GLOBAL__N_125multi_tensor_apply_kernelINS1_18TensorListMetadataILi1EEENS1_21BinaryOpScalarFunctorIN3c107complexIdEELi1ELi1ELi0EEEJSt5minusIS8_ES8_EEEvT_T0_DpT1_: ; @_ZN2at6native12_GLOBAL__N_125multi_tensor_apply_kernelINS1_18TensorListMetadataILi1EEENS1_21BinaryOpScalarFunctorIN3c107complexIdEELi1ELi1ELi0EEEJSt5minusIS8_ES8_EEEvT_T0_DpT1_
; %bb.0:
	v_mov_b32_e32 v1, s2
	global_load_ubyte v1, v1, s[0:1] offset:1760
	s_add_u32 s3, s0, s2
	s_mul_hi_u32 s4, s2, 3
	s_mul_i32 s2, s2, 3
	s_addc_u32 s5, s1, 0
	s_add_u32 s2, s3, s2
	s_addc_u32 s3, s5, s4
	s_load_dwordx4 s[8:11], s[0:1], 0xd30
	s_load_dword s4, s[2:3], 0x820
	s_mov_b32 s7, 0
	s_waitcnt vmcnt(0)
	v_readfirstlane_b32 s2, v1
	s_lshl_b32 s5, s2, 3
	s_load_dwordx2 s[12:13], s[0:1], s5 offset:0x0
	s_load_dwordx2 s[2:3], s[0:1], s5 offset:0x370
	s_waitcnt lgkmcnt(0)
	s_ashr_i32 s5, s4, 31
	s_lshl_b64 s[14:15], s[4:5], 20
	s_add_u32 s18, s12, s14
	s_addc_u32 s19, s13, s15
	s_and_b32 s6, s18, 63
	s_lshl_b64 s[4:5], s[4:5], 16
	s_sub_u32 s16, s2, s4
	s_subb_u32 s17, s3, s5
	s_and_b32 s2, s2, 3
	s_mov_b32 s3, s7
	s_or_b64 s[2:3], s[6:7], s[2:3]
	s_cmp_eq_u64 s[2:3], 0
	s_cbranch_scc1 .LBB90_21
; %bb.1:
	v_cmp_lt_i64_e64 s[2:3], s[16:17], 1
	s_and_b64 vcc, exec, s[2:3]
	s_cbranch_vccnz .LBB90_20
; %bb.2:
	s_load_dword s2, s[0:1], 0xd4c
	v_mov_b64_e32 v[2:3], 0x10000
	v_cmp_lt_i64_e32 vcc, s[16:17], v[2:3]
	s_and_b64 s[4:5], vcc, exec
	s_cselect_b32 s21, s17, 0
	s_cselect_b32 s20, s16, 0x10000
	v_mov_b32_e32 v1, 0
	s_waitcnt lgkmcnt(0)
	s_and_b32 s2, s2, 0xffff
	v_cmp_lt_u64_e32 vcc, s[16:17], v[2:3]
	s_mov_b32 s3, 0
	s_and_b64 s[4:5], vcc, exec
	v_lshlrev_b32_e32 v18, 4, v0
	v_mov_b32_e32 v19, v1
	s_cselect_b32 s23, s17, 0
	s_cselect_b32 s22, s16, 0x10000
	s_lshl_b32 s4, s2, 1
	s_mul_i32 s6, s2, 3
	s_lshl_b32 s28, s2, 2
	s_lshl_b32 s29, s2, 6
	v_lshl_add_u64 v[20:21], v[0:1], 0, s[2:3]
	v_mad_u64_u32 v[22:23], s[24:25], s2, 48, v[18:19]
	s_lshl_b32 s2, s2, 5
	s_mov_b32 s5, s3
	s_mov_b32 s7, s3
	v_lshl_add_u64 v[28:29], s[2:3], 0, v[18:19]
	v_or_b32_e32 v22, 8, v22
	v_lshl_add_u64 v[24:25], s[6:7], 0, v[0:1]
	v_lshlrev_b32_e32 v26, 4, v20
	v_mov_b32_e32 v27, v1
	v_or_b32_e32 v28, 8, v28
	v_lshl_add_u64 v[30:31], s[4:5], 0, v[0:1]
	s_mov_b64 s[24:25], 0
	s_branch .LBB90_4
.LBB90_3:                               ;   in Loop: Header=BB90_4 Depth=1
	s_or_b64 exec, exec, s[2:3]
	s_add_u32 s24, s24, s28
	s_addc_u32 s25, s25, 0
	s_waitcnt vmcnt(0)
	v_mov_b64_e32 v[2:3], s[20:21]
	s_add_u32 s18, s18, s29
	v_cmp_lt_i64_e32 vcc, s[24:25], v[2:3]
	s_addc_u32 s19, s19, 0
	s_cbranch_vccz .LBB90_20
.LBB90_4:                               ; =>This Inner Loop Header: Depth=1
	v_lshl_add_u64 v[2:3], v[0:1], 0, s[24:25]
	v_cmp_gt_u64_e32 vcc, s[22:23], v[2:3]
	v_mov_b64_e32 v[4:5], 0
	v_lshl_add_u64 v[32:33], s[18:19], 0, v[18:19]
	v_mov_b64_e32 v[8:9], 0
	v_mov_b64_e32 v[6:7], 0
	s_and_saveexec_b64 s[2:3], vcc
	s_cbranch_execz .LBB90_6
; %bb.5:                                ;   in Loop: Header=BB90_4 Depth=1
	global_load_dwordx4 v[6:9], v[32:33], off
.LBB90_6:                               ;   in Loop: Header=BB90_4 Depth=1
	s_or_b64 exec, exec, s[2:3]
	v_lshl_add_u64 v[2:3], v[20:21], 0, s[24:25]
	v_cmp_gt_u64_e64 s[2:3], s[22:23], v[2:3]
	v_lshl_add_u64 v[34:35], s[18:19], 0, v[26:27]
	v_mov_b64_e32 v[2:3], 0
	s_and_saveexec_b64 s[4:5], s[2:3]
	s_cbranch_execz .LBB90_8
; %bb.7:                                ;   in Loop: Header=BB90_4 Depth=1
	global_load_dwordx4 v[2:5], v[34:35], off
.LBB90_8:                               ;   in Loop: Header=BB90_4 Depth=1
	s_or_b64 exec, exec, s[4:5]
	v_lshl_add_u64 v[10:11], v[30:31], 0, s[24:25]
	v_cmp_gt_u64_e64 s[4:5], s[22:23], v[10:11]
	v_mov_b64_e32 v[12:13], 0
	v_lshl_add_u64 v[36:37], s[18:19], 0, v[28:29]
	v_mov_b64_e32 v[16:17], 0
	v_mov_b64_e32 v[14:15], 0
	s_and_saveexec_b64 s[6:7], s[4:5]
	s_cbranch_execz .LBB90_10
; %bb.9:                                ;   in Loop: Header=BB90_4 Depth=1
	global_load_dwordx4 v[14:17], v[36:37], off offset:-8
.LBB90_10:                              ;   in Loop: Header=BB90_4 Depth=1
	s_or_b64 exec, exec, s[6:7]
	v_lshl_add_u64 v[10:11], v[24:25], 0, s[24:25]
	v_cmp_gt_u64_e64 s[6:7], s[22:23], v[10:11]
	v_lshl_add_u64 v[38:39], s[18:19], 0, v[22:23]
	v_mov_b64_e32 v[10:11], 0
	s_and_saveexec_b64 s[26:27], s[6:7]
	s_cbranch_execnz .LBB90_15
; %bb.11:                               ;   in Loop: Header=BB90_4 Depth=1
	s_or_b64 exec, exec, s[26:27]
	s_and_saveexec_b64 s[26:27], vcc
	s_cbranch_execnz .LBB90_16
.LBB90_12:                              ;   in Loop: Header=BB90_4 Depth=1
	s_or_b64 exec, exec, s[26:27]
	s_and_saveexec_b64 s[26:27], s[2:3]
	s_cbranch_execnz .LBB90_17
.LBB90_13:                              ;   in Loop: Header=BB90_4 Depth=1
	s_or_b64 exec, exec, s[26:27]
	s_and_saveexec_b64 s[2:3], s[4:5]
	s_cbranch_execnz .LBB90_18
.LBB90_14:                              ;   in Loop: Header=BB90_4 Depth=1
	s_or_b64 exec, exec, s[2:3]
	s_and_saveexec_b64 s[2:3], s[6:7]
	s_cbranch_execz .LBB90_3
	s_branch .LBB90_19
.LBB90_15:                              ;   in Loop: Header=BB90_4 Depth=1
	global_load_dwordx4 v[10:13], v[38:39], off offset:-8
	s_or_b64 exec, exec, s[26:27]
	s_and_saveexec_b64 s[26:27], vcc
	s_cbranch_execz .LBB90_12
.LBB90_16:                              ;   in Loop: Header=BB90_4 Depth=1
	s_waitcnt vmcnt(0)
	v_add_f64 v[6:7], v[6:7], -s[8:9]
	v_add_f64 v[8:9], v[8:9], -s[10:11]
	global_store_dwordx4 v[32:33], v[6:9], off
	s_or_b64 exec, exec, s[26:27]
	s_and_saveexec_b64 s[26:27], s[2:3]
	s_cbranch_execz .LBB90_13
.LBB90_17:                              ;   in Loop: Header=BB90_4 Depth=1
	s_waitcnt vmcnt(0)
	v_add_f64 v[2:3], v[2:3], -s[8:9]
	v_add_f64 v[4:5], v[4:5], -s[10:11]
	global_store_dwordx4 v[34:35], v[2:5], off
	s_or_b64 exec, exec, s[26:27]
	s_and_saveexec_b64 s[2:3], s[4:5]
	s_cbranch_execz .LBB90_14
.LBB90_18:                              ;   in Loop: Header=BB90_4 Depth=1
	s_waitcnt vmcnt(0)
	v_add_f64 v[2:3], v[14:15], -s[8:9]
	v_add_f64 v[4:5], v[16:17], -s[10:11]
	global_store_dwordx4 v[36:37], v[2:5], off offset:-8
	s_or_b64 exec, exec, s[2:3]
	s_and_saveexec_b64 s[2:3], s[6:7]
	s_cbranch_execz .LBB90_3
.LBB90_19:                              ;   in Loop: Header=BB90_4 Depth=1
	s_waitcnt vmcnt(0)
	v_add_f64 v[2:3], v[10:11], -s[8:9]
	v_add_f64 v[4:5], v[12:13], -s[10:11]
	global_store_dwordx4 v[38:39], v[2:5], off offset:-8
	s_branch .LBB90_3
.LBB90_20:
	s_cbranch_execz .LBB90_22
	s_branch .LBB90_25
.LBB90_21:
.LBB90_22:
	v_mov_b64_e32 v[4:5], 0x10000
	v_cmp_lt_i64_e32 vcc, s[16:17], v[4:5]
	s_and_b64 s[4:5], vcc, exec
	v_mov_b32_e32 v3, 0
	s_cselect_b32 s5, s17, 0
	s_cselect_b32 s4, s16, 0x10000
	v_lshlrev_b32_e32 v2, 2, v0
	s_mov_b32 s3, 0
	v_cmp_gt_i64_e32 vcc, s[4:5], v[2:3]
	s_and_saveexec_b64 s[6:7], vcc
	s_cbranch_execz .LBB90_25
; %bb.23:
	s_load_dword s0, s[0:1], 0xd4c
	v_lshlrev_b32_e32 v2, 6, v0
	v_mov_b32_e32 v1, v3
	s_mov_b32 s1, s3
	s_waitcnt lgkmcnt(0)
	s_and_b32 s2, s0, 0xffff
	s_add_u32 s6, s12, s14
	s_addc_u32 s7, s13, s15
	s_lshl_b32 s0, s2, 6
	v_lshl_add_u64 v[2:3], s[6:7], 0, v[2:3]
	s_mov_b64 s[6:7], 0
.LBB90_24:                              ; =>This Inner Loop Header: Depth=1
	global_load_dwordx4 v[4:7], v[2:3], off
	global_load_dwordx4 v[8:11], v[2:3], off offset:16
	global_load_dwordx4 v[12:15], v[2:3], off offset:32
	;; [unrolled: 1-line block ×3, first 2 shown]
	v_lshl_add_u64 v[0:1], v[0:1], 0, s[2:3]
	v_lshlrev_b64 v[20:21], 2, v[0:1]
	v_cmp_le_i64_e32 vcc, s[4:5], v[20:21]
	s_or_b64 s[6:7], vcc, s[6:7]
	s_waitcnt vmcnt(3)
	v_add_f64 v[4:5], v[4:5], -s[8:9]
	v_add_f64 v[6:7], v[6:7], -s[10:11]
	s_waitcnt vmcnt(2)
	v_add_f64 v[8:9], v[8:9], -s[8:9]
	v_add_f64 v[10:11], v[10:11], -s[10:11]
	;; [unrolled: 3-line block ×4, first 2 shown]
	global_store_dwordx4 v[2:3], v[4:7], off
	global_store_dwordx4 v[2:3], v[8:11], off offset:16
	global_store_dwordx4 v[2:3], v[12:15], off offset:32
	;; [unrolled: 1-line block ×3, first 2 shown]
	v_lshl_add_u64 v[2:3], v[2:3], 0, s[0:1]
	s_andn2_b64 exec, exec, s[6:7]
	s_cbranch_execnz .LBB90_24
.LBB90_25:
	s_endpgm
	.section	.rodata,"a",@progbits
	.p2align	6, 0x0
	.amdhsa_kernel _ZN2at6native12_GLOBAL__N_125multi_tensor_apply_kernelINS1_18TensorListMetadataILi1EEENS1_21BinaryOpScalarFunctorIN3c107complexIdEELi1ELi1ELi0EEEJSt5minusIS8_ES8_EEEvT_T0_DpT1_
		.amdhsa_group_segment_fixed_size 0
		.amdhsa_private_segment_fixed_size 0
		.amdhsa_kernarg_size 3648
		.amdhsa_user_sgpr_count 2
		.amdhsa_user_sgpr_dispatch_ptr 0
		.amdhsa_user_sgpr_queue_ptr 0
		.amdhsa_user_sgpr_kernarg_segment_ptr 1
		.amdhsa_user_sgpr_dispatch_id 0
		.amdhsa_user_sgpr_kernarg_preload_length 0
		.amdhsa_user_sgpr_kernarg_preload_offset 0
		.amdhsa_user_sgpr_private_segment_size 0
		.amdhsa_uses_dynamic_stack 0
		.amdhsa_enable_private_segment 0
		.amdhsa_system_sgpr_workgroup_id_x 1
		.amdhsa_system_sgpr_workgroup_id_y 0
		.amdhsa_system_sgpr_workgroup_id_z 0
		.amdhsa_system_sgpr_workgroup_info 0
		.amdhsa_system_vgpr_workitem_id 0
		.amdhsa_next_free_vgpr 40
		.amdhsa_next_free_sgpr 30
		.amdhsa_accum_offset 40
		.amdhsa_reserve_vcc 1
		.amdhsa_float_round_mode_32 0
		.amdhsa_float_round_mode_16_64 0
		.amdhsa_float_denorm_mode_32 3
		.amdhsa_float_denorm_mode_16_64 3
		.amdhsa_dx10_clamp 1
		.amdhsa_ieee_mode 1
		.amdhsa_fp16_overflow 0
		.amdhsa_tg_split 0
		.amdhsa_exception_fp_ieee_invalid_op 0
		.amdhsa_exception_fp_denorm_src 0
		.amdhsa_exception_fp_ieee_div_zero 0
		.amdhsa_exception_fp_ieee_overflow 0
		.amdhsa_exception_fp_ieee_underflow 0
		.amdhsa_exception_fp_ieee_inexact 0
		.amdhsa_exception_int_div_zero 0
	.end_amdhsa_kernel
	.section	.text._ZN2at6native12_GLOBAL__N_125multi_tensor_apply_kernelINS1_18TensorListMetadataILi1EEENS1_21BinaryOpScalarFunctorIN3c107complexIdEELi1ELi1ELi0EEEJSt5minusIS8_ES8_EEEvT_T0_DpT1_,"axG",@progbits,_ZN2at6native12_GLOBAL__N_125multi_tensor_apply_kernelINS1_18TensorListMetadataILi1EEENS1_21BinaryOpScalarFunctorIN3c107complexIdEELi1ELi1ELi0EEEJSt5minusIS8_ES8_EEEvT_T0_DpT1_,comdat
.Lfunc_end90:
	.size	_ZN2at6native12_GLOBAL__N_125multi_tensor_apply_kernelINS1_18TensorListMetadataILi1EEENS1_21BinaryOpScalarFunctorIN3c107complexIdEELi1ELi1ELi0EEEJSt5minusIS8_ES8_EEEvT_T0_DpT1_, .Lfunc_end90-_ZN2at6native12_GLOBAL__N_125multi_tensor_apply_kernelINS1_18TensorListMetadataILi1EEENS1_21BinaryOpScalarFunctorIN3c107complexIdEELi1ELi1ELi0EEEJSt5minusIS8_ES8_EEEvT_T0_DpT1_
                                        ; -- End function
	.set _ZN2at6native12_GLOBAL__N_125multi_tensor_apply_kernelINS1_18TensorListMetadataILi1EEENS1_21BinaryOpScalarFunctorIN3c107complexIdEELi1ELi1ELi0EEEJSt5minusIS8_ES8_EEEvT_T0_DpT1_.num_vgpr, 40
	.set _ZN2at6native12_GLOBAL__N_125multi_tensor_apply_kernelINS1_18TensorListMetadataILi1EEENS1_21BinaryOpScalarFunctorIN3c107complexIdEELi1ELi1ELi0EEEJSt5minusIS8_ES8_EEEvT_T0_DpT1_.num_agpr, 0
	.set _ZN2at6native12_GLOBAL__N_125multi_tensor_apply_kernelINS1_18TensorListMetadataILi1EEENS1_21BinaryOpScalarFunctorIN3c107complexIdEELi1ELi1ELi0EEEJSt5minusIS8_ES8_EEEvT_T0_DpT1_.numbered_sgpr, 30
	.set _ZN2at6native12_GLOBAL__N_125multi_tensor_apply_kernelINS1_18TensorListMetadataILi1EEENS1_21BinaryOpScalarFunctorIN3c107complexIdEELi1ELi1ELi0EEEJSt5minusIS8_ES8_EEEvT_T0_DpT1_.num_named_barrier, 0
	.set _ZN2at6native12_GLOBAL__N_125multi_tensor_apply_kernelINS1_18TensorListMetadataILi1EEENS1_21BinaryOpScalarFunctorIN3c107complexIdEELi1ELi1ELi0EEEJSt5minusIS8_ES8_EEEvT_T0_DpT1_.private_seg_size, 0
	.set _ZN2at6native12_GLOBAL__N_125multi_tensor_apply_kernelINS1_18TensorListMetadataILi1EEENS1_21BinaryOpScalarFunctorIN3c107complexIdEELi1ELi1ELi0EEEJSt5minusIS8_ES8_EEEvT_T0_DpT1_.uses_vcc, 1
	.set _ZN2at6native12_GLOBAL__N_125multi_tensor_apply_kernelINS1_18TensorListMetadataILi1EEENS1_21BinaryOpScalarFunctorIN3c107complexIdEELi1ELi1ELi0EEEJSt5minusIS8_ES8_EEEvT_T0_DpT1_.uses_flat_scratch, 0
	.set _ZN2at6native12_GLOBAL__N_125multi_tensor_apply_kernelINS1_18TensorListMetadataILi1EEENS1_21BinaryOpScalarFunctorIN3c107complexIdEELi1ELi1ELi0EEEJSt5minusIS8_ES8_EEEvT_T0_DpT1_.has_dyn_sized_stack, 0
	.set _ZN2at6native12_GLOBAL__N_125multi_tensor_apply_kernelINS1_18TensorListMetadataILi1EEENS1_21BinaryOpScalarFunctorIN3c107complexIdEELi1ELi1ELi0EEEJSt5minusIS8_ES8_EEEvT_T0_DpT1_.has_recursion, 0
	.set _ZN2at6native12_GLOBAL__N_125multi_tensor_apply_kernelINS1_18TensorListMetadataILi1EEENS1_21BinaryOpScalarFunctorIN3c107complexIdEELi1ELi1ELi0EEEJSt5minusIS8_ES8_EEEvT_T0_DpT1_.has_indirect_call, 0
	.section	.AMDGPU.csdata,"",@progbits
; Kernel info:
; codeLenInByte = 1088
; TotalNumSgprs: 36
; NumVgprs: 40
; NumAgprs: 0
; TotalNumVgprs: 40
; ScratchSize: 0
; MemoryBound: 1
; FloatMode: 240
; IeeeMode: 1
; LDSByteSize: 0 bytes/workgroup (compile time only)
; SGPRBlocks: 4
; VGPRBlocks: 4
; NumSGPRsForWavesPerEU: 36
; NumVGPRsForWavesPerEU: 40
; AccumOffset: 40
; Occupancy: 8
; WaveLimiterHint : 0
; COMPUTE_PGM_RSRC2:SCRATCH_EN: 0
; COMPUTE_PGM_RSRC2:USER_SGPR: 2
; COMPUTE_PGM_RSRC2:TRAP_HANDLER: 0
; COMPUTE_PGM_RSRC2:TGID_X_EN: 1
; COMPUTE_PGM_RSRC2:TGID_Y_EN: 0
; COMPUTE_PGM_RSRC2:TGID_Z_EN: 0
; COMPUTE_PGM_RSRC2:TIDIG_COMP_CNT: 0
; COMPUTE_PGM_RSRC3_GFX90A:ACCUM_OFFSET: 9
; COMPUTE_PGM_RSRC3_GFX90A:TG_SPLIT: 0
	.section	.text._ZN2at6native12_GLOBAL__N_125multi_tensor_apply_kernelINS1_18TensorListMetadataILi1EEENS1_21BinaryOpScalarFunctorIN3c107complexIfEELi1ELi1ELi0EEEJSt5minusIS8_ES8_EEEvT_T0_DpT1_,"axG",@progbits,_ZN2at6native12_GLOBAL__N_125multi_tensor_apply_kernelINS1_18TensorListMetadataILi1EEENS1_21BinaryOpScalarFunctorIN3c107complexIfEELi1ELi1ELi0EEEJSt5minusIS8_ES8_EEEvT_T0_DpT1_,comdat
	.globl	_ZN2at6native12_GLOBAL__N_125multi_tensor_apply_kernelINS1_18TensorListMetadataILi1EEENS1_21BinaryOpScalarFunctorIN3c107complexIfEELi1ELi1ELi0EEEJSt5minusIS8_ES8_EEEvT_T0_DpT1_ ; -- Begin function _ZN2at6native12_GLOBAL__N_125multi_tensor_apply_kernelINS1_18TensorListMetadataILi1EEENS1_21BinaryOpScalarFunctorIN3c107complexIfEELi1ELi1ELi0EEEJSt5minusIS8_ES8_EEEvT_T0_DpT1_
	.p2align	8
	.type	_ZN2at6native12_GLOBAL__N_125multi_tensor_apply_kernelINS1_18TensorListMetadataILi1EEENS1_21BinaryOpScalarFunctorIN3c107complexIfEELi1ELi1ELi0EEEJSt5minusIS8_ES8_EEEvT_T0_DpT1_,@function
_ZN2at6native12_GLOBAL__N_125multi_tensor_apply_kernelINS1_18TensorListMetadataILi1EEENS1_21BinaryOpScalarFunctorIN3c107complexIfEELi1ELi1ELi0EEEJSt5minusIS8_ES8_EEEvT_T0_DpT1_: ; @_ZN2at6native12_GLOBAL__N_125multi_tensor_apply_kernelINS1_18TensorListMetadataILi1EEENS1_21BinaryOpScalarFunctorIN3c107complexIfEELi1ELi1ELi0EEEJSt5minusIS8_ES8_EEEvT_T0_DpT1_
; %bb.0:
	v_mov_b32_e32 v1, s2
	global_load_ubyte v1, v1, s[0:1] offset:1760
	s_add_u32 s3, s0, s2
	s_mul_hi_u32 s4, s2, 3
	s_mul_i32 s2, s2, 3
	s_addc_u32 s5, s1, 0
	s_add_u32 s2, s3, s2
	s_addc_u32 s3, s5, s4
	s_load_dword s2, s[2:3], 0x820
	s_mov_b32 s7, 0
	s_waitcnt vmcnt(0)
	v_readfirstlane_b32 s3, v1
	s_lshl_b32 s3, s3, 3
	s_load_dwordx2 s[8:9], s[0:1], 0xd30
	s_load_dwordx2 s[10:11], s[0:1], s3 offset:0x0
	s_load_dwordx2 s[4:5], s[0:1], s3 offset:0x370
	s_waitcnt lgkmcnt(0)
	s_ashr_i32 s3, s2, 31
	s_lshl_b64 s[12:13], s[2:3], 19
	s_add_u32 s16, s10, s12
	s_addc_u32 s17, s11, s13
	s_and_b32 s6, s16, 31
	s_lshl_b64 s[2:3], s[2:3], 16
	s_sub_u32 s14, s4, s2
	s_subb_u32 s15, s5, s3
	s_and_b32 s2, s4, 3
	s_mov_b32 s3, s7
	s_or_b64 s[2:3], s[6:7], s[2:3]
	s_cmp_eq_u64 s[2:3], 0
	s_cbranch_scc1 .LBB91_20
; %bb.1:
	v_cmp_lt_i64_e64 s[2:3], s[14:15], 1
	s_and_b64 vcc, exec, s[2:3]
	s_cbranch_vccnz .LBB91_18
; %bb.2:
	s_mov_b64 s[2:3], src_private_base
	s_load_dword s2, s[0:1], 0xd44
	v_mov_b64_e32 v[2:3], 0x10000
	v_cmp_lt_i64_e32 vcc, s[14:15], v[2:3]
	s_and_b64 s[6:7], vcc, exec
	s_mov_b32 s5, 0
	s_cselect_b32 s7, s15, 0
	s_cselect_b32 s6, s14, 0x10000
	s_waitcnt lgkmcnt(0)
	s_and_b32 s4, s2, 0xffff
	v_cmp_lt_u64_e32 vcc, s[14:15], v[2:3]
	v_mov_b32_e32 v1, 0
	s_and_b64 s[18:19], vcc, exec
	s_mul_i32 s22, s4, 3
	s_mov_b32 s23, s5
	s_cselect_b32 s19, s15, 0
	s_cselect_b32 s18, s14, 0x10000
	s_lshl_b32 s20, s4, 1
	s_mov_b32 s21, s5
	v_lshlrev_b32_e32 v2, 3, v0
	v_mov_b32_e32 v3, v1
	v_lshl_add_u64 v[6:7], s[22:23], 0, v[0:1]
	s_lshl_b32 s22, s4, 4
	v_lshl_add_u64 v[12:13], v[0:1], 0, s[4:5]
	s_lshl_b32 s24, s4, 2
	s_lshl_b32 s25, s4, 5
	v_mad_u64_u32 v[4:5], s[26:27], s4, 24, v[2:3]
	v_lshl_add_u64 v[8:9], s[22:23], 0, v[2:3]
	v_lshl_add_u64 v[10:11], s[20:21], 0, v[0:1]
	v_lshlrev_b32_e32 v14, 3, v12
	v_mov_b32_e32 v15, v1
	s_mov_b64 s[20:21], 0
	v_mov_b32_e32 v36, v1
	v_mov_b32_e32 v37, v1
	;; [unrolled: 1-line block ×4, first 2 shown]
	v_mov_b64_e32 v[16:17], s[6:7]
	s_branch .LBB91_4
.LBB91_3:                               ;   in Loop: Header=BB91_4 Depth=1
	s_or_b64 exec, exec, s[2:3]
	s_add_u32 s20, s20, s24
	s_addc_u32 s21, s21, 0
	s_add_u32 s16, s16, s25
	v_cmp_ge_i64_e32 vcc, s[20:21], v[16:17]
	s_addc_u32 s17, s17, 0
	s_cbranch_vccnz .LBB91_18
.LBB91_4:                               ; =>This Inner Loop Header: Depth=1
	v_lshl_add_u64 v[18:19], v[0:1], 0, s[20:21]
	v_cmp_gt_u64_e32 vcc, s[18:19], v[18:19]
	v_lshl_add_u64 v[18:19], s[16:17], 0, v[2:3]
	v_mov_b32_e32 v20, 0
	v_mov_b32_e32 v21, 0
	s_and_saveexec_b64 s[2:3], vcc
	s_cbranch_execz .LBB91_6
; %bb.5:                                ;   in Loop: Header=BB91_4 Depth=1
	global_load_dwordx2 v[20:21], v[18:19], off
.LBB91_6:                               ;   in Loop: Header=BB91_4 Depth=1
	s_or_b64 exec, exec, s[2:3]
	v_lshl_add_u64 v[22:23], v[12:13], 0, s[20:21]
	v_cmp_gt_u64_e64 s[2:3], s[18:19], v[22:23]
	v_mov_b32_e32 v24, 0
	v_lshl_add_u64 v[22:23], s[16:17], 0, v[14:15]
	v_mov_b32_e32 v25, 0
	s_and_saveexec_b64 s[4:5], s[2:3]
	s_cbranch_execz .LBB91_8
; %bb.7:                                ;   in Loop: Header=BB91_4 Depth=1
	global_load_dwordx2 v[24:25], v[22:23], off
.LBB91_8:                               ;   in Loop: Header=BB91_4 Depth=1
	s_or_b64 exec, exec, s[4:5]
	v_lshl_add_u64 v[26:27], v[10:11], 0, s[20:21]
	v_cmp_gt_u64_e64 s[4:5], s[18:19], v[26:27]
	v_mov_b64_e32 v[28:29], 0
	v_lshl_add_u64 v[26:27], s[16:17], 0, v[8:9]
	s_and_saveexec_b64 s[6:7], s[4:5]
	s_cbranch_execz .LBB91_10
; %bb.9:                                ;   in Loop: Header=BB91_4 Depth=1
	global_load_dwordx2 v[28:29], v[26:27], off
.LBB91_10:                              ;   in Loop: Header=BB91_4 Depth=1
	s_or_b64 exec, exec, s[6:7]
	v_lshl_add_u64 v[32:33], v[6:7], 0, s[20:21]
	v_lshl_add_u64 v[30:31], s[16:17], 0, v[4:5]
	v_cmp_gt_u64_e64 s[6:7], s[18:19], v[32:33]
	scratch_store_dwordx2 off, v[36:37], off
	s_nop 0
	v_cndmask_b32_e64 v33, v34, v31, s[6:7]
	v_cndmask_b32_e64 v32, v35, v30, s[6:7]
	flat_load_dwordx2 v[32:33], v[32:33]
	s_waitcnt vmcnt(0) lgkmcnt(0)
	v_pk_add_f32 v[32:33], v[32:33], s[8:9] neg_lo:[0,1] neg_hi:[0,1]
	scratch_store_dwordx2 off, v[32:33], off
	s_and_saveexec_b64 s[22:23], vcc
	s_cbranch_execnz .LBB91_14
; %bb.11:                               ;   in Loop: Header=BB91_4 Depth=1
	s_or_b64 exec, exec, s[22:23]
	s_and_saveexec_b64 s[22:23], s[2:3]
	s_cbranch_execnz .LBB91_15
.LBB91_12:                              ;   in Loop: Header=BB91_4 Depth=1
	s_or_b64 exec, exec, s[22:23]
	s_and_saveexec_b64 s[2:3], s[4:5]
	s_cbranch_execnz .LBB91_16
.LBB91_13:                              ;   in Loop: Header=BB91_4 Depth=1
	s_or_b64 exec, exec, s[2:3]
	s_and_saveexec_b64 s[2:3], s[6:7]
	s_cbranch_execz .LBB91_3
	s_branch .LBB91_17
.LBB91_14:                              ;   in Loop: Header=BB91_4 Depth=1
	v_pk_add_f32 v[20:21], v[20:21], s[8:9] neg_lo:[0,1] neg_hi:[0,1]
	global_store_dwordx2 v[18:19], v[20:21], off
	s_or_b64 exec, exec, s[22:23]
	s_and_saveexec_b64 s[22:23], s[2:3]
	s_cbranch_execz .LBB91_12
.LBB91_15:                              ;   in Loop: Header=BB91_4 Depth=1
	v_pk_add_f32 v[18:19], v[24:25], s[8:9] neg_lo:[0,1] neg_hi:[0,1]
	global_store_dwordx2 v[22:23], v[18:19], off
	s_or_b64 exec, exec, s[22:23]
	s_and_saveexec_b64 s[2:3], s[4:5]
	s_cbranch_execz .LBB91_13
.LBB91_16:                              ;   in Loop: Header=BB91_4 Depth=1
	v_pk_add_f32 v[18:19], v[28:29], s[8:9] neg_lo:[0,1] neg_hi:[0,1]
	global_store_dwordx2 v[26:27], v[18:19], off
	s_or_b64 exec, exec, s[2:3]
	s_and_saveexec_b64 s[2:3], s[6:7]
	s_cbranch_execz .LBB91_3
.LBB91_17:                              ;   in Loop: Header=BB91_4 Depth=1
	global_store_dwordx2 v[30:31], v[32:33], off
	s_branch .LBB91_3
.LBB91_18:
	s_cbranch_execz .LBB91_21
.LBB91_19:
	s_endpgm
.LBB91_20:
.LBB91_21:
	v_mov_b64_e32 v[4:5], 0x10000
	v_cmp_lt_i64_e32 vcc, s[14:15], v[4:5]
	s_and_b64 s[4:5], vcc, exec
	v_mov_b32_e32 v3, 0
	s_cselect_b32 s5, s15, 0
	s_cselect_b32 s4, s14, 0x10000
	v_lshlrev_b32_e32 v2, 2, v0
	s_mov_b32 s3, 0
	v_cmp_gt_i64_e32 vcc, s[4:5], v[2:3]
	s_and_saveexec_b64 s[6:7], vcc
	s_cbranch_execz .LBB91_19
; %bb.22:
	s_load_dword s0, s[0:1], 0xd44
	v_lshlrev_b32_e32 v2, 5, v0
	v_mov_b32_e32 v1, v3
	s_mov_b32 s1, s3
	s_waitcnt lgkmcnt(0)
	s_and_b32 s2, s0, 0xffff
	s_add_u32 s6, s10, s12
	s_addc_u32 s7, s11, s13
	v_lshl_add_u64 v[2:3], s[6:7], 0, v[2:3]
	s_lshl_b32 s0, s2, 5
	v_lshl_add_u64 v[6:7], v[2:3], 0, 16
	s_mov_b64 s[6:7], 0
.LBB91_23:                              ; =>This Inner Loop Header: Depth=1
	global_load_dwordx4 v[2:5], v[6:7], off
	global_load_dwordx4 v[8:11], v[6:7], off offset:-16
	v_lshl_add_u64 v[0:1], v[0:1], 0, s[2:3]
	v_lshlrev_b64 v[12:13], 2, v[0:1]
	v_cmp_le_i64_e32 vcc, s[4:5], v[12:13]
	s_or_b64 s[6:7], vcc, s[6:7]
	s_waitcnt vmcnt(1)
	v_pk_add_f32 v[4:5], v[4:5], s[8:9] neg_lo:[0,1] neg_hi:[0,1]
	s_waitcnt vmcnt(0)
	v_pk_add_f32 v[8:9], v[8:9], s[8:9] neg_lo:[0,1] neg_hi:[0,1]
	v_pk_add_f32 v[10:11], v[10:11], s[8:9] neg_lo:[0,1] neg_hi:[0,1]
	;; [unrolled: 1-line block ×3, first 2 shown]
	global_store_dwordx4 v[6:7], v[8:11], off offset:-16
	global_store_dwordx4 v[6:7], v[2:5], off
	v_lshl_add_u64 v[6:7], v[6:7], 0, s[0:1]
	s_andn2_b64 exec, exec, s[6:7]
	s_cbranch_execnz .LBB91_23
; %bb.24:
	s_or_b64 exec, exec, s[6:7]
	scratch_store_dwordx2 off, v[4:5], off
	s_endpgm
	.section	.rodata,"a",@progbits
	.p2align	6, 0x0
	.amdhsa_kernel _ZN2at6native12_GLOBAL__N_125multi_tensor_apply_kernelINS1_18TensorListMetadataILi1EEENS1_21BinaryOpScalarFunctorIN3c107complexIfEELi1ELi1ELi0EEEJSt5minusIS8_ES8_EEEvT_T0_DpT1_
		.amdhsa_group_segment_fixed_size 0
		.amdhsa_private_segment_fixed_size 16
		.amdhsa_kernarg_size 3640
		.amdhsa_user_sgpr_count 2
		.amdhsa_user_sgpr_dispatch_ptr 0
		.amdhsa_user_sgpr_queue_ptr 0
		.amdhsa_user_sgpr_kernarg_segment_ptr 1
		.amdhsa_user_sgpr_dispatch_id 0
		.amdhsa_user_sgpr_kernarg_preload_length 0
		.amdhsa_user_sgpr_kernarg_preload_offset 0
		.amdhsa_user_sgpr_private_segment_size 0
		.amdhsa_uses_dynamic_stack 0
		.amdhsa_enable_private_segment 1
		.amdhsa_system_sgpr_workgroup_id_x 1
		.amdhsa_system_sgpr_workgroup_id_y 0
		.amdhsa_system_sgpr_workgroup_id_z 0
		.amdhsa_system_sgpr_workgroup_info 0
		.amdhsa_system_vgpr_workitem_id 0
		.amdhsa_next_free_vgpr 38
		.amdhsa_next_free_sgpr 28
		.amdhsa_accum_offset 40
		.amdhsa_reserve_vcc 1
		.amdhsa_float_round_mode_32 0
		.amdhsa_float_round_mode_16_64 0
		.amdhsa_float_denorm_mode_32 3
		.amdhsa_float_denorm_mode_16_64 3
		.amdhsa_dx10_clamp 1
		.amdhsa_ieee_mode 1
		.amdhsa_fp16_overflow 0
		.amdhsa_tg_split 0
		.amdhsa_exception_fp_ieee_invalid_op 0
		.amdhsa_exception_fp_denorm_src 0
		.amdhsa_exception_fp_ieee_div_zero 0
		.amdhsa_exception_fp_ieee_overflow 0
		.amdhsa_exception_fp_ieee_underflow 0
		.amdhsa_exception_fp_ieee_inexact 0
		.amdhsa_exception_int_div_zero 0
	.end_amdhsa_kernel
	.section	.text._ZN2at6native12_GLOBAL__N_125multi_tensor_apply_kernelINS1_18TensorListMetadataILi1EEENS1_21BinaryOpScalarFunctorIN3c107complexIfEELi1ELi1ELi0EEEJSt5minusIS8_ES8_EEEvT_T0_DpT1_,"axG",@progbits,_ZN2at6native12_GLOBAL__N_125multi_tensor_apply_kernelINS1_18TensorListMetadataILi1EEENS1_21BinaryOpScalarFunctorIN3c107complexIfEELi1ELi1ELi0EEEJSt5minusIS8_ES8_EEEvT_T0_DpT1_,comdat
.Lfunc_end91:
	.size	_ZN2at6native12_GLOBAL__N_125multi_tensor_apply_kernelINS1_18TensorListMetadataILi1EEENS1_21BinaryOpScalarFunctorIN3c107complexIfEELi1ELi1ELi0EEEJSt5minusIS8_ES8_EEEvT_T0_DpT1_, .Lfunc_end91-_ZN2at6native12_GLOBAL__N_125multi_tensor_apply_kernelINS1_18TensorListMetadataILi1EEENS1_21BinaryOpScalarFunctorIN3c107complexIfEELi1ELi1ELi0EEEJSt5minusIS8_ES8_EEEvT_T0_DpT1_
                                        ; -- End function
	.set _ZN2at6native12_GLOBAL__N_125multi_tensor_apply_kernelINS1_18TensorListMetadataILi1EEENS1_21BinaryOpScalarFunctorIN3c107complexIfEELi1ELi1ELi0EEEJSt5minusIS8_ES8_EEEvT_T0_DpT1_.num_vgpr, 38
	.set _ZN2at6native12_GLOBAL__N_125multi_tensor_apply_kernelINS1_18TensorListMetadataILi1EEENS1_21BinaryOpScalarFunctorIN3c107complexIfEELi1ELi1ELi0EEEJSt5minusIS8_ES8_EEEvT_T0_DpT1_.num_agpr, 0
	.set _ZN2at6native12_GLOBAL__N_125multi_tensor_apply_kernelINS1_18TensorListMetadataILi1EEENS1_21BinaryOpScalarFunctorIN3c107complexIfEELi1ELi1ELi0EEEJSt5minusIS8_ES8_EEEvT_T0_DpT1_.numbered_sgpr, 28
	.set _ZN2at6native12_GLOBAL__N_125multi_tensor_apply_kernelINS1_18TensorListMetadataILi1EEENS1_21BinaryOpScalarFunctorIN3c107complexIfEELi1ELi1ELi0EEEJSt5minusIS8_ES8_EEEvT_T0_DpT1_.num_named_barrier, 0
	.set _ZN2at6native12_GLOBAL__N_125multi_tensor_apply_kernelINS1_18TensorListMetadataILi1EEENS1_21BinaryOpScalarFunctorIN3c107complexIfEELi1ELi1ELi0EEEJSt5minusIS8_ES8_EEEvT_T0_DpT1_.private_seg_size, 16
	.set _ZN2at6native12_GLOBAL__N_125multi_tensor_apply_kernelINS1_18TensorListMetadataILi1EEENS1_21BinaryOpScalarFunctorIN3c107complexIfEELi1ELi1ELi0EEEJSt5minusIS8_ES8_EEEvT_T0_DpT1_.uses_vcc, 1
	.set _ZN2at6native12_GLOBAL__N_125multi_tensor_apply_kernelINS1_18TensorListMetadataILi1EEENS1_21BinaryOpScalarFunctorIN3c107complexIfEELi1ELi1ELi0EEEJSt5minusIS8_ES8_EEEvT_T0_DpT1_.uses_flat_scratch, 0
	.set _ZN2at6native12_GLOBAL__N_125multi_tensor_apply_kernelINS1_18TensorListMetadataILi1EEENS1_21BinaryOpScalarFunctorIN3c107complexIfEELi1ELi1ELi0EEEJSt5minusIS8_ES8_EEEvT_T0_DpT1_.has_dyn_sized_stack, 0
	.set _ZN2at6native12_GLOBAL__N_125multi_tensor_apply_kernelINS1_18TensorListMetadataILi1EEENS1_21BinaryOpScalarFunctorIN3c107complexIfEELi1ELi1ELi0EEEJSt5minusIS8_ES8_EEEvT_T0_DpT1_.has_recursion, 0
	.set _ZN2at6native12_GLOBAL__N_125multi_tensor_apply_kernelINS1_18TensorListMetadataILi1EEENS1_21BinaryOpScalarFunctorIN3c107complexIfEELi1ELi1ELi0EEEJSt5minusIS8_ES8_EEEvT_T0_DpT1_.has_indirect_call, 0
	.section	.AMDGPU.csdata,"",@progbits
; Kernel info:
; codeLenInByte = 1000
; TotalNumSgprs: 34
; NumVgprs: 38
; NumAgprs: 0
; TotalNumVgprs: 38
; ScratchSize: 16
; MemoryBound: 0
; FloatMode: 240
; IeeeMode: 1
; LDSByteSize: 0 bytes/workgroup (compile time only)
; SGPRBlocks: 4
; VGPRBlocks: 4
; NumSGPRsForWavesPerEU: 34
; NumVGPRsForWavesPerEU: 38
; AccumOffset: 40
; Occupancy: 8
; WaveLimiterHint : 0
; COMPUTE_PGM_RSRC2:SCRATCH_EN: 1
; COMPUTE_PGM_RSRC2:USER_SGPR: 2
; COMPUTE_PGM_RSRC2:TRAP_HANDLER: 0
; COMPUTE_PGM_RSRC2:TGID_X_EN: 1
; COMPUTE_PGM_RSRC2:TGID_Y_EN: 0
; COMPUTE_PGM_RSRC2:TGID_Z_EN: 0
; COMPUTE_PGM_RSRC2:TIDIG_COMP_CNT: 0
; COMPUTE_PGM_RSRC3_GFX90A:ACCUM_OFFSET: 9
; COMPUTE_PGM_RSRC3_GFX90A:TG_SPLIT: 0
	.section	.text._ZN2at6native12_GLOBAL__N_125multi_tensor_apply_kernelINS1_18TensorListMetadataILi1EEENS1_21BinaryOpScalarFunctorIbLi1ELi1ELi0EEEJSt5minusIbEbEEEvT_T0_DpT1_,"axG",@progbits,_ZN2at6native12_GLOBAL__N_125multi_tensor_apply_kernelINS1_18TensorListMetadataILi1EEENS1_21BinaryOpScalarFunctorIbLi1ELi1ELi0EEEJSt5minusIbEbEEEvT_T0_DpT1_,comdat
	.globl	_ZN2at6native12_GLOBAL__N_125multi_tensor_apply_kernelINS1_18TensorListMetadataILi1EEENS1_21BinaryOpScalarFunctorIbLi1ELi1ELi0EEEJSt5minusIbEbEEEvT_T0_DpT1_ ; -- Begin function _ZN2at6native12_GLOBAL__N_125multi_tensor_apply_kernelINS1_18TensorListMetadataILi1EEENS1_21BinaryOpScalarFunctorIbLi1ELi1ELi0EEEJSt5minusIbEbEEEvT_T0_DpT1_
	.p2align	8
	.type	_ZN2at6native12_GLOBAL__N_125multi_tensor_apply_kernelINS1_18TensorListMetadataILi1EEENS1_21BinaryOpScalarFunctorIbLi1ELi1ELi0EEEJSt5minusIbEbEEEvT_T0_DpT1_,@function
_ZN2at6native12_GLOBAL__N_125multi_tensor_apply_kernelINS1_18TensorListMetadataILi1EEENS1_21BinaryOpScalarFunctorIbLi1ELi1ELi0EEEJSt5minusIbEbEEEvT_T0_DpT1_: ; @_ZN2at6native12_GLOBAL__N_125multi_tensor_apply_kernelINS1_18TensorListMetadataILi1EEENS1_21BinaryOpScalarFunctorIbLi1ELi1ELi0EEEJSt5minusIbEbEEEvT_T0_DpT1_
; %bb.0:
	v_mov_b32_e32 v1, s2
	global_load_ubyte v1, v1, s[0:1] offset:1760
	s_load_dword s6, s[0:1], 0xd28
	s_mul_hi_u32 s3, s2, 3
	s_mul_i32 s4, s2, 3
	s_waitcnt lgkmcnt(0)
	s_bitcmp1_b32 s6, 16
	s_cselect_b64 s[16:17], -1, 0
	s_add_u32 s2, s0, s2
	s_addc_u32 s5, s1, 0
	s_add_u32 s2, s2, s4
	s_addc_u32 s3, s5, s3
	s_load_dword s2, s[2:3], 0x820
	s_waitcnt vmcnt(0)
	v_readfirstlane_b32 s3, v1
	s_lshl_b32 s7, s3, 3
	s_load_dwordx2 s[4:5], s[0:1], s7 offset:0x370
	s_load_dwordx2 s[10:11], s[0:1], s7 offset:0x0
	s_waitcnt lgkmcnt(0)
	s_ashr_i32 s3, s2, 31
	s_lshl_b64 s[12:13], s[2:3], 16
	s_sub_u32 s14, s4, s12
	s_subb_u32 s15, s5, s13
	s_or_b32 s2, s4, s10
	s_bfe_u32 s30, s6, 0x10010
	s_and_b32 s2, s2, 3
	s_cmp_eq_u32 s2, 0
	s_cbranch_scc1 .LBB92_21
; %bb.1:
	v_cmp_lt_i64_e64 s[2:3], s[14:15], 1
	s_and_b64 vcc, exec, s[2:3]
	s_cbranch_vccnz .LBB92_20
; %bb.2:
	s_load_dword s2, s[0:1], 0xd3c
	v_mov_b64_e32 v[2:3], 0x10000
	v_cmp_lt_i64_e32 vcc, s[14:15], v[2:3]
	s_and_b64 s[4:5], vcc, exec
	s_cselect_b32 s5, s15, 0
	s_cselect_b32 s4, s14, 0x10000
	s_waitcnt lgkmcnt(0)
	s_and_b32 s2, s2, 0xffff
	v_cmp_lt_u64_e32 vcc, s[14:15], v[2:3]
	s_and_b64 s[6:7], vcc, exec
	s_cselect_b32 s19, s15, 0
	s_cselect_b32 s18, s14, 0x10000
	s_lshl_b32 s6, s2, 1
	s_mul_i32 s8, s2, 3
	s_lshl_b32 s31, s2, 2
	s_add_u32 s20, s12, s8
	s_addc_u32 s21, s13, 0
	s_mov_b32 s3, 0
	s_add_u32 s20, s10, s20
	v_mov_b32_e32 v1, 0
	s_mov_b32 s9, s3
	s_addc_u32 s21, s11, s21
	v_lshl_add_u64 v[6:7], s[8:9], 0, v[0:1]
	s_add_u32 s8, s12, s6
	s_addc_u32 s9, s13, 0
	s_add_u32 s8, s10, s8
	s_mov_b32 s7, s3
	s_addc_u32 s9, s11, s9
	v_lshl_add_u64 v[10:11], s[6:7], 0, v[0:1]
	s_add_u32 s6, s10, s2
	v_lshl_add_u64 v[12:13], s[12:13], 0, v[0:1]
	s_addc_u32 s7, s11, 0
	v_lshl_add_u64 v[2:3], s[10:11], 0, v[12:13]
	v_lshl_add_u64 v[4:5], s[20:21], 0, v[0:1]
	;; [unrolled: 1-line block ×5, first 2 shown]
	s_mov_b64 s[20:21], 0
	v_mov_b64_e32 v[16:17], s[4:5]
	s_branch .LBB92_4
.LBB92_3:                               ;   in Loop: Header=BB92_4 Depth=1
	s_or_b64 exec, exec, s[2:3]
	s_add_u32 s20, s20, s31
	s_addc_u32 s21, s21, 0
	v_cmp_lt_i64_e32 vcc, s[20:21], v[16:17]
	s_cbranch_vccz .LBB92_20
.LBB92_4:                               ; =>This Inner Loop Header: Depth=1
	v_lshl_add_u64 v[18:19], v[0:1], 0, s[20:21]
	v_cmp_gt_u64_e32 vcc, s[18:19], v[18:19]
	v_lshl_add_u64 v[18:19], v[2:3], 0, s[20:21]
	s_mov_b64 s[22:23], s[16:17]
	s_and_saveexec_b64 s[4:5], vcc
	s_cbranch_execz .LBB92_6
; %bb.5:                                ;   in Loop: Header=BB92_4 Depth=1
	global_load_ubyte v20, v[18:19], off
	s_andn2_b64 s[6:7], s[16:17], exec
	s_waitcnt vmcnt(0)
	v_cmp_ne_u16_e64 s[2:3], s30, v20
	s_and_b64 s[2:3], s[2:3], exec
	s_or_b64 s[22:23], s[6:7], s[2:3]
.LBB92_6:                               ;   in Loop: Header=BB92_4 Depth=1
	s_or_b64 exec, exec, s[4:5]
	v_lshl_add_u64 v[20:21], v[14:15], 0, s[20:21]
	v_cmp_gt_u64_e64 s[2:3], s[18:19], v[20:21]
	v_lshl_add_u64 v[20:21], v[12:13], 0, s[20:21]
	s_mov_b64 s[24:25], s[16:17]
	s_and_saveexec_b64 s[6:7], s[2:3]
	s_cbranch_execz .LBB92_8
; %bb.7:                                ;   in Loop: Header=BB92_4 Depth=1
	global_load_ubyte v22, v[20:21], off
	s_andn2_b64 s[8:9], s[16:17], exec
	s_waitcnt vmcnt(0)
	v_cmp_ne_u16_e64 s[4:5], s30, v22
	s_and_b64 s[4:5], s[4:5], exec
	s_or_b64 s[24:25], s[8:9], s[4:5]
.LBB92_8:                               ;   in Loop: Header=BB92_4 Depth=1
	s_or_b64 exec, exec, s[6:7]
	v_lshl_add_u64 v[22:23], v[10:11], 0, s[20:21]
	v_cmp_gt_u64_e64 s[4:5], s[18:19], v[22:23]
	v_lshl_add_u64 v[22:23], v[8:9], 0, s[20:21]
	s_mov_b64 s[26:27], s[16:17]
	s_and_saveexec_b64 s[8:9], s[4:5]
	s_cbranch_execz .LBB92_10
; %bb.9:                                ;   in Loop: Header=BB92_4 Depth=1
	global_load_ubyte v24, v[22:23], off
	s_andn2_b64 s[26:27], s[16:17], exec
	s_waitcnt vmcnt(0)
	v_cmp_ne_u16_e64 s[6:7], s30, v24
	s_and_b64 s[6:7], s[6:7], exec
	s_or_b64 s[26:27], s[26:27], s[6:7]
.LBB92_10:                              ;   in Loop: Header=BB92_4 Depth=1
	s_or_b64 exec, exec, s[8:9]
	v_lshl_add_u64 v[24:25], v[6:7], 0, s[20:21]
	v_cmp_gt_u64_e64 s[6:7], s[18:19], v[24:25]
	v_mov_b32_e32 v26, s30
	v_lshl_add_u64 v[24:25], v[4:5], 0, s[20:21]
	s_and_saveexec_b64 s[28:29], s[6:7]
	s_cbranch_execnz .LBB92_15
; %bb.11:                               ;   in Loop: Header=BB92_4 Depth=1
	s_or_b64 exec, exec, s[28:29]
	s_and_saveexec_b64 s[8:9], vcc
	s_cbranch_execnz .LBB92_16
.LBB92_12:                              ;   in Loop: Header=BB92_4 Depth=1
	s_or_b64 exec, exec, s[8:9]
	s_and_saveexec_b64 s[8:9], s[2:3]
	s_cbranch_execnz .LBB92_17
.LBB92_13:                              ;   in Loop: Header=BB92_4 Depth=1
	s_or_b64 exec, exec, s[8:9]
	s_and_saveexec_b64 s[2:3], s[4:5]
	s_cbranch_execnz .LBB92_18
.LBB92_14:                              ;   in Loop: Header=BB92_4 Depth=1
	s_or_b64 exec, exec, s[2:3]
	s_and_saveexec_b64 s[2:3], s[6:7]
	s_cbranch_execz .LBB92_3
	s_branch .LBB92_19
.LBB92_15:                              ;   in Loop: Header=BB92_4 Depth=1
	global_load_ubyte v26, v[24:25], off
	s_waitcnt vmcnt(0)
	v_cmp_ne_u16_e64 s[8:9], s30, v26
	s_nop 1
	v_cndmask_b32_e64 v26, 0, 1, s[8:9]
	s_or_b64 exec, exec, s[28:29]
	s_and_saveexec_b64 s[8:9], vcc
	s_cbranch_execz .LBB92_12
.LBB92_16:                              ;   in Loop: Header=BB92_4 Depth=1
	v_cndmask_b32_e64 v27, 0, 1, s[22:23]
	global_store_byte v[18:19], v27, off
	s_or_b64 exec, exec, s[8:9]
	s_and_saveexec_b64 s[8:9], s[2:3]
	s_cbranch_execz .LBB92_13
.LBB92_17:                              ;   in Loop: Header=BB92_4 Depth=1
	v_cndmask_b32_e64 v18, 0, 1, s[24:25]
	global_store_byte v[20:21], v18, off
	s_or_b64 exec, exec, s[8:9]
	s_and_saveexec_b64 s[2:3], s[4:5]
	s_cbranch_execz .LBB92_14
.LBB92_18:                              ;   in Loop: Header=BB92_4 Depth=1
	v_cndmask_b32_e64 v18, 0, 1, s[26:27]
	global_store_byte v[22:23], v18, off
	s_or_b64 exec, exec, s[2:3]
	s_and_saveexec_b64 s[2:3], s[6:7]
	s_cbranch_execz .LBB92_3
.LBB92_19:                              ;   in Loop: Header=BB92_4 Depth=1
	global_store_byte v[24:25], v26, off
	s_branch .LBB92_3
.LBB92_20:
	s_cbranch_execz .LBB92_22
	s_branch .LBB92_25
.LBB92_21:
.LBB92_22:
	v_mov_b64_e32 v[4:5], 0x10000
	v_cmp_lt_i64_e32 vcc, s[14:15], v[4:5]
	s_and_b64 s[4:5], vcc, exec
	v_mov_b32_e32 v3, 0
	s_cselect_b32 s5, s15, 0
	s_cselect_b32 s4, s14, 0x10000
	v_lshlrev_b32_e32 v2, 2, v0
	s_mov_b32 s3, 0
	v_cmp_gt_i64_e32 vcc, s[4:5], v[2:3]
	s_and_saveexec_b64 s[6:7], vcc
	s_cbranch_execz .LBB92_25
; %bb.23:
	s_load_dword s0, s[0:1], 0xd3c
	v_mov_b32_e32 v1, v3
	s_mov_b32 s1, s3
	s_mov_b64 s[6:7], 0
	s_waitcnt lgkmcnt(0)
	s_and_b32 s2, s0, 0xffff
	s_add_u32 s8, s10, s12
	s_addc_u32 s9, s11, s13
	s_lshl_b32 s0, s2, 2
	v_lshl_add_u64 v[2:3], s[8:9], 0, v[2:3]
	s_movk_i32 s8, 0xff
.LBB92_24:                              ; =>This Inner Loop Header: Depth=1
	global_load_dword v6, v[2:3], off
	v_lshl_add_u64 v[0:1], v[0:1], 0, s[2:3]
	v_lshlrev_b64 v[4:5], 2, v[0:1]
	v_cmp_le_i64_e32 vcc, s[4:5], v[4:5]
	s_or_b64 s[6:7], vcc, s[6:7]
	s_waitcnt vmcnt(0)
	v_cmp_ne_u16_sdwa s[10:11], v6, s30 src0_sel:BYTE_0 src1_sel:DWORD
	s_nop 1
	v_cndmask_b32_e64 v4, 0, 1, s[10:11]
	v_lshrrev_b32_e32 v5, 8, v6
	v_cmp_ne_u16_sdwa s[10:11], v6, s30 src0_sel:BYTE_3 src1_sel:DWORD
	v_and_b32_sdwa v7, v6, s8 dst_sel:DWORD dst_unused:UNUSED_PAD src0_sel:WORD_1 src1_sel:DWORD
	v_cmp_ne_u16_e32 vcc, s30, v7
	v_cndmask_b32_e64 v6, 0, 1, s[10:11]
	v_cmp_ne_u16_sdwa s[10:11], v5, s30 src0_sel:BYTE_0 src1_sel:DWORD
	v_cndmask_b32_e64 v7, 0, 1, vcc
	v_lshlrev_b16_e32 v6, 8, v6
	v_cndmask_b32_e64 v5, 0, 1, s[10:11]
	v_lshlrev_b16_e32 v5, 8, v5
	v_or_b32_sdwa v6, v7, v6 dst_sel:WORD_1 dst_unused:UNUSED_PAD src0_sel:DWORD src1_sel:DWORD
	v_or_b32_e32 v4, v4, v5
	v_or_b32_sdwa v4, v4, v6 dst_sel:DWORD dst_unused:UNUSED_PAD src0_sel:WORD_0 src1_sel:DWORD
	global_store_dword v[2:3], v4, off
	v_lshl_add_u64 v[2:3], v[2:3], 0, s[0:1]
	s_andn2_b64 exec, exec, s[6:7]
	s_cbranch_execnz .LBB92_24
.LBB92_25:
	s_endpgm
	.section	.rodata,"a",@progbits
	.p2align	6, 0x0
	.amdhsa_kernel _ZN2at6native12_GLOBAL__N_125multi_tensor_apply_kernelINS1_18TensorListMetadataILi1EEENS1_21BinaryOpScalarFunctorIbLi1ELi1ELi0EEEJSt5minusIbEbEEEvT_T0_DpT1_
		.amdhsa_group_segment_fixed_size 0
		.amdhsa_private_segment_fixed_size 0
		.amdhsa_kernarg_size 3632
		.amdhsa_user_sgpr_count 2
		.amdhsa_user_sgpr_dispatch_ptr 0
		.amdhsa_user_sgpr_queue_ptr 0
		.amdhsa_user_sgpr_kernarg_segment_ptr 1
		.amdhsa_user_sgpr_dispatch_id 0
		.amdhsa_user_sgpr_kernarg_preload_length 0
		.amdhsa_user_sgpr_kernarg_preload_offset 0
		.amdhsa_user_sgpr_private_segment_size 0
		.amdhsa_uses_dynamic_stack 0
		.amdhsa_enable_private_segment 0
		.amdhsa_system_sgpr_workgroup_id_x 1
		.amdhsa_system_sgpr_workgroup_id_y 0
		.amdhsa_system_sgpr_workgroup_id_z 0
		.amdhsa_system_sgpr_workgroup_info 0
		.amdhsa_system_vgpr_workitem_id 0
		.amdhsa_next_free_vgpr 28
		.amdhsa_next_free_sgpr 32
		.amdhsa_accum_offset 28
		.amdhsa_reserve_vcc 1
		.amdhsa_float_round_mode_32 0
		.amdhsa_float_round_mode_16_64 0
		.amdhsa_float_denorm_mode_32 3
		.amdhsa_float_denorm_mode_16_64 3
		.amdhsa_dx10_clamp 1
		.amdhsa_ieee_mode 1
		.amdhsa_fp16_overflow 0
		.amdhsa_tg_split 0
		.amdhsa_exception_fp_ieee_invalid_op 0
		.amdhsa_exception_fp_denorm_src 0
		.amdhsa_exception_fp_ieee_div_zero 0
		.amdhsa_exception_fp_ieee_overflow 0
		.amdhsa_exception_fp_ieee_underflow 0
		.amdhsa_exception_fp_ieee_inexact 0
		.amdhsa_exception_int_div_zero 0
	.end_amdhsa_kernel
	.section	.text._ZN2at6native12_GLOBAL__N_125multi_tensor_apply_kernelINS1_18TensorListMetadataILi1EEENS1_21BinaryOpScalarFunctorIbLi1ELi1ELi0EEEJSt5minusIbEbEEEvT_T0_DpT1_,"axG",@progbits,_ZN2at6native12_GLOBAL__N_125multi_tensor_apply_kernelINS1_18TensorListMetadataILi1EEENS1_21BinaryOpScalarFunctorIbLi1ELi1ELi0EEEJSt5minusIbEbEEEvT_T0_DpT1_,comdat
.Lfunc_end92:
	.size	_ZN2at6native12_GLOBAL__N_125multi_tensor_apply_kernelINS1_18TensorListMetadataILi1EEENS1_21BinaryOpScalarFunctorIbLi1ELi1ELi0EEEJSt5minusIbEbEEEvT_T0_DpT1_, .Lfunc_end92-_ZN2at6native12_GLOBAL__N_125multi_tensor_apply_kernelINS1_18TensorListMetadataILi1EEENS1_21BinaryOpScalarFunctorIbLi1ELi1ELi0EEEJSt5minusIbEbEEEvT_T0_DpT1_
                                        ; -- End function
	.set _ZN2at6native12_GLOBAL__N_125multi_tensor_apply_kernelINS1_18TensorListMetadataILi1EEENS1_21BinaryOpScalarFunctorIbLi1ELi1ELi0EEEJSt5minusIbEbEEEvT_T0_DpT1_.num_vgpr, 28
	.set _ZN2at6native12_GLOBAL__N_125multi_tensor_apply_kernelINS1_18TensorListMetadataILi1EEENS1_21BinaryOpScalarFunctorIbLi1ELi1ELi0EEEJSt5minusIbEbEEEvT_T0_DpT1_.num_agpr, 0
	.set _ZN2at6native12_GLOBAL__N_125multi_tensor_apply_kernelINS1_18TensorListMetadataILi1EEENS1_21BinaryOpScalarFunctorIbLi1ELi1ELi0EEEJSt5minusIbEbEEEvT_T0_DpT1_.numbered_sgpr, 32
	.set _ZN2at6native12_GLOBAL__N_125multi_tensor_apply_kernelINS1_18TensorListMetadataILi1EEENS1_21BinaryOpScalarFunctorIbLi1ELi1ELi0EEEJSt5minusIbEbEEEvT_T0_DpT1_.num_named_barrier, 0
	.set _ZN2at6native12_GLOBAL__N_125multi_tensor_apply_kernelINS1_18TensorListMetadataILi1EEENS1_21BinaryOpScalarFunctorIbLi1ELi1ELi0EEEJSt5minusIbEbEEEvT_T0_DpT1_.private_seg_size, 0
	.set _ZN2at6native12_GLOBAL__N_125multi_tensor_apply_kernelINS1_18TensorListMetadataILi1EEENS1_21BinaryOpScalarFunctorIbLi1ELi1ELi0EEEJSt5minusIbEbEEEvT_T0_DpT1_.uses_vcc, 1
	.set _ZN2at6native12_GLOBAL__N_125multi_tensor_apply_kernelINS1_18TensorListMetadataILi1EEENS1_21BinaryOpScalarFunctorIbLi1ELi1ELi0EEEJSt5minusIbEbEEEvT_T0_DpT1_.uses_flat_scratch, 0
	.set _ZN2at6native12_GLOBAL__N_125multi_tensor_apply_kernelINS1_18TensorListMetadataILi1EEENS1_21BinaryOpScalarFunctorIbLi1ELi1ELi0EEEJSt5minusIbEbEEEvT_T0_DpT1_.has_dyn_sized_stack, 0
	.set _ZN2at6native12_GLOBAL__N_125multi_tensor_apply_kernelINS1_18TensorListMetadataILi1EEENS1_21BinaryOpScalarFunctorIbLi1ELi1ELi0EEEJSt5minusIbEbEEEvT_T0_DpT1_.has_recursion, 0
	.set _ZN2at6native12_GLOBAL__N_125multi_tensor_apply_kernelINS1_18TensorListMetadataILi1EEENS1_21BinaryOpScalarFunctorIbLi1ELi1ELi0EEEJSt5minusIbEbEEEvT_T0_DpT1_.has_indirect_call, 0
	.section	.AMDGPU.csdata,"",@progbits
; Kernel info:
; codeLenInByte = 1108
; TotalNumSgprs: 38
; NumVgprs: 28
; NumAgprs: 0
; TotalNumVgprs: 28
; ScratchSize: 0
; MemoryBound: 0
; FloatMode: 240
; IeeeMode: 1
; LDSByteSize: 0 bytes/workgroup (compile time only)
; SGPRBlocks: 4
; VGPRBlocks: 3
; NumSGPRsForWavesPerEU: 38
; NumVGPRsForWavesPerEU: 28
; AccumOffset: 28
; Occupancy: 8
; WaveLimiterHint : 0
; COMPUTE_PGM_RSRC2:SCRATCH_EN: 0
; COMPUTE_PGM_RSRC2:USER_SGPR: 2
; COMPUTE_PGM_RSRC2:TRAP_HANDLER: 0
; COMPUTE_PGM_RSRC2:TGID_X_EN: 1
; COMPUTE_PGM_RSRC2:TGID_Y_EN: 0
; COMPUTE_PGM_RSRC2:TGID_Z_EN: 0
; COMPUTE_PGM_RSRC2:TIDIG_COMP_CNT: 0
; COMPUTE_PGM_RSRC3_GFX90A:ACCUM_OFFSET: 6
; COMPUTE_PGM_RSRC3_GFX90A:TG_SPLIT: 0
	.section	.text._ZN2at6native12_GLOBAL__N_125multi_tensor_apply_kernelINS1_18TensorListMetadataILi1EEENS1_21BinaryOpScalarFunctorIN3c104HalfELi1ELi1ELi0EEEJSt5minusIfEfEEEvT_T0_DpT1_,"axG",@progbits,_ZN2at6native12_GLOBAL__N_125multi_tensor_apply_kernelINS1_18TensorListMetadataILi1EEENS1_21BinaryOpScalarFunctorIN3c104HalfELi1ELi1ELi0EEEJSt5minusIfEfEEEvT_T0_DpT1_,comdat
	.globl	_ZN2at6native12_GLOBAL__N_125multi_tensor_apply_kernelINS1_18TensorListMetadataILi1EEENS1_21BinaryOpScalarFunctorIN3c104HalfELi1ELi1ELi0EEEJSt5minusIfEfEEEvT_T0_DpT1_ ; -- Begin function _ZN2at6native12_GLOBAL__N_125multi_tensor_apply_kernelINS1_18TensorListMetadataILi1EEENS1_21BinaryOpScalarFunctorIN3c104HalfELi1ELi1ELi0EEEJSt5minusIfEfEEEvT_T0_DpT1_
	.p2align	8
	.type	_ZN2at6native12_GLOBAL__N_125multi_tensor_apply_kernelINS1_18TensorListMetadataILi1EEENS1_21BinaryOpScalarFunctorIN3c104HalfELi1ELi1ELi0EEEJSt5minusIfEfEEEvT_T0_DpT1_,@function
_ZN2at6native12_GLOBAL__N_125multi_tensor_apply_kernelINS1_18TensorListMetadataILi1EEENS1_21BinaryOpScalarFunctorIN3c104HalfELi1ELi1ELi0EEEJSt5minusIfEfEEEvT_T0_DpT1_: ; @_ZN2at6native12_GLOBAL__N_125multi_tensor_apply_kernelINS1_18TensorListMetadataILi1EEENS1_21BinaryOpScalarFunctorIN3c104HalfELi1ELi1ELi0EEEJSt5minusIfEfEEEvT_T0_DpT1_
; %bb.0:
	v_mov_b32_e32 v1, s2
	global_load_ubyte v1, v1, s[0:1] offset:1760
	s_add_u32 s3, s0, s2
	s_mul_hi_u32 s4, s2, 3
	s_mul_i32 s2, s2, 3
	s_addc_u32 s5, s1, 0
	s_add_u32 s2, s3, s2
	s_addc_u32 s3, s5, s4
	s_load_dword s2, s[2:3], 0x820
	s_mov_b32 s7, 0
	s_waitcnt vmcnt(0)
	v_readfirstlane_b32 s3, v1
	s_lshl_b32 s3, s3, 3
	s_load_dword s26, s[0:1], 0xd2c
	s_load_dwordx2 s[4:5], s[0:1], s3 offset:0x370
	s_load_dwordx2 s[8:9], s[0:1], s3 offset:0x0
	s_waitcnt lgkmcnt(0)
	s_ashr_i32 s3, s2, 31
	s_lshl_b64 s[10:11], s[2:3], 17
	s_lshl_b64 s[2:3], s[2:3], 16
	s_and_b32 s6, s8, 7
	s_sub_u32 s12, s4, s2
	s_subb_u32 s13, s5, s3
	s_and_b32 s2, s4, 3
	s_mov_b32 s3, s7
	s_or_b64 s[2:3], s[6:7], s[2:3]
	s_cmp_eq_u64 s[2:3], 0
	s_cbranch_scc1 .LBB93_21
; %bb.1:
	v_cmp_lt_i64_e64 s[2:3], s[12:13], 1
	s_and_b64 vcc, exec, s[2:3]
	s_cbranch_vccnz .LBB93_20
; %bb.2:
	s_load_dword s2, s[0:1], 0xd3c
	v_mov_b64_e32 v[2:3], 0x10000
	v_cmp_lt_i64_e32 vcc, s[12:13], v[2:3]
	s_and_b64 s[4:5], vcc, exec
	s_cselect_b32 s5, s13, 0
	s_cselect_b32 s4, s12, 0x10000
	s_waitcnt lgkmcnt(0)
	s_and_b32 s2, s2, 0xffff
	v_cmp_lt_u64_e32 vcc, s[12:13], v[2:3]
	s_and_b64 s[6:7], vcc, exec
	s_mov_b32 s3, 0
	v_mov_b32_e32 v1, 0
	s_cselect_b32 s15, s13, 0
	s_cselect_b32 s14, s12, 0x10000
	s_lshl_b32 s6, s2, 1
	s_lshl_b32 s16, s2, 2
	s_add_u32 s24, s8, s10
	v_lshl_add_u64 v[8:9], v[0:1], 0, s[2:3]
	s_mov_b32 s7, s3
	s_mul_i32 s22, s2, 3
	s_mov_b32 s23, s3
	v_lshlrev_b32_e32 v2, 1, v0
	v_mov_b32_e32 v3, v1
	s_addc_u32 s25, s9, s11
	v_lshlrev_b32_e32 v10, 1, v8
	v_mov_b32_e32 v11, v1
	s_mov_b32 s17, s3
	v_lshl_add_u64 v[2:3], s[24:25], 0, v[2:3]
	s_lshl_b32 s18, s2, 3
	s_mov_b32 s19, s3
	s_mul_i32 s20, s2, 6
	s_mov_b32 s21, s3
	v_lshl_add_u64 v[4:5], s[22:23], 0, v[0:1]
	v_lshl_add_u64 v[6:7], s[6:7], 0, v[0:1]
	;; [unrolled: 1-line block ×3, first 2 shown]
	s_mov_b64 s[22:23], 0
	v_mov_b64_e32 v[12:13], s[4:5]
	s_branch .LBB93_4
.LBB93_3:                               ;   in Loop: Header=BB93_4 Depth=1
	s_or_b64 exec, exec, s[2:3]
	s_add_u32 s22, s22, s16
	s_addc_u32 s23, s23, 0
	v_cmp_lt_i64_e32 vcc, s[22:23], v[12:13]
	v_lshl_add_u64 v[2:3], v[2:3], 0, s[18:19]
	v_lshl_add_u64 v[10:11], v[10:11], 0, s[18:19]
	s_cbranch_vccz .LBB93_20
.LBB93_4:                               ; =>This Inner Loop Header: Depth=1
	v_lshl_add_u64 v[14:15], v[0:1], 0, s[22:23]
	v_cmp_gt_u64_e32 vcc, s[14:15], v[14:15]
	v_mov_b32_e32 v19, 0
	s_and_saveexec_b64 s[2:3], vcc
	s_cbranch_execz .LBB93_6
; %bb.5:                                ;   in Loop: Header=BB93_4 Depth=1
	global_load_ushort v14, v[2:3], off
	s_waitcnt vmcnt(0)
	v_cvt_f32_f16_e32 v19, v14
.LBB93_6:                               ;   in Loop: Header=BB93_4 Depth=1
	s_or_b64 exec, exec, s[2:3]
	v_lshl_add_u64 v[14:15], v[8:9], 0, s[22:23]
	v_cmp_gt_u64_e64 s[2:3], s[14:15], v[14:15]
	v_mov_b32_e32 v18, 0
	v_mov_b32_e32 v20, 0
	s_and_saveexec_b64 s[4:5], s[2:3]
	s_cbranch_execz .LBB93_8
; %bb.7:                                ;   in Loop: Header=BB93_4 Depth=1
	global_load_ushort v14, v[10:11], off
	s_waitcnt vmcnt(0)
	v_cvt_f32_f16_e32 v20, v14
.LBB93_8:                               ;   in Loop: Header=BB93_4 Depth=1
	s_or_b64 exec, exec, s[4:5]
	v_lshl_add_u64 v[14:15], v[6:7], 0, s[22:23]
	v_cmp_gt_u64_e64 s[4:5], s[14:15], v[14:15]
	v_lshl_add_u64 v[14:15], v[2:3], 0, s[16:17]
	s_and_saveexec_b64 s[6:7], s[4:5]
	s_cbranch_execz .LBB93_10
; %bb.9:                                ;   in Loop: Header=BB93_4 Depth=1
	global_load_ushort v16, v[14:15], off
	s_waitcnt vmcnt(0)
	v_cvt_f32_f16_e32 v18, v16
.LBB93_10:                              ;   in Loop: Header=BB93_4 Depth=1
	s_or_b64 exec, exec, s[6:7]
	v_lshl_add_u64 v[16:17], v[4:5], 0, s[22:23]
	v_cmp_gt_u64_e64 s[6:7], s[14:15], v[16:17]
	v_mov_b32_e32 v21, 0
	v_lshl_add_u64 v[16:17], v[2:3], 0, s[20:21]
	s_and_saveexec_b64 s[24:25], s[6:7]
	s_cbranch_execnz .LBB93_15
; %bb.11:                               ;   in Loop: Header=BB93_4 Depth=1
	s_or_b64 exec, exec, s[24:25]
	s_and_saveexec_b64 s[24:25], vcc
	s_cbranch_execnz .LBB93_16
.LBB93_12:                              ;   in Loop: Header=BB93_4 Depth=1
	s_or_b64 exec, exec, s[24:25]
	s_and_saveexec_b64 s[24:25], s[2:3]
	s_cbranch_execnz .LBB93_17
.LBB93_13:                              ;   in Loop: Header=BB93_4 Depth=1
	s_or_b64 exec, exec, s[24:25]
	s_and_saveexec_b64 s[2:3], s[4:5]
	s_cbranch_execnz .LBB93_18
.LBB93_14:                              ;   in Loop: Header=BB93_4 Depth=1
	s_or_b64 exec, exec, s[2:3]
	s_and_saveexec_b64 s[2:3], s[6:7]
	s_cbranch_execz .LBB93_3
	s_branch .LBB93_19
.LBB93_15:                              ;   in Loop: Header=BB93_4 Depth=1
	global_load_ushort v21, v[16:17], off
	s_waitcnt vmcnt(0)
	v_cvt_f32_f16_e32 v21, v21
	s_or_b64 exec, exec, s[24:25]
	s_and_saveexec_b64 s[24:25], vcc
	s_cbranch_execz .LBB93_12
.LBB93_16:                              ;   in Loop: Header=BB93_4 Depth=1
	v_subrev_f32_e32 v19, s26, v19
	v_cvt_f16_f32_e32 v19, v19
	global_store_short v[2:3], v19, off
	s_or_b64 exec, exec, s[24:25]
	s_and_saveexec_b64 s[24:25], s[2:3]
	s_cbranch_execz .LBB93_13
.LBB93_17:                              ;   in Loop: Header=BB93_4 Depth=1
	v_subrev_f32_e32 v19, s26, v20
	v_cvt_f16_f32_e32 v19, v19
	global_store_short v[10:11], v19, off
	s_or_b64 exec, exec, s[24:25]
	s_and_saveexec_b64 s[2:3], s[4:5]
	s_cbranch_execz .LBB93_14
.LBB93_18:                              ;   in Loop: Header=BB93_4 Depth=1
	v_subrev_f32_e32 v18, s26, v18
	v_cvt_f16_f32_e32 v18, v18
	global_store_short v[14:15], v18, off
	s_or_b64 exec, exec, s[2:3]
	s_and_saveexec_b64 s[2:3], s[6:7]
	s_cbranch_execz .LBB93_3
.LBB93_19:                              ;   in Loop: Header=BB93_4 Depth=1
	v_subrev_f32_e32 v14, s26, v21
	v_cvt_f16_f32_e32 v14, v14
	global_store_short v[16:17], v14, off
	s_branch .LBB93_3
.LBB93_20:
	s_cbranch_execz .LBB93_22
	s_branch .LBB93_25
.LBB93_21:
.LBB93_22:
	v_mov_b64_e32 v[4:5], 0x10000
	v_cmp_lt_i64_e32 vcc, s[12:13], v[4:5]
	s_and_b64 s[4:5], vcc, exec
	v_mov_b32_e32 v3, 0
	s_cselect_b32 s5, s13, 0
	s_cselect_b32 s4, s12, 0x10000
	v_lshlrev_b32_e32 v2, 2, v0
	s_mov_b32 s3, 0
	v_cmp_gt_i64_e32 vcc, s[4:5], v[2:3]
	s_and_saveexec_b64 s[6:7], vcc
	s_cbranch_execz .LBB93_25
; %bb.23:
	s_load_dword s0, s[0:1], 0xd3c
	v_lshlrev_b32_e32 v2, 3, v0
	v_mov_b32_e32 v1, v3
	s_mov_b32 s12, s26
	s_mov_b32 s13, s26
	s_waitcnt lgkmcnt(0)
	s_and_b32 s2, s0, 0xffff
	s_add_u32 s0, s8, s10
	s_addc_u32 s1, s9, s11
	s_mov_b32 s14, s26
	v_lshl_add_u64 v[2:3], s[0:1], 0, v[2:3]
	s_lshl_b32 s0, s2, 3
	s_mov_b32 s1, s3
	s_mov_b64 s[6:7], 0
.LBB93_24:                              ; =>This Inner Loop Header: Depth=1
	global_load_dwordx2 v[4:5], v[2:3], off
	v_lshl_add_u64 v[0:1], v[0:1], 0, s[2:3]
	v_lshlrev_b64 v[6:7], 2, v[0:1]
	v_cmp_le_i64_e32 vcc, s[4:5], v[6:7]
	s_or_b64 s[6:7], vcc, s[6:7]
	s_waitcnt vmcnt(0)
	v_cvt_f32_f16_e32 v6, v4
	v_cvt_f32_f16_sdwa v4, v4 dst_sel:DWORD dst_unused:UNUSED_PAD src0_sel:WORD_1
	v_cvt_f32_f16_e32 v7, v5
	v_cvt_f32_f16_sdwa v5, v5 dst_sel:DWORD dst_unused:UNUSED_PAD src0_sel:WORD_1
	v_subrev_f32_e32 v6, s26, v6
	v_subrev_f32_e32 v4, s12, v4
	;; [unrolled: 1-line block ×4, first 2 shown]
	v_cvt_pk_f16_f32 v5, v7, v5
	v_cvt_pk_f16_f32 v4, v6, v4
	global_store_dwordx2 v[2:3], v[4:5], off
	v_lshl_add_u64 v[2:3], v[2:3], 0, s[0:1]
	s_andn2_b64 exec, exec, s[6:7]
	s_cbranch_execnz .LBB93_24
.LBB93_25:
	s_endpgm
	.section	.rodata,"a",@progbits
	.p2align	6, 0x0
	.amdhsa_kernel _ZN2at6native12_GLOBAL__N_125multi_tensor_apply_kernelINS1_18TensorListMetadataILi1EEENS1_21BinaryOpScalarFunctorIN3c104HalfELi1ELi1ELi0EEEJSt5minusIfEfEEEvT_T0_DpT1_
		.amdhsa_group_segment_fixed_size 0
		.amdhsa_private_segment_fixed_size 0
		.amdhsa_kernarg_size 3632
		.amdhsa_user_sgpr_count 2
		.amdhsa_user_sgpr_dispatch_ptr 0
		.amdhsa_user_sgpr_queue_ptr 0
		.amdhsa_user_sgpr_kernarg_segment_ptr 1
		.amdhsa_user_sgpr_dispatch_id 0
		.amdhsa_user_sgpr_kernarg_preload_length 0
		.amdhsa_user_sgpr_kernarg_preload_offset 0
		.amdhsa_user_sgpr_private_segment_size 0
		.amdhsa_uses_dynamic_stack 0
		.amdhsa_enable_private_segment 0
		.amdhsa_system_sgpr_workgroup_id_x 1
		.amdhsa_system_sgpr_workgroup_id_y 0
		.amdhsa_system_sgpr_workgroup_id_z 0
		.amdhsa_system_sgpr_workgroup_info 0
		.amdhsa_system_vgpr_workitem_id 0
		.amdhsa_next_free_vgpr 22
		.amdhsa_next_free_sgpr 27
		.amdhsa_accum_offset 24
		.amdhsa_reserve_vcc 1
		.amdhsa_float_round_mode_32 0
		.amdhsa_float_round_mode_16_64 0
		.amdhsa_float_denorm_mode_32 3
		.amdhsa_float_denorm_mode_16_64 3
		.amdhsa_dx10_clamp 1
		.amdhsa_ieee_mode 1
		.amdhsa_fp16_overflow 0
		.amdhsa_tg_split 0
		.amdhsa_exception_fp_ieee_invalid_op 0
		.amdhsa_exception_fp_denorm_src 0
		.amdhsa_exception_fp_ieee_div_zero 0
		.amdhsa_exception_fp_ieee_overflow 0
		.amdhsa_exception_fp_ieee_underflow 0
		.amdhsa_exception_fp_ieee_inexact 0
		.amdhsa_exception_int_div_zero 0
	.end_amdhsa_kernel
	.section	.text._ZN2at6native12_GLOBAL__N_125multi_tensor_apply_kernelINS1_18TensorListMetadataILi1EEENS1_21BinaryOpScalarFunctorIN3c104HalfELi1ELi1ELi0EEEJSt5minusIfEfEEEvT_T0_DpT1_,"axG",@progbits,_ZN2at6native12_GLOBAL__N_125multi_tensor_apply_kernelINS1_18TensorListMetadataILi1EEENS1_21BinaryOpScalarFunctorIN3c104HalfELi1ELi1ELi0EEEJSt5minusIfEfEEEvT_T0_DpT1_,comdat
.Lfunc_end93:
	.size	_ZN2at6native12_GLOBAL__N_125multi_tensor_apply_kernelINS1_18TensorListMetadataILi1EEENS1_21BinaryOpScalarFunctorIN3c104HalfELi1ELi1ELi0EEEJSt5minusIfEfEEEvT_T0_DpT1_, .Lfunc_end93-_ZN2at6native12_GLOBAL__N_125multi_tensor_apply_kernelINS1_18TensorListMetadataILi1EEENS1_21BinaryOpScalarFunctorIN3c104HalfELi1ELi1ELi0EEEJSt5minusIfEfEEEvT_T0_DpT1_
                                        ; -- End function
	.set _ZN2at6native12_GLOBAL__N_125multi_tensor_apply_kernelINS1_18TensorListMetadataILi1EEENS1_21BinaryOpScalarFunctorIN3c104HalfELi1ELi1ELi0EEEJSt5minusIfEfEEEvT_T0_DpT1_.num_vgpr, 22
	.set _ZN2at6native12_GLOBAL__N_125multi_tensor_apply_kernelINS1_18TensorListMetadataILi1EEENS1_21BinaryOpScalarFunctorIN3c104HalfELi1ELi1ELi0EEEJSt5minusIfEfEEEvT_T0_DpT1_.num_agpr, 0
	.set _ZN2at6native12_GLOBAL__N_125multi_tensor_apply_kernelINS1_18TensorListMetadataILi1EEENS1_21BinaryOpScalarFunctorIN3c104HalfELi1ELi1ELi0EEEJSt5minusIfEfEEEvT_T0_DpT1_.numbered_sgpr, 27
	.set _ZN2at6native12_GLOBAL__N_125multi_tensor_apply_kernelINS1_18TensorListMetadataILi1EEENS1_21BinaryOpScalarFunctorIN3c104HalfELi1ELi1ELi0EEEJSt5minusIfEfEEEvT_T0_DpT1_.num_named_barrier, 0
	.set _ZN2at6native12_GLOBAL__N_125multi_tensor_apply_kernelINS1_18TensorListMetadataILi1EEENS1_21BinaryOpScalarFunctorIN3c104HalfELi1ELi1ELi0EEEJSt5minusIfEfEEEvT_T0_DpT1_.private_seg_size, 0
	.set _ZN2at6native12_GLOBAL__N_125multi_tensor_apply_kernelINS1_18TensorListMetadataILi1EEENS1_21BinaryOpScalarFunctorIN3c104HalfELi1ELi1ELi0EEEJSt5minusIfEfEEEvT_T0_DpT1_.uses_vcc, 1
	.set _ZN2at6native12_GLOBAL__N_125multi_tensor_apply_kernelINS1_18TensorListMetadataILi1EEENS1_21BinaryOpScalarFunctorIN3c104HalfELi1ELi1ELi0EEEJSt5minusIfEfEEEvT_T0_DpT1_.uses_flat_scratch, 0
	.set _ZN2at6native12_GLOBAL__N_125multi_tensor_apply_kernelINS1_18TensorListMetadataILi1EEENS1_21BinaryOpScalarFunctorIN3c104HalfELi1ELi1ELi0EEEJSt5minusIfEfEEEvT_T0_DpT1_.has_dyn_sized_stack, 0
	.set _ZN2at6native12_GLOBAL__N_125multi_tensor_apply_kernelINS1_18TensorListMetadataILi1EEENS1_21BinaryOpScalarFunctorIN3c104HalfELi1ELi1ELi0EEEJSt5minusIfEfEEEvT_T0_DpT1_.has_recursion, 0
	.set _ZN2at6native12_GLOBAL__N_125multi_tensor_apply_kernelINS1_18TensorListMetadataILi1EEENS1_21BinaryOpScalarFunctorIN3c104HalfELi1ELi1ELi0EEEJSt5minusIfEfEEEvT_T0_DpT1_.has_indirect_call, 0
	.section	.AMDGPU.csdata,"",@progbits
; Kernel info:
; codeLenInByte = 992
; TotalNumSgprs: 33
; NumVgprs: 22
; NumAgprs: 0
; TotalNumVgprs: 22
; ScratchSize: 0
; MemoryBound: 0
; FloatMode: 240
; IeeeMode: 1
; LDSByteSize: 0 bytes/workgroup (compile time only)
; SGPRBlocks: 4
; VGPRBlocks: 2
; NumSGPRsForWavesPerEU: 33
; NumVGPRsForWavesPerEU: 22
; AccumOffset: 24
; Occupancy: 8
; WaveLimiterHint : 0
; COMPUTE_PGM_RSRC2:SCRATCH_EN: 0
; COMPUTE_PGM_RSRC2:USER_SGPR: 2
; COMPUTE_PGM_RSRC2:TRAP_HANDLER: 0
; COMPUTE_PGM_RSRC2:TGID_X_EN: 1
; COMPUTE_PGM_RSRC2:TGID_Y_EN: 0
; COMPUTE_PGM_RSRC2:TGID_Z_EN: 0
; COMPUTE_PGM_RSRC2:TIDIG_COMP_CNT: 0
; COMPUTE_PGM_RSRC3_GFX90A:ACCUM_OFFSET: 5
; COMPUTE_PGM_RSRC3_GFX90A:TG_SPLIT: 0
	.section	.text._ZN2at6native12_GLOBAL__N_125multi_tensor_apply_kernelINS1_18TensorListMetadataILi1EEENS1_21BinaryOpScalarFunctorIN3c108BFloat16ELi1ELi1ELi0EEEJSt5minusIfEfEEEvT_T0_DpT1_,"axG",@progbits,_ZN2at6native12_GLOBAL__N_125multi_tensor_apply_kernelINS1_18TensorListMetadataILi1EEENS1_21BinaryOpScalarFunctorIN3c108BFloat16ELi1ELi1ELi0EEEJSt5minusIfEfEEEvT_T0_DpT1_,comdat
	.globl	_ZN2at6native12_GLOBAL__N_125multi_tensor_apply_kernelINS1_18TensorListMetadataILi1EEENS1_21BinaryOpScalarFunctorIN3c108BFloat16ELi1ELi1ELi0EEEJSt5minusIfEfEEEvT_T0_DpT1_ ; -- Begin function _ZN2at6native12_GLOBAL__N_125multi_tensor_apply_kernelINS1_18TensorListMetadataILi1EEENS1_21BinaryOpScalarFunctorIN3c108BFloat16ELi1ELi1ELi0EEEJSt5minusIfEfEEEvT_T0_DpT1_
	.p2align	8
	.type	_ZN2at6native12_GLOBAL__N_125multi_tensor_apply_kernelINS1_18TensorListMetadataILi1EEENS1_21BinaryOpScalarFunctorIN3c108BFloat16ELi1ELi1ELi0EEEJSt5minusIfEfEEEvT_T0_DpT1_,@function
_ZN2at6native12_GLOBAL__N_125multi_tensor_apply_kernelINS1_18TensorListMetadataILi1EEENS1_21BinaryOpScalarFunctorIN3c108BFloat16ELi1ELi1ELi0EEEJSt5minusIfEfEEEvT_T0_DpT1_: ; @_ZN2at6native12_GLOBAL__N_125multi_tensor_apply_kernelINS1_18TensorListMetadataILi1EEENS1_21BinaryOpScalarFunctorIN3c108BFloat16ELi1ELi1ELi0EEEJSt5minusIfEfEEEvT_T0_DpT1_
; %bb.0:
	v_mov_b32_e32 v1, s2
	global_load_ubyte v1, v1, s[0:1] offset:1760
	s_add_u32 s3, s0, s2
	s_mul_hi_u32 s4, s2, 3
	s_mul_i32 s2, s2, 3
	s_addc_u32 s5, s1, 0
	s_add_u32 s2, s3, s2
	s_addc_u32 s3, s5, s4
	s_load_dword s2, s[2:3], 0x820
	s_mov_b32 s7, 0
	s_waitcnt vmcnt(0)
	v_readfirstlane_b32 s3, v1
	s_lshl_b32 s3, s3, 3
	s_load_dword s26, s[0:1], 0xd2c
	s_load_dwordx2 s[4:5], s[0:1], s3 offset:0x370
	s_load_dwordx2 s[8:9], s[0:1], s3 offset:0x0
	s_waitcnt lgkmcnt(0)
	s_ashr_i32 s3, s2, 31
	s_lshl_b64 s[10:11], s[2:3], 17
	s_lshl_b64 s[2:3], s[2:3], 16
	s_and_b32 s6, s8, 7
	s_sub_u32 s12, s4, s2
	s_subb_u32 s13, s5, s3
	s_and_b32 s2, s4, 3
	s_mov_b32 s3, s7
	s_or_b64 s[2:3], s[6:7], s[2:3]
	s_cmp_eq_u64 s[2:3], 0
	s_cbranch_scc1 .LBB94_21
; %bb.1:
	v_cmp_lt_i64_e64 s[2:3], s[12:13], 1
	s_and_b64 vcc, exec, s[2:3]
	s_cbranch_vccnz .LBB94_20
; %bb.2:
	s_load_dword s2, s[0:1], 0xd3c
	v_mov_b64_e32 v[2:3], 0x10000
	v_cmp_lt_i64_e32 vcc, s[12:13], v[2:3]
	s_and_b64 s[4:5], vcc, exec
	s_cselect_b32 s5, s13, 0
	s_cselect_b32 s4, s12, 0x10000
	s_waitcnt lgkmcnt(0)
	s_and_b32 s2, s2, 0xffff
	v_cmp_lt_u64_e32 vcc, s[12:13], v[2:3]
	s_and_b64 s[6:7], vcc, exec
	s_mov_b32 s3, 0
	v_mov_b32_e32 v1, 0
	s_cselect_b32 s15, s13, 0
	s_cselect_b32 s14, s12, 0x10000
	s_lshl_b32 s6, s2, 1
	s_lshl_b32 s16, s2, 2
	s_add_u32 s24, s8, s10
	v_lshl_add_u64 v[8:9], v[0:1], 0, s[2:3]
	s_mov_b32 s7, s3
	s_mul_i32 s22, s2, 3
	s_mov_b32 s23, s3
	v_lshlrev_b32_e32 v2, 1, v0
	v_mov_b32_e32 v3, v1
	s_addc_u32 s25, s9, s11
	v_lshlrev_b32_e32 v10, 1, v8
	v_mov_b32_e32 v11, v1
	s_mov_b32 s17, s3
	v_lshl_add_u64 v[2:3], s[24:25], 0, v[2:3]
	s_lshl_b32 s18, s2, 3
	s_mov_b32 s19, s3
	s_mul_i32 s20, s2, 6
	s_mov_b32 s21, s3
	v_lshl_add_u64 v[4:5], s[22:23], 0, v[0:1]
	v_lshl_add_u64 v[6:7], s[6:7], 0, v[0:1]
	;; [unrolled: 1-line block ×3, first 2 shown]
	s_mov_b64 s[22:23], 0
	s_movk_i32 s27, 0x7fff
	v_mov_b64_e32 v[12:13], s[4:5]
	v_mov_b32_e32 v18, 0x7fc0
	s_branch .LBB94_4
.LBB94_3:                               ;   in Loop: Header=BB94_4 Depth=1
	s_or_b64 exec, exec, s[2:3]
	s_add_u32 s22, s22, s16
	s_addc_u32 s23, s23, 0
	v_cmp_lt_i64_e32 vcc, s[22:23], v[12:13]
	v_lshl_add_u64 v[2:3], v[2:3], 0, s[18:19]
	v_lshl_add_u64 v[10:11], v[10:11], 0, s[18:19]
	s_cbranch_vccz .LBB94_20
.LBB94_4:                               ; =>This Inner Loop Header: Depth=1
	v_lshl_add_u64 v[14:15], v[0:1], 0, s[22:23]
	v_cmp_gt_u64_e32 vcc, s[14:15], v[14:15]
	v_mov_b32_e32 v20, 0
	s_and_saveexec_b64 s[2:3], vcc
	s_cbranch_execz .LBB94_6
; %bb.5:                                ;   in Loop: Header=BB94_4 Depth=1
	global_load_ushort v14, v[2:3], off
	s_waitcnt vmcnt(0)
	v_lshlrev_b32_e32 v20, 16, v14
.LBB94_6:                               ;   in Loop: Header=BB94_4 Depth=1
	s_or_b64 exec, exec, s[2:3]
	v_lshl_add_u64 v[14:15], v[8:9], 0, s[22:23]
	v_cmp_gt_u64_e64 s[2:3], s[14:15], v[14:15]
	v_mov_b32_e32 v19, 0
	v_mov_b32_e32 v21, 0
	s_and_saveexec_b64 s[4:5], s[2:3]
	s_cbranch_execz .LBB94_8
; %bb.7:                                ;   in Loop: Header=BB94_4 Depth=1
	global_load_ushort v14, v[10:11], off
	s_waitcnt vmcnt(0)
	v_lshlrev_b32_e32 v21, 16, v14
.LBB94_8:                               ;   in Loop: Header=BB94_4 Depth=1
	s_or_b64 exec, exec, s[4:5]
	v_lshl_add_u64 v[14:15], v[6:7], 0, s[22:23]
	v_cmp_gt_u64_e64 s[4:5], s[14:15], v[14:15]
	v_lshl_add_u64 v[14:15], v[2:3], 0, s[16:17]
	s_and_saveexec_b64 s[6:7], s[4:5]
	s_cbranch_execz .LBB94_10
; %bb.9:                                ;   in Loop: Header=BB94_4 Depth=1
	global_load_ushort v16, v[14:15], off
	s_waitcnt vmcnt(0)
	v_lshlrev_b32_e32 v19, 16, v16
.LBB94_10:                              ;   in Loop: Header=BB94_4 Depth=1
	s_or_b64 exec, exec, s[6:7]
	v_lshl_add_u64 v[16:17], v[4:5], 0, s[22:23]
	v_cmp_gt_u64_e64 s[6:7], s[14:15], v[16:17]
	v_mov_b32_e32 v22, 0
	v_lshl_add_u64 v[16:17], v[2:3], 0, s[20:21]
	s_and_saveexec_b64 s[24:25], s[6:7]
	s_cbranch_execnz .LBB94_15
; %bb.11:                               ;   in Loop: Header=BB94_4 Depth=1
	s_or_b64 exec, exec, s[24:25]
	s_and_saveexec_b64 s[24:25], vcc
	s_cbranch_execnz .LBB94_16
.LBB94_12:                              ;   in Loop: Header=BB94_4 Depth=1
	s_or_b64 exec, exec, s[24:25]
	s_and_saveexec_b64 s[24:25], s[2:3]
	s_cbranch_execnz .LBB94_17
.LBB94_13:                              ;   in Loop: Header=BB94_4 Depth=1
	s_or_b64 exec, exec, s[24:25]
	s_and_saveexec_b64 s[2:3], s[4:5]
	s_cbranch_execnz .LBB94_18
.LBB94_14:                              ;   in Loop: Header=BB94_4 Depth=1
	s_or_b64 exec, exec, s[2:3]
	s_and_saveexec_b64 s[2:3], s[6:7]
	s_cbranch_execz .LBB94_3
	s_branch .LBB94_19
.LBB94_15:                              ;   in Loop: Header=BB94_4 Depth=1
	global_load_ushort v22, v[16:17], off
	s_waitcnt vmcnt(0)
	v_lshlrev_b32_e32 v22, 16, v22
	s_or_b64 exec, exec, s[24:25]
	s_and_saveexec_b64 s[24:25], vcc
	s_cbranch_execz .LBB94_12
.LBB94_16:                              ;   in Loop: Header=BB94_4 Depth=1
	v_subrev_f32_e32 v20, s26, v20
	v_bfe_u32 v23, v20, 16, 1
	v_add3_u32 v23, v20, v23, s27
	v_cmp_o_f32_e32 vcc, v20, v20
	s_nop 1
	v_cndmask_b32_sdwa v20, v18, v23, vcc dst_sel:DWORD dst_unused:UNUSED_PAD src0_sel:DWORD src1_sel:WORD_1
	global_store_short v[2:3], v20, off
	s_or_b64 exec, exec, s[24:25]
	s_and_saveexec_b64 s[24:25], s[2:3]
	s_cbranch_execz .LBB94_13
.LBB94_17:                              ;   in Loop: Header=BB94_4 Depth=1
	v_subrev_f32_e32 v20, s26, v21
	v_bfe_u32 v21, v20, 16, 1
	v_add3_u32 v21, v20, v21, s27
	v_cmp_o_f32_e32 vcc, v20, v20
	s_nop 1
	v_cndmask_b32_sdwa v20, v18, v21, vcc dst_sel:DWORD dst_unused:UNUSED_PAD src0_sel:DWORD src1_sel:WORD_1
	global_store_short v[10:11], v20, off
	s_or_b64 exec, exec, s[24:25]
	s_and_saveexec_b64 s[2:3], s[4:5]
	s_cbranch_execz .LBB94_14
.LBB94_18:                              ;   in Loop: Header=BB94_4 Depth=1
	v_subrev_f32_e32 v19, s26, v19
	v_bfe_u32 v20, v19, 16, 1
	v_add3_u32 v20, v19, v20, s27
	v_cmp_o_f32_e32 vcc, v19, v19
	s_nop 1
	v_cndmask_b32_sdwa v19, v18, v20, vcc dst_sel:DWORD dst_unused:UNUSED_PAD src0_sel:DWORD src1_sel:WORD_1
	global_store_short v[14:15], v19, off
	s_or_b64 exec, exec, s[2:3]
	s_and_saveexec_b64 s[2:3], s[6:7]
	s_cbranch_execz .LBB94_3
.LBB94_19:                              ;   in Loop: Header=BB94_4 Depth=1
	v_subrev_f32_e32 v14, s26, v22
	v_bfe_u32 v15, v14, 16, 1
	v_add3_u32 v15, v14, v15, s27
	v_cmp_o_f32_e32 vcc, v14, v14
	s_nop 1
	v_cndmask_b32_sdwa v14, v18, v15, vcc dst_sel:DWORD dst_unused:UNUSED_PAD src0_sel:DWORD src1_sel:WORD_1
	global_store_short v[16:17], v14, off
	s_branch .LBB94_3
.LBB94_20:
	s_cbranch_execz .LBB94_22
	s_branch .LBB94_25
.LBB94_21:
.LBB94_22:
	v_mov_b64_e32 v[4:5], 0x10000
	v_cmp_lt_i64_e32 vcc, s[12:13], v[4:5]
	s_and_b64 s[4:5], vcc, exec
	v_mov_b32_e32 v3, 0
	s_cselect_b32 s5, s13, 0
	s_cselect_b32 s4, s12, 0x10000
	v_lshlrev_b32_e32 v2, 2, v0
	s_mov_b32 s3, 0
	v_cmp_gt_i64_e32 vcc, s[4:5], v[2:3]
	s_and_saveexec_b64 s[6:7], vcc
	s_cbranch_execz .LBB94_25
; %bb.23:
	s_load_dword s0, s[0:1], 0xd3c
	v_lshlrev_b32_e32 v2, 3, v0
	v_mov_b32_e32 v1, v3
	s_mov_b32 s1, s3
	v_mov_b32_e32 v4, 0x7fc00000
	s_waitcnt lgkmcnt(0)
	s_and_b32 s2, s0, 0xffff
	s_add_u32 s6, s8, s10
	s_addc_u32 s7, s9, s11
	s_lshl_b32 s0, s2, 3
	v_lshl_add_u64 v[2:3], s[6:7], 0, v[2:3]
	s_mov_b64 s[6:7], 0
	s_movk_i32 s8, 0x7fff
	v_mov_b32_e32 v5, 0x7fc0
.LBB94_24:                              ; =>This Inner Loop Header: Depth=1
	global_load_dwordx2 v[6:7], v[2:3], off
	v_lshl_add_u64 v[0:1], v[0:1], 0, s[2:3]
	v_lshlrev_b64 v[8:9], 2, v[0:1]
	v_cmp_le_i64_e32 vcc, s[4:5], v[8:9]
	s_or_b64 s[6:7], vcc, s[6:7]
	s_waitcnt vmcnt(0)
	v_lshlrev_b32_e32 v8, 16, v6
	v_and_b32_e32 v9, 0xffff0000, v6
	v_alignbit_b32 v6, v7, v6, 16
	v_and_b32_e32 v7, 0xffff0000, v7
	v_subrev_f32_e32 v7, s26, v7
	v_subrev_f32_e32 v9, s26, v9
	v_bfe_u32 v12, v7, 16, 1
	v_subrev_f32_e32 v8, s26, v8
	v_and_b32_e32 v6, 0xffff0000, v6
	v_bfe_u32 v11, v9, 16, 1
	v_add3_u32 v12, v7, v12, s8
	v_bfe_u32 v10, v8, 16, 1
	v_subrev_f32_e32 v6, s26, v6
	v_add3_u32 v11, v9, v11, s8
	v_and_b32_e32 v12, 0xffff0000, v12
	v_cmp_o_f32_e32 vcc, v7, v7
	v_add3_u32 v10, v8, v10, s8
	v_bfe_u32 v13, v6, 16, 1
	v_and_b32_e32 v11, 0xffff0000, v11
	v_cndmask_b32_e32 v7, v4, v12, vcc
	v_cmp_o_f32_e32 vcc, v9, v9
	v_lshrrev_b32_e32 v10, 16, v10
	v_add3_u32 v13, v6, v13, s8
	v_cndmask_b32_e32 v9, v4, v11, vcc
	v_cmp_o_f32_e32 vcc, v8, v8
	v_lshrrev_b32_e32 v13, 16, v13
	s_nop 0
	v_cndmask_b32_e32 v8, v5, v10, vcc
	v_cmp_o_f32_e32 vcc, v6, v6
	v_or_b32_e32 v8, v8, v9
	s_nop 0
	v_cndmask_b32_e32 v6, v5, v13, vcc
	v_or3_b32 v7, 0, v6, v7
	v_or3_b32 v6, v8, 0, 0
	global_store_dwordx2 v[2:3], v[6:7], off
	v_lshl_add_u64 v[2:3], v[2:3], 0, s[0:1]
	s_andn2_b64 exec, exec, s[6:7]
	s_cbranch_execnz .LBB94_24
.LBB94_25:
	s_endpgm
	.section	.rodata,"a",@progbits
	.p2align	6, 0x0
	.amdhsa_kernel _ZN2at6native12_GLOBAL__N_125multi_tensor_apply_kernelINS1_18TensorListMetadataILi1EEENS1_21BinaryOpScalarFunctorIN3c108BFloat16ELi1ELi1ELi0EEEJSt5minusIfEfEEEvT_T0_DpT1_
		.amdhsa_group_segment_fixed_size 0
		.amdhsa_private_segment_fixed_size 0
		.amdhsa_kernarg_size 3632
		.amdhsa_user_sgpr_count 2
		.amdhsa_user_sgpr_dispatch_ptr 0
		.amdhsa_user_sgpr_queue_ptr 0
		.amdhsa_user_sgpr_kernarg_segment_ptr 1
		.amdhsa_user_sgpr_dispatch_id 0
		.amdhsa_user_sgpr_kernarg_preload_length 0
		.amdhsa_user_sgpr_kernarg_preload_offset 0
		.amdhsa_user_sgpr_private_segment_size 0
		.amdhsa_uses_dynamic_stack 0
		.amdhsa_enable_private_segment 0
		.amdhsa_system_sgpr_workgroup_id_x 1
		.amdhsa_system_sgpr_workgroup_id_y 0
		.amdhsa_system_sgpr_workgroup_id_z 0
		.amdhsa_system_sgpr_workgroup_info 0
		.amdhsa_system_vgpr_workitem_id 0
		.amdhsa_next_free_vgpr 24
		.amdhsa_next_free_sgpr 28
		.amdhsa_accum_offset 24
		.amdhsa_reserve_vcc 1
		.amdhsa_float_round_mode_32 0
		.amdhsa_float_round_mode_16_64 0
		.amdhsa_float_denorm_mode_32 3
		.amdhsa_float_denorm_mode_16_64 3
		.amdhsa_dx10_clamp 1
		.amdhsa_ieee_mode 1
		.amdhsa_fp16_overflow 0
		.amdhsa_tg_split 0
		.amdhsa_exception_fp_ieee_invalid_op 0
		.amdhsa_exception_fp_denorm_src 0
		.amdhsa_exception_fp_ieee_div_zero 0
		.amdhsa_exception_fp_ieee_overflow 0
		.amdhsa_exception_fp_ieee_underflow 0
		.amdhsa_exception_fp_ieee_inexact 0
		.amdhsa_exception_int_div_zero 0
	.end_amdhsa_kernel
	.section	.text._ZN2at6native12_GLOBAL__N_125multi_tensor_apply_kernelINS1_18TensorListMetadataILi1EEENS1_21BinaryOpScalarFunctorIN3c108BFloat16ELi1ELi1ELi0EEEJSt5minusIfEfEEEvT_T0_DpT1_,"axG",@progbits,_ZN2at6native12_GLOBAL__N_125multi_tensor_apply_kernelINS1_18TensorListMetadataILi1EEENS1_21BinaryOpScalarFunctorIN3c108BFloat16ELi1ELi1ELi0EEEJSt5minusIfEfEEEvT_T0_DpT1_,comdat
.Lfunc_end94:
	.size	_ZN2at6native12_GLOBAL__N_125multi_tensor_apply_kernelINS1_18TensorListMetadataILi1EEENS1_21BinaryOpScalarFunctorIN3c108BFloat16ELi1ELi1ELi0EEEJSt5minusIfEfEEEvT_T0_DpT1_, .Lfunc_end94-_ZN2at6native12_GLOBAL__N_125multi_tensor_apply_kernelINS1_18TensorListMetadataILi1EEENS1_21BinaryOpScalarFunctorIN3c108BFloat16ELi1ELi1ELi0EEEJSt5minusIfEfEEEvT_T0_DpT1_
                                        ; -- End function
	.set _ZN2at6native12_GLOBAL__N_125multi_tensor_apply_kernelINS1_18TensorListMetadataILi1EEENS1_21BinaryOpScalarFunctorIN3c108BFloat16ELi1ELi1ELi0EEEJSt5minusIfEfEEEvT_T0_DpT1_.num_vgpr, 24
	.set _ZN2at6native12_GLOBAL__N_125multi_tensor_apply_kernelINS1_18TensorListMetadataILi1EEENS1_21BinaryOpScalarFunctorIN3c108BFloat16ELi1ELi1ELi0EEEJSt5minusIfEfEEEvT_T0_DpT1_.num_agpr, 0
	.set _ZN2at6native12_GLOBAL__N_125multi_tensor_apply_kernelINS1_18TensorListMetadataILi1EEENS1_21BinaryOpScalarFunctorIN3c108BFloat16ELi1ELi1ELi0EEEJSt5minusIfEfEEEvT_T0_DpT1_.numbered_sgpr, 28
	.set _ZN2at6native12_GLOBAL__N_125multi_tensor_apply_kernelINS1_18TensorListMetadataILi1EEENS1_21BinaryOpScalarFunctorIN3c108BFloat16ELi1ELi1ELi0EEEJSt5minusIfEfEEEvT_T0_DpT1_.num_named_barrier, 0
	.set _ZN2at6native12_GLOBAL__N_125multi_tensor_apply_kernelINS1_18TensorListMetadataILi1EEENS1_21BinaryOpScalarFunctorIN3c108BFloat16ELi1ELi1ELi0EEEJSt5minusIfEfEEEvT_T0_DpT1_.private_seg_size, 0
	.set _ZN2at6native12_GLOBAL__N_125multi_tensor_apply_kernelINS1_18TensorListMetadataILi1EEENS1_21BinaryOpScalarFunctorIN3c108BFloat16ELi1ELi1ELi0EEEJSt5minusIfEfEEEvT_T0_DpT1_.uses_vcc, 1
	.set _ZN2at6native12_GLOBAL__N_125multi_tensor_apply_kernelINS1_18TensorListMetadataILi1EEENS1_21BinaryOpScalarFunctorIN3c108BFloat16ELi1ELi1ELi0EEEJSt5minusIfEfEEEvT_T0_DpT1_.uses_flat_scratch, 0
	.set _ZN2at6native12_GLOBAL__N_125multi_tensor_apply_kernelINS1_18TensorListMetadataILi1EEENS1_21BinaryOpScalarFunctorIN3c108BFloat16ELi1ELi1ELi0EEEJSt5minusIfEfEEEvT_T0_DpT1_.has_dyn_sized_stack, 0
	.set _ZN2at6native12_GLOBAL__N_125multi_tensor_apply_kernelINS1_18TensorListMetadataILi1EEENS1_21BinaryOpScalarFunctorIN3c108BFloat16ELi1ELi1ELi0EEEJSt5minusIfEfEEEvT_T0_DpT1_.has_recursion, 0
	.set _ZN2at6native12_GLOBAL__N_125multi_tensor_apply_kernelINS1_18TensorListMetadataILi1EEENS1_21BinaryOpScalarFunctorIN3c108BFloat16ELi1ELi1ELi0EEEJSt5minusIfEfEEEvT_T0_DpT1_.has_indirect_call, 0
	.section	.AMDGPU.csdata,"",@progbits
; Kernel info:
; codeLenInByte = 1268
; TotalNumSgprs: 34
; NumVgprs: 24
; NumAgprs: 0
; TotalNumVgprs: 24
; ScratchSize: 0
; MemoryBound: 0
; FloatMode: 240
; IeeeMode: 1
; LDSByteSize: 0 bytes/workgroup (compile time only)
; SGPRBlocks: 4
; VGPRBlocks: 2
; NumSGPRsForWavesPerEU: 34
; NumVGPRsForWavesPerEU: 24
; AccumOffset: 24
; Occupancy: 8
; WaveLimiterHint : 0
; COMPUTE_PGM_RSRC2:SCRATCH_EN: 0
; COMPUTE_PGM_RSRC2:USER_SGPR: 2
; COMPUTE_PGM_RSRC2:TRAP_HANDLER: 0
; COMPUTE_PGM_RSRC2:TGID_X_EN: 1
; COMPUTE_PGM_RSRC2:TGID_Y_EN: 0
; COMPUTE_PGM_RSRC2:TGID_Z_EN: 0
; COMPUTE_PGM_RSRC2:TIDIG_COMP_CNT: 0
; COMPUTE_PGM_RSRC3_GFX90A:ACCUM_OFFSET: 5
; COMPUTE_PGM_RSRC3_GFX90A:TG_SPLIT: 0
	.section	.text._ZN2at6native12_GLOBAL__N_125multi_tensor_apply_kernelINS1_18TensorListMetadataILi2EEENS1_21BinaryOpScalarFunctorIhLi2ELi1ELi1EEEJSt5minusIhEhEEEvT_T0_DpT1_,"axG",@progbits,_ZN2at6native12_GLOBAL__N_125multi_tensor_apply_kernelINS1_18TensorListMetadataILi2EEENS1_21BinaryOpScalarFunctorIhLi2ELi1ELi1EEEJSt5minusIhEhEEEvT_T0_DpT1_,comdat
	.globl	_ZN2at6native12_GLOBAL__N_125multi_tensor_apply_kernelINS1_18TensorListMetadataILi2EEENS1_21BinaryOpScalarFunctorIhLi2ELi1ELi1EEEJSt5minusIhEhEEEvT_T0_DpT1_ ; -- Begin function _ZN2at6native12_GLOBAL__N_125multi_tensor_apply_kernelINS1_18TensorListMetadataILi2EEENS1_21BinaryOpScalarFunctorIhLi2ELi1ELi1EEEJSt5minusIhEhEEEvT_T0_DpT1_
	.p2align	8
	.type	_ZN2at6native12_GLOBAL__N_125multi_tensor_apply_kernelINS1_18TensorListMetadataILi2EEENS1_21BinaryOpScalarFunctorIhLi2ELi1ELi1EEEJSt5minusIhEhEEEvT_T0_DpT1_,@function
_ZN2at6native12_GLOBAL__N_125multi_tensor_apply_kernelINS1_18TensorListMetadataILi2EEENS1_21BinaryOpScalarFunctorIhLi2ELi1ELi1EEEJSt5minusIhEhEEEvT_T0_DpT1_: ; @_ZN2at6native12_GLOBAL__N_125multi_tensor_apply_kernelINS1_18TensorListMetadataILi2EEENS1_21BinaryOpScalarFunctorIhLi2ELi1ELi1EEEJSt5minusIhEhEEEvT_T0_DpT1_
; %bb.0:
	v_mov_b32_e32 v1, s2
	global_load_ubyte v1, v1, s[0:1] offset:1536
	s_add_u32 s3, s0, s2
	s_mul_hi_u32 s4, s2, 3
	s_mul_i32 s2, s2, 3
	s_addc_u32 s5, s1, 0
	s_add_u32 s2, s3, s2
	s_addc_u32 s3, s5, s4
	s_load_dword s2, s[2:3], 0x740
	s_waitcnt lgkmcnt(0)
	s_ashr_i32 s3, s2, 31
	s_lshl_b64 s[12:13], s[2:3], 16
	s_waitcnt vmcnt(0)
	v_readfirstlane_b32 s4, v1
	s_lshl_b32 s6, s4, 3
	s_load_dwordx2 s[8:9], s[0:1], s6 offset:0x0
	s_load_dwordx2 s[4:5], s[0:1], s6 offset:0x400
	s_load_dword s22, s[0:1], 0xc48
	s_load_dwordx2 s[10:11], s[0:1], s6 offset:0x200
	s_waitcnt lgkmcnt(0)
	s_add_u32 s2, s8, s12
	s_sub_u32 s14, s4, s12
	s_subb_u32 s15, s5, s13
	s_or_b32 s3, s4, s10
	s_or_b32 s2, s3, s2
	s_and_b32 s2, s2, 3
	s_cmp_eq_u32 s2, 0
	s_mov_b64 s[2:3], -1
	s_cbranch_scc1 .LBB95_21
; %bb.1:
	v_cmp_lt_i64_e64 s[2:3], s[14:15], 1
	s_and_b64 vcc, exec, s[2:3]
	s_cbranch_vccnz .LBB95_20
; %bb.2:
	s_load_dword s2, s[0:1], 0xc5c
	v_mov_b64_e32 v[2:3], 0x10000
	v_cmp_lt_i64_e32 vcc, s[14:15], v[2:3]
	s_and_b64 s[4:5], vcc, exec
	s_cselect_b32 s5, s15, 0
	s_cselect_b32 s4, s14, 0x10000
	s_waitcnt lgkmcnt(0)
	s_and_b32 s2, s2, 0xffff
	v_cmp_lt_u64_e32 vcc, s[14:15], v[2:3]
	s_and_b64 s[6:7], vcc, exec
	s_cselect_b32 s17, s15, 0
	s_cselect_b32 s16, s14, 0x10000
	s_lshl_b32 s6, s2, 1
	s_mul_i32 s18, s2, 3
	s_lshl_b32 s23, s2, 2
	s_mov_b32 s3, 0
	s_add_u32 s20, s12, s18
	v_mov_b32_e32 v1, 0
	s_mov_b32 s19, s3
	s_addc_u32 s21, s13, 0
	v_lshl_add_u64 v[10:11], s[18:19], 0, v[0:1]
	s_add_u32 s18, s12, s6
	v_lshl_add_u64 v[18:19], s[12:13], 0, v[0:1]
	s_addc_u32 s19, s13, 0
	s_mov_b32 s7, s3
	v_lshl_add_u64 v[8:9], s[20:21], 0, v[0:1]
	v_lshl_add_u64 v[14:15], s[18:19], 0, v[0:1]
	;; [unrolled: 1-line block ×13, first 2 shown]
	s_mov_b64 s[18:19], 0
	s_lshr_b32 s24, s22, 16
	v_mov_b64_e32 v[24:25], s[4:5]
	s_branch .LBB95_4
.LBB95_3:                               ;   in Loop: Header=BB95_4 Depth=1
	s_or_b64 exec, exec, s[2:3]
	s_add_u32 s18, s18, s23
	s_addc_u32 s19, s19, 0
	v_cmp_lt_i64_e32 vcc, s[18:19], v[24:25]
	s_cbranch_vccz .LBB95_20
.LBB95_4:                               ; =>This Inner Loop Header: Depth=1
	s_waitcnt vmcnt(0)
	v_lshl_add_u64 v[26:27], v[0:1], 0, s[18:19]
	v_cmp_gt_u64_e32 vcc, s[16:17], v[26:27]
	v_mov_b32_e32 v27, 0
	s_and_saveexec_b64 s[2:3], vcc
	s_cbranch_execz .LBB95_6
; %bb.5:                                ;   in Loop: Header=BB95_4 Depth=1
	v_lshl_add_u64 v[26:27], v[2:3], 0, s[18:19]
	global_load_ubyte v27, v[26:27], off
.LBB95_6:                               ;   in Loop: Header=BB95_4 Depth=1
	s_or_b64 exec, exec, s[2:3]
	v_lshl_add_u64 v[28:29], v[22:23], 0, s[18:19]
	v_cmp_gt_u64_e64 s[2:3], s[16:17], v[28:29]
	v_mov_b32_e32 v26, 0
	v_mov_b32_e32 v28, 0
	s_and_saveexec_b64 s[4:5], s[2:3]
	s_cbranch_execz .LBB95_8
; %bb.7:                                ;   in Loop: Header=BB95_4 Depth=1
	v_lshl_add_u64 v[28:29], v[18:19], 0, s[18:19]
	global_load_ubyte v28, v[28:29], off
.LBB95_8:                               ;   in Loop: Header=BB95_4 Depth=1
	s_or_b64 exec, exec, s[4:5]
	v_lshl_add_u64 v[30:31], v[16:17], 0, s[18:19]
	v_cmp_gt_u64_e64 s[4:5], s[16:17], v[30:31]
	s_and_saveexec_b64 s[6:7], s[4:5]
	s_cbranch_execz .LBB95_10
; %bb.9:                                ;   in Loop: Header=BB95_4 Depth=1
	v_lshl_add_u64 v[30:31], v[12:13], 0, s[18:19]
	global_load_ubyte v26, v[30:31], off
.LBB95_10:                              ;   in Loop: Header=BB95_4 Depth=1
	s_or_b64 exec, exec, s[6:7]
	v_lshl_add_u64 v[30:31], v[10:11], 0, s[18:19]
	v_cmp_gt_u64_e64 s[6:7], s[16:17], v[30:31]
	v_mov_b32_e32 v29, 0
	s_and_saveexec_b64 s[20:21], s[6:7]
	s_cbranch_execnz .LBB95_15
; %bb.11:                               ;   in Loop: Header=BB95_4 Depth=1
	s_or_b64 exec, exec, s[20:21]
	s_and_saveexec_b64 s[20:21], vcc
	s_cbranch_execnz .LBB95_16
.LBB95_12:                              ;   in Loop: Header=BB95_4 Depth=1
	s_or_b64 exec, exec, s[20:21]
	s_and_saveexec_b64 s[20:21], s[2:3]
	s_cbranch_execnz .LBB95_17
.LBB95_13:                              ;   in Loop: Header=BB95_4 Depth=1
	s_or_b64 exec, exec, s[20:21]
	s_and_saveexec_b64 s[2:3], s[4:5]
	s_cbranch_execnz .LBB95_18
.LBB95_14:                              ;   in Loop: Header=BB95_4 Depth=1
	s_or_b64 exec, exec, s[2:3]
	s_and_saveexec_b64 s[2:3], s[6:7]
	s_cbranch_execz .LBB95_3
	s_branch .LBB95_19
.LBB95_15:                              ;   in Loop: Header=BB95_4 Depth=1
	v_lshl_add_u64 v[30:31], v[6:7], 0, s[18:19]
	global_load_ubyte v29, v[30:31], off
	s_or_b64 exec, exec, s[20:21]
	s_and_saveexec_b64 s[20:21], vcc
	s_cbranch_execz .LBB95_12
.LBB95_16:                              ;   in Loop: Header=BB95_4 Depth=1
	s_waitcnt vmcnt(0)
	v_subrev_u16_e32 v27, s24, v27
	v_lshl_add_u64 v[30:31], v[4:5], 0, s[18:19]
	global_store_byte v[30:31], v27, off
	s_or_b64 exec, exec, s[20:21]
	s_and_saveexec_b64 s[20:21], s[2:3]
	s_cbranch_execz .LBB95_13
.LBB95_17:                              ;   in Loop: Header=BB95_4 Depth=1
	s_waitcnt vmcnt(0)
	v_subrev_u16_e32 v27, s24, v28
	v_lshl_add_u64 v[30:31], v[20:21], 0, s[18:19]
	global_store_byte v[30:31], v27, off
	s_or_b64 exec, exec, s[20:21]
	s_and_saveexec_b64 s[2:3], s[4:5]
	s_cbranch_execz .LBB95_14
.LBB95_18:                              ;   in Loop: Header=BB95_4 Depth=1
	s_waitcnt vmcnt(0)
	v_subrev_u16_e32 v28, s24, v26
	v_lshl_add_u64 v[26:27], v[14:15], 0, s[18:19]
	global_store_byte v[26:27], v28, off
	s_or_b64 exec, exec, s[2:3]
	s_and_saveexec_b64 s[2:3], s[6:7]
	s_cbranch_execz .LBB95_3
.LBB95_19:                              ;   in Loop: Header=BB95_4 Depth=1
	s_waitcnt vmcnt(0)
	v_subrev_u16_e32 v28, s24, v29
	v_lshl_add_u64 v[26:27], v[8:9], 0, s[18:19]
	global_store_byte v[26:27], v28, off
	s_branch .LBB95_3
.LBB95_20:
	s_mov_b64 s[2:3], 0
.LBB95_21:
	s_andn2_b64 vcc, exec, s[2:3]
	s_cbranch_vccnz .LBB95_25
; %bb.22:
	v_mov_b64_e32 v[4:5], 0x10000
	v_cmp_lt_i64_e32 vcc, s[14:15], v[4:5]
	s_and_b64 s[4:5], vcc, exec
	v_mov_b32_e32 v3, 0
	s_cselect_b32 s5, s15, 0
	s_cselect_b32 s4, s14, 0x10000
	v_lshlrev_b32_e32 v2, 2, v0
	s_mov_b32 s3, 0
	v_cmp_gt_i64_e32 vcc, s[4:5], v[2:3]
	s_and_saveexec_b64 s[6:7], vcc
	s_cbranch_execz .LBB95_25
; %bb.23:
	s_load_dword s0, s[0:1], 0xc5c
	v_mov_b32_e32 v1, v3
	v_lshl_add_u64 v[2:3], s[12:13], 0, v[2:3]
	s_mov_b32 s1, s3
	s_mov_b64 s[6:7], 0
	s_waitcnt lgkmcnt(0)
	s_and_b32 s2, s0, 0xffff
	s_lshl_b32 s0, s2, 2
	s_lshr_b32 s12, s22, 16
	s_movk_i32 s13, 0xff
.LBB95_24:                              ; =>This Inner Loop Header: Depth=1
	v_lshl_add_u64 v[4:5], s[8:9], 0, v[2:3]
	global_load_dword v8, v[4:5], off
	v_lshl_add_u64 v[0:1], v[0:1], 0, s[2:3]
	v_lshlrev_b64 v[6:7], 2, v[0:1]
	v_cmp_le_i64_e32 vcc, s[4:5], v[6:7]
	v_lshl_add_u64 v[4:5], s[10:11], 0, v[2:3]
	v_lshl_add_u64 v[2:3], v[2:3], 0, s[0:1]
	s_or_b64 s[6:7], vcc, s[6:7]
	s_waitcnt vmcnt(0)
	v_subrev_u16_e32 v6, s12, v8
	v_lshrrev_b32_e32 v7, 8, v8
	v_sub_u16_sdwa v9, v8, s12 dst_sel:DWORD dst_unused:UNUSED_PAD src0_sel:WORD_1 src1_sel:DWORD
	v_sub_u16_sdwa v8, v8, s12 dst_sel:BYTE_1 dst_unused:UNUSED_PAD src0_sel:BYTE_3 src1_sel:DWORD
	v_sub_u16_sdwa v7, v7, s12 dst_sel:BYTE_1 dst_unused:UNUSED_PAD src0_sel:DWORD src1_sel:DWORD
	v_bitop3_b16 v8, v9, v8, s13 bitop3:0xec
	v_bitop3_b16 v6, v6, v7, s13 bitop3:0xec
	v_lshlrev_b32_e32 v7, 16, v8
	v_or_b32_sdwa v6, v6, v7 dst_sel:DWORD dst_unused:UNUSED_PAD src0_sel:WORD_0 src1_sel:DWORD
	global_store_dword v[4:5], v6, off
	s_andn2_b64 exec, exec, s[6:7]
	s_cbranch_execnz .LBB95_24
.LBB95_25:
	s_endpgm
	.section	.rodata,"a",@progbits
	.p2align	6, 0x0
	.amdhsa_kernel _ZN2at6native12_GLOBAL__N_125multi_tensor_apply_kernelINS1_18TensorListMetadataILi2EEENS1_21BinaryOpScalarFunctorIhLi2ELi1ELi1EEEJSt5minusIhEhEEEvT_T0_DpT1_
		.amdhsa_group_segment_fixed_size 0
		.amdhsa_private_segment_fixed_size 0
		.amdhsa_kernarg_size 3408
		.amdhsa_user_sgpr_count 2
		.amdhsa_user_sgpr_dispatch_ptr 0
		.amdhsa_user_sgpr_queue_ptr 0
		.amdhsa_user_sgpr_kernarg_segment_ptr 1
		.amdhsa_user_sgpr_dispatch_id 0
		.amdhsa_user_sgpr_kernarg_preload_length 0
		.amdhsa_user_sgpr_kernarg_preload_offset 0
		.amdhsa_user_sgpr_private_segment_size 0
		.amdhsa_uses_dynamic_stack 0
		.amdhsa_enable_private_segment 0
		.amdhsa_system_sgpr_workgroup_id_x 1
		.amdhsa_system_sgpr_workgroup_id_y 0
		.amdhsa_system_sgpr_workgroup_id_z 0
		.amdhsa_system_sgpr_workgroup_info 0
		.amdhsa_system_vgpr_workitem_id 0
		.amdhsa_next_free_vgpr 32
		.amdhsa_next_free_sgpr 25
		.amdhsa_accum_offset 32
		.amdhsa_reserve_vcc 1
		.amdhsa_float_round_mode_32 0
		.amdhsa_float_round_mode_16_64 0
		.amdhsa_float_denorm_mode_32 3
		.amdhsa_float_denorm_mode_16_64 3
		.amdhsa_dx10_clamp 1
		.amdhsa_ieee_mode 1
		.amdhsa_fp16_overflow 0
		.amdhsa_tg_split 0
		.amdhsa_exception_fp_ieee_invalid_op 0
		.amdhsa_exception_fp_denorm_src 0
		.amdhsa_exception_fp_ieee_div_zero 0
		.amdhsa_exception_fp_ieee_overflow 0
		.amdhsa_exception_fp_ieee_underflow 0
		.amdhsa_exception_fp_ieee_inexact 0
		.amdhsa_exception_int_div_zero 0
	.end_amdhsa_kernel
	.section	.text._ZN2at6native12_GLOBAL__N_125multi_tensor_apply_kernelINS1_18TensorListMetadataILi2EEENS1_21BinaryOpScalarFunctorIhLi2ELi1ELi1EEEJSt5minusIhEhEEEvT_T0_DpT1_,"axG",@progbits,_ZN2at6native12_GLOBAL__N_125multi_tensor_apply_kernelINS1_18TensorListMetadataILi2EEENS1_21BinaryOpScalarFunctorIhLi2ELi1ELi1EEEJSt5minusIhEhEEEvT_T0_DpT1_,comdat
.Lfunc_end95:
	.size	_ZN2at6native12_GLOBAL__N_125multi_tensor_apply_kernelINS1_18TensorListMetadataILi2EEENS1_21BinaryOpScalarFunctorIhLi2ELi1ELi1EEEJSt5minusIhEhEEEvT_T0_DpT1_, .Lfunc_end95-_ZN2at6native12_GLOBAL__N_125multi_tensor_apply_kernelINS1_18TensorListMetadataILi2EEENS1_21BinaryOpScalarFunctorIhLi2ELi1ELi1EEEJSt5minusIhEhEEEvT_T0_DpT1_
                                        ; -- End function
	.set _ZN2at6native12_GLOBAL__N_125multi_tensor_apply_kernelINS1_18TensorListMetadataILi2EEENS1_21BinaryOpScalarFunctorIhLi2ELi1ELi1EEEJSt5minusIhEhEEEvT_T0_DpT1_.num_vgpr, 32
	.set _ZN2at6native12_GLOBAL__N_125multi_tensor_apply_kernelINS1_18TensorListMetadataILi2EEENS1_21BinaryOpScalarFunctorIhLi2ELi1ELi1EEEJSt5minusIhEhEEEvT_T0_DpT1_.num_agpr, 0
	.set _ZN2at6native12_GLOBAL__N_125multi_tensor_apply_kernelINS1_18TensorListMetadataILi2EEENS1_21BinaryOpScalarFunctorIhLi2ELi1ELi1EEEJSt5minusIhEhEEEvT_T0_DpT1_.numbered_sgpr, 25
	.set _ZN2at6native12_GLOBAL__N_125multi_tensor_apply_kernelINS1_18TensorListMetadataILi2EEENS1_21BinaryOpScalarFunctorIhLi2ELi1ELi1EEEJSt5minusIhEhEEEvT_T0_DpT1_.num_named_barrier, 0
	.set _ZN2at6native12_GLOBAL__N_125multi_tensor_apply_kernelINS1_18TensorListMetadataILi2EEENS1_21BinaryOpScalarFunctorIhLi2ELi1ELi1EEEJSt5minusIhEhEEEvT_T0_DpT1_.private_seg_size, 0
	.set _ZN2at6native12_GLOBAL__N_125multi_tensor_apply_kernelINS1_18TensorListMetadataILi2EEENS1_21BinaryOpScalarFunctorIhLi2ELi1ELi1EEEJSt5minusIhEhEEEvT_T0_DpT1_.uses_vcc, 1
	.set _ZN2at6native12_GLOBAL__N_125multi_tensor_apply_kernelINS1_18TensorListMetadataILi2EEENS1_21BinaryOpScalarFunctorIhLi2ELi1ELi1EEEJSt5minusIhEhEEEvT_T0_DpT1_.uses_flat_scratch, 0
	.set _ZN2at6native12_GLOBAL__N_125multi_tensor_apply_kernelINS1_18TensorListMetadataILi2EEENS1_21BinaryOpScalarFunctorIhLi2ELi1ELi1EEEJSt5minusIhEhEEEvT_T0_DpT1_.has_dyn_sized_stack, 0
	.set _ZN2at6native12_GLOBAL__N_125multi_tensor_apply_kernelINS1_18TensorListMetadataILi2EEENS1_21BinaryOpScalarFunctorIhLi2ELi1ELi1EEEJSt5minusIhEhEEEvT_T0_DpT1_.has_recursion, 0
	.set _ZN2at6native12_GLOBAL__N_125multi_tensor_apply_kernelINS1_18TensorListMetadataILi2EEENS1_21BinaryOpScalarFunctorIhLi2ELi1ELi1EEEJSt5minusIhEhEEEvT_T0_DpT1_.has_indirect_call, 0
	.section	.AMDGPU.csdata,"",@progbits
; Kernel info:
; codeLenInByte = 1068
; TotalNumSgprs: 31
; NumVgprs: 32
; NumAgprs: 0
; TotalNumVgprs: 32
; ScratchSize: 0
; MemoryBound: 0
; FloatMode: 240
; IeeeMode: 1
; LDSByteSize: 0 bytes/workgroup (compile time only)
; SGPRBlocks: 3
; VGPRBlocks: 3
; NumSGPRsForWavesPerEU: 31
; NumVGPRsForWavesPerEU: 32
; AccumOffset: 32
; Occupancy: 8
; WaveLimiterHint : 0
; COMPUTE_PGM_RSRC2:SCRATCH_EN: 0
; COMPUTE_PGM_RSRC2:USER_SGPR: 2
; COMPUTE_PGM_RSRC2:TRAP_HANDLER: 0
; COMPUTE_PGM_RSRC2:TGID_X_EN: 1
; COMPUTE_PGM_RSRC2:TGID_Y_EN: 0
; COMPUTE_PGM_RSRC2:TGID_Z_EN: 0
; COMPUTE_PGM_RSRC2:TIDIG_COMP_CNT: 0
; COMPUTE_PGM_RSRC3_GFX90A:ACCUM_OFFSET: 7
; COMPUTE_PGM_RSRC3_GFX90A:TG_SPLIT: 0
	.section	.text._ZN2at6native12_GLOBAL__N_125multi_tensor_apply_kernelINS1_18TensorListMetadataILi2EEENS1_21BinaryOpScalarFunctorIaLi2ELi1ELi1EEEJSt5minusIaEaEEEvT_T0_DpT1_,"axG",@progbits,_ZN2at6native12_GLOBAL__N_125multi_tensor_apply_kernelINS1_18TensorListMetadataILi2EEENS1_21BinaryOpScalarFunctorIaLi2ELi1ELi1EEEJSt5minusIaEaEEEvT_T0_DpT1_,comdat
	.globl	_ZN2at6native12_GLOBAL__N_125multi_tensor_apply_kernelINS1_18TensorListMetadataILi2EEENS1_21BinaryOpScalarFunctorIaLi2ELi1ELi1EEEJSt5minusIaEaEEEvT_T0_DpT1_ ; -- Begin function _ZN2at6native12_GLOBAL__N_125multi_tensor_apply_kernelINS1_18TensorListMetadataILi2EEENS1_21BinaryOpScalarFunctorIaLi2ELi1ELi1EEEJSt5minusIaEaEEEvT_T0_DpT1_
	.p2align	8
	.type	_ZN2at6native12_GLOBAL__N_125multi_tensor_apply_kernelINS1_18TensorListMetadataILi2EEENS1_21BinaryOpScalarFunctorIaLi2ELi1ELi1EEEJSt5minusIaEaEEEvT_T0_DpT1_,@function
_ZN2at6native12_GLOBAL__N_125multi_tensor_apply_kernelINS1_18TensorListMetadataILi2EEENS1_21BinaryOpScalarFunctorIaLi2ELi1ELi1EEEJSt5minusIaEaEEEvT_T0_DpT1_: ; @_ZN2at6native12_GLOBAL__N_125multi_tensor_apply_kernelINS1_18TensorListMetadataILi2EEENS1_21BinaryOpScalarFunctorIaLi2ELi1ELi1EEEJSt5minusIaEaEEEvT_T0_DpT1_
; %bb.0:
	v_mov_b32_e32 v1, s2
	global_load_ubyte v1, v1, s[0:1] offset:1536
	s_add_u32 s3, s0, s2
	s_mul_hi_u32 s4, s2, 3
	s_mul_i32 s2, s2, 3
	s_addc_u32 s5, s1, 0
	s_add_u32 s2, s3, s2
	s_addc_u32 s3, s5, s4
	s_load_dword s2, s[2:3], 0x740
	s_waitcnt lgkmcnt(0)
	s_ashr_i32 s3, s2, 31
	s_lshl_b64 s[12:13], s[2:3], 16
	s_waitcnt vmcnt(0)
	v_readfirstlane_b32 s4, v1
	s_lshl_b32 s6, s4, 3
	s_load_dwordx2 s[8:9], s[0:1], s6 offset:0x0
	s_load_dwordx2 s[4:5], s[0:1], s6 offset:0x400
	s_load_dword s22, s[0:1], 0xc48
	s_load_dwordx2 s[10:11], s[0:1], s6 offset:0x200
	s_waitcnt lgkmcnt(0)
	s_add_u32 s2, s8, s12
	s_sub_u32 s14, s4, s12
	s_subb_u32 s15, s5, s13
	s_or_b32 s3, s4, s10
	s_or_b32 s2, s3, s2
	s_and_b32 s2, s2, 3
	s_cmp_eq_u32 s2, 0
	s_mov_b64 s[2:3], -1
	s_cbranch_scc1 .LBB96_21
; %bb.1:
	v_cmp_lt_i64_e64 s[2:3], s[14:15], 1
	s_and_b64 vcc, exec, s[2:3]
	s_cbranch_vccnz .LBB96_20
; %bb.2:
	s_load_dword s2, s[0:1], 0xc5c
	v_mov_b64_e32 v[2:3], 0x10000
	v_cmp_lt_i64_e32 vcc, s[14:15], v[2:3]
	s_and_b64 s[4:5], vcc, exec
	s_cselect_b32 s5, s15, 0
	s_cselect_b32 s4, s14, 0x10000
	s_waitcnt lgkmcnt(0)
	s_and_b32 s2, s2, 0xffff
	v_cmp_lt_u64_e32 vcc, s[14:15], v[2:3]
	s_and_b64 s[6:7], vcc, exec
	s_cselect_b32 s17, s15, 0
	s_cselect_b32 s16, s14, 0x10000
	s_lshl_b32 s6, s2, 1
	s_mul_i32 s18, s2, 3
	s_lshl_b32 s23, s2, 2
	s_mov_b32 s3, 0
	s_add_u32 s20, s12, s18
	v_mov_b32_e32 v1, 0
	s_mov_b32 s19, s3
	s_addc_u32 s21, s13, 0
	v_lshl_add_u64 v[10:11], s[18:19], 0, v[0:1]
	s_add_u32 s18, s12, s6
	v_lshl_add_u64 v[18:19], s[12:13], 0, v[0:1]
	s_addc_u32 s19, s13, 0
	s_mov_b32 s7, s3
	v_lshl_add_u64 v[8:9], s[20:21], 0, v[0:1]
	v_lshl_add_u64 v[14:15], s[18:19], 0, v[0:1]
	;; [unrolled: 1-line block ×13, first 2 shown]
	s_mov_b64 s[18:19], 0
	s_lshr_b32 s24, s22, 16
	v_mov_b64_e32 v[24:25], s[4:5]
	s_branch .LBB96_4
.LBB96_3:                               ;   in Loop: Header=BB96_4 Depth=1
	s_or_b64 exec, exec, s[2:3]
	s_add_u32 s18, s18, s23
	s_addc_u32 s19, s19, 0
	v_cmp_lt_i64_e32 vcc, s[18:19], v[24:25]
	s_cbranch_vccz .LBB96_20
.LBB96_4:                               ; =>This Inner Loop Header: Depth=1
	s_waitcnt vmcnt(0)
	v_lshl_add_u64 v[26:27], v[0:1], 0, s[18:19]
	v_cmp_gt_u64_e32 vcc, s[16:17], v[26:27]
	v_mov_b32_e32 v27, 0
	s_and_saveexec_b64 s[2:3], vcc
	s_cbranch_execz .LBB96_6
; %bb.5:                                ;   in Loop: Header=BB96_4 Depth=1
	v_lshl_add_u64 v[26:27], v[2:3], 0, s[18:19]
	global_load_ubyte v27, v[26:27], off
.LBB96_6:                               ;   in Loop: Header=BB96_4 Depth=1
	s_or_b64 exec, exec, s[2:3]
	v_lshl_add_u64 v[28:29], v[22:23], 0, s[18:19]
	v_cmp_gt_u64_e64 s[2:3], s[16:17], v[28:29]
	v_mov_b32_e32 v26, 0
	v_mov_b32_e32 v28, 0
	s_and_saveexec_b64 s[4:5], s[2:3]
	s_cbranch_execz .LBB96_8
; %bb.7:                                ;   in Loop: Header=BB96_4 Depth=1
	v_lshl_add_u64 v[28:29], v[18:19], 0, s[18:19]
	global_load_ubyte v28, v[28:29], off
.LBB96_8:                               ;   in Loop: Header=BB96_4 Depth=1
	s_or_b64 exec, exec, s[4:5]
	v_lshl_add_u64 v[30:31], v[16:17], 0, s[18:19]
	v_cmp_gt_u64_e64 s[4:5], s[16:17], v[30:31]
	s_and_saveexec_b64 s[6:7], s[4:5]
	s_cbranch_execz .LBB96_10
; %bb.9:                                ;   in Loop: Header=BB96_4 Depth=1
	v_lshl_add_u64 v[30:31], v[12:13], 0, s[18:19]
	global_load_ubyte v26, v[30:31], off
.LBB96_10:                              ;   in Loop: Header=BB96_4 Depth=1
	s_or_b64 exec, exec, s[6:7]
	v_lshl_add_u64 v[30:31], v[10:11], 0, s[18:19]
	v_cmp_gt_u64_e64 s[6:7], s[16:17], v[30:31]
	v_mov_b32_e32 v29, 0
	s_and_saveexec_b64 s[20:21], s[6:7]
	s_cbranch_execnz .LBB96_15
; %bb.11:                               ;   in Loop: Header=BB96_4 Depth=1
	s_or_b64 exec, exec, s[20:21]
	s_and_saveexec_b64 s[20:21], vcc
	s_cbranch_execnz .LBB96_16
.LBB96_12:                              ;   in Loop: Header=BB96_4 Depth=1
	s_or_b64 exec, exec, s[20:21]
	s_and_saveexec_b64 s[20:21], s[2:3]
	s_cbranch_execnz .LBB96_17
.LBB96_13:                              ;   in Loop: Header=BB96_4 Depth=1
	s_or_b64 exec, exec, s[20:21]
	s_and_saveexec_b64 s[2:3], s[4:5]
	s_cbranch_execnz .LBB96_18
.LBB96_14:                              ;   in Loop: Header=BB96_4 Depth=1
	s_or_b64 exec, exec, s[2:3]
	s_and_saveexec_b64 s[2:3], s[6:7]
	s_cbranch_execz .LBB96_3
	s_branch .LBB96_19
.LBB96_15:                              ;   in Loop: Header=BB96_4 Depth=1
	v_lshl_add_u64 v[30:31], v[6:7], 0, s[18:19]
	global_load_ubyte v29, v[30:31], off
	s_or_b64 exec, exec, s[20:21]
	s_and_saveexec_b64 s[20:21], vcc
	s_cbranch_execz .LBB96_12
.LBB96_16:                              ;   in Loop: Header=BB96_4 Depth=1
	s_waitcnt vmcnt(0)
	v_subrev_u16_e32 v27, s24, v27
	v_lshl_add_u64 v[30:31], v[4:5], 0, s[18:19]
	global_store_byte v[30:31], v27, off
	s_or_b64 exec, exec, s[20:21]
	s_and_saveexec_b64 s[20:21], s[2:3]
	s_cbranch_execz .LBB96_13
.LBB96_17:                              ;   in Loop: Header=BB96_4 Depth=1
	s_waitcnt vmcnt(0)
	v_subrev_u16_e32 v27, s24, v28
	v_lshl_add_u64 v[30:31], v[20:21], 0, s[18:19]
	global_store_byte v[30:31], v27, off
	s_or_b64 exec, exec, s[20:21]
	s_and_saveexec_b64 s[2:3], s[4:5]
	s_cbranch_execz .LBB96_14
.LBB96_18:                              ;   in Loop: Header=BB96_4 Depth=1
	s_waitcnt vmcnt(0)
	v_subrev_u16_e32 v28, s24, v26
	v_lshl_add_u64 v[26:27], v[14:15], 0, s[18:19]
	global_store_byte v[26:27], v28, off
	s_or_b64 exec, exec, s[2:3]
	s_and_saveexec_b64 s[2:3], s[6:7]
	s_cbranch_execz .LBB96_3
.LBB96_19:                              ;   in Loop: Header=BB96_4 Depth=1
	s_waitcnt vmcnt(0)
	v_subrev_u16_e32 v28, s24, v29
	v_lshl_add_u64 v[26:27], v[8:9], 0, s[18:19]
	global_store_byte v[26:27], v28, off
	s_branch .LBB96_3
.LBB96_20:
	s_mov_b64 s[2:3], 0
.LBB96_21:
	s_andn2_b64 vcc, exec, s[2:3]
	s_cbranch_vccnz .LBB96_25
; %bb.22:
	v_mov_b64_e32 v[4:5], 0x10000
	v_cmp_lt_i64_e32 vcc, s[14:15], v[4:5]
	s_and_b64 s[4:5], vcc, exec
	v_mov_b32_e32 v3, 0
	s_cselect_b32 s5, s15, 0
	s_cselect_b32 s4, s14, 0x10000
	v_lshlrev_b32_e32 v2, 2, v0
	s_mov_b32 s3, 0
	v_cmp_gt_i64_e32 vcc, s[4:5], v[2:3]
	s_and_saveexec_b64 s[6:7], vcc
	s_cbranch_execz .LBB96_25
; %bb.23:
	s_load_dword s0, s[0:1], 0xc5c
	v_mov_b32_e32 v1, v3
	v_lshl_add_u64 v[2:3], s[12:13], 0, v[2:3]
	s_mov_b32 s1, s3
	s_mov_b64 s[6:7], 0
	s_waitcnt lgkmcnt(0)
	s_and_b32 s2, s0, 0xffff
	s_lshl_b32 s0, s2, 2
	s_lshr_b32 s12, s22, 16
	s_movk_i32 s13, 0xff
.LBB96_24:                              ; =>This Inner Loop Header: Depth=1
	v_lshl_add_u64 v[4:5], s[8:9], 0, v[2:3]
	global_load_dword v8, v[4:5], off
	v_lshl_add_u64 v[0:1], v[0:1], 0, s[2:3]
	v_lshlrev_b64 v[6:7], 2, v[0:1]
	v_cmp_le_i64_e32 vcc, s[4:5], v[6:7]
	v_lshl_add_u64 v[4:5], s[10:11], 0, v[2:3]
	v_lshl_add_u64 v[2:3], v[2:3], 0, s[0:1]
	s_or_b64 s[6:7], vcc, s[6:7]
	s_waitcnt vmcnt(0)
	v_subrev_u16_e32 v6, s12, v8
	v_lshrrev_b32_e32 v7, 8, v8
	v_sub_u16_sdwa v9, v8, s12 dst_sel:DWORD dst_unused:UNUSED_PAD src0_sel:WORD_1 src1_sel:DWORD
	v_sub_u16_sdwa v8, v8, s12 dst_sel:BYTE_1 dst_unused:UNUSED_PAD src0_sel:BYTE_3 src1_sel:DWORD
	v_sub_u16_sdwa v7, v7, s12 dst_sel:BYTE_1 dst_unused:UNUSED_PAD src0_sel:DWORD src1_sel:DWORD
	v_bitop3_b16 v8, v9, v8, s13 bitop3:0xec
	v_bitop3_b16 v6, v6, v7, s13 bitop3:0xec
	v_lshlrev_b32_e32 v7, 16, v8
	v_or_b32_sdwa v6, v6, v7 dst_sel:DWORD dst_unused:UNUSED_PAD src0_sel:WORD_0 src1_sel:DWORD
	global_store_dword v[4:5], v6, off
	s_andn2_b64 exec, exec, s[6:7]
	s_cbranch_execnz .LBB96_24
.LBB96_25:
	s_endpgm
	.section	.rodata,"a",@progbits
	.p2align	6, 0x0
	.amdhsa_kernel _ZN2at6native12_GLOBAL__N_125multi_tensor_apply_kernelINS1_18TensorListMetadataILi2EEENS1_21BinaryOpScalarFunctorIaLi2ELi1ELi1EEEJSt5minusIaEaEEEvT_T0_DpT1_
		.amdhsa_group_segment_fixed_size 0
		.amdhsa_private_segment_fixed_size 0
		.amdhsa_kernarg_size 3408
		.amdhsa_user_sgpr_count 2
		.amdhsa_user_sgpr_dispatch_ptr 0
		.amdhsa_user_sgpr_queue_ptr 0
		.amdhsa_user_sgpr_kernarg_segment_ptr 1
		.amdhsa_user_sgpr_dispatch_id 0
		.amdhsa_user_sgpr_kernarg_preload_length 0
		.amdhsa_user_sgpr_kernarg_preload_offset 0
		.amdhsa_user_sgpr_private_segment_size 0
		.amdhsa_uses_dynamic_stack 0
		.amdhsa_enable_private_segment 0
		.amdhsa_system_sgpr_workgroup_id_x 1
		.amdhsa_system_sgpr_workgroup_id_y 0
		.amdhsa_system_sgpr_workgroup_id_z 0
		.amdhsa_system_sgpr_workgroup_info 0
		.amdhsa_system_vgpr_workitem_id 0
		.amdhsa_next_free_vgpr 32
		.amdhsa_next_free_sgpr 25
		.amdhsa_accum_offset 32
		.amdhsa_reserve_vcc 1
		.amdhsa_float_round_mode_32 0
		.amdhsa_float_round_mode_16_64 0
		.amdhsa_float_denorm_mode_32 3
		.amdhsa_float_denorm_mode_16_64 3
		.amdhsa_dx10_clamp 1
		.amdhsa_ieee_mode 1
		.amdhsa_fp16_overflow 0
		.amdhsa_tg_split 0
		.amdhsa_exception_fp_ieee_invalid_op 0
		.amdhsa_exception_fp_denorm_src 0
		.amdhsa_exception_fp_ieee_div_zero 0
		.amdhsa_exception_fp_ieee_overflow 0
		.amdhsa_exception_fp_ieee_underflow 0
		.amdhsa_exception_fp_ieee_inexact 0
		.amdhsa_exception_int_div_zero 0
	.end_amdhsa_kernel
	.section	.text._ZN2at6native12_GLOBAL__N_125multi_tensor_apply_kernelINS1_18TensorListMetadataILi2EEENS1_21BinaryOpScalarFunctorIaLi2ELi1ELi1EEEJSt5minusIaEaEEEvT_T0_DpT1_,"axG",@progbits,_ZN2at6native12_GLOBAL__N_125multi_tensor_apply_kernelINS1_18TensorListMetadataILi2EEENS1_21BinaryOpScalarFunctorIaLi2ELi1ELi1EEEJSt5minusIaEaEEEvT_T0_DpT1_,comdat
.Lfunc_end96:
	.size	_ZN2at6native12_GLOBAL__N_125multi_tensor_apply_kernelINS1_18TensorListMetadataILi2EEENS1_21BinaryOpScalarFunctorIaLi2ELi1ELi1EEEJSt5minusIaEaEEEvT_T0_DpT1_, .Lfunc_end96-_ZN2at6native12_GLOBAL__N_125multi_tensor_apply_kernelINS1_18TensorListMetadataILi2EEENS1_21BinaryOpScalarFunctorIaLi2ELi1ELi1EEEJSt5minusIaEaEEEvT_T0_DpT1_
                                        ; -- End function
	.set _ZN2at6native12_GLOBAL__N_125multi_tensor_apply_kernelINS1_18TensorListMetadataILi2EEENS1_21BinaryOpScalarFunctorIaLi2ELi1ELi1EEEJSt5minusIaEaEEEvT_T0_DpT1_.num_vgpr, 32
	.set _ZN2at6native12_GLOBAL__N_125multi_tensor_apply_kernelINS1_18TensorListMetadataILi2EEENS1_21BinaryOpScalarFunctorIaLi2ELi1ELi1EEEJSt5minusIaEaEEEvT_T0_DpT1_.num_agpr, 0
	.set _ZN2at6native12_GLOBAL__N_125multi_tensor_apply_kernelINS1_18TensorListMetadataILi2EEENS1_21BinaryOpScalarFunctorIaLi2ELi1ELi1EEEJSt5minusIaEaEEEvT_T0_DpT1_.numbered_sgpr, 25
	.set _ZN2at6native12_GLOBAL__N_125multi_tensor_apply_kernelINS1_18TensorListMetadataILi2EEENS1_21BinaryOpScalarFunctorIaLi2ELi1ELi1EEEJSt5minusIaEaEEEvT_T0_DpT1_.num_named_barrier, 0
	.set _ZN2at6native12_GLOBAL__N_125multi_tensor_apply_kernelINS1_18TensorListMetadataILi2EEENS1_21BinaryOpScalarFunctorIaLi2ELi1ELi1EEEJSt5minusIaEaEEEvT_T0_DpT1_.private_seg_size, 0
	.set _ZN2at6native12_GLOBAL__N_125multi_tensor_apply_kernelINS1_18TensorListMetadataILi2EEENS1_21BinaryOpScalarFunctorIaLi2ELi1ELi1EEEJSt5minusIaEaEEEvT_T0_DpT1_.uses_vcc, 1
	.set _ZN2at6native12_GLOBAL__N_125multi_tensor_apply_kernelINS1_18TensorListMetadataILi2EEENS1_21BinaryOpScalarFunctorIaLi2ELi1ELi1EEEJSt5minusIaEaEEEvT_T0_DpT1_.uses_flat_scratch, 0
	.set _ZN2at6native12_GLOBAL__N_125multi_tensor_apply_kernelINS1_18TensorListMetadataILi2EEENS1_21BinaryOpScalarFunctorIaLi2ELi1ELi1EEEJSt5minusIaEaEEEvT_T0_DpT1_.has_dyn_sized_stack, 0
	.set _ZN2at6native12_GLOBAL__N_125multi_tensor_apply_kernelINS1_18TensorListMetadataILi2EEENS1_21BinaryOpScalarFunctorIaLi2ELi1ELi1EEEJSt5minusIaEaEEEvT_T0_DpT1_.has_recursion, 0
	.set _ZN2at6native12_GLOBAL__N_125multi_tensor_apply_kernelINS1_18TensorListMetadataILi2EEENS1_21BinaryOpScalarFunctorIaLi2ELi1ELi1EEEJSt5minusIaEaEEEvT_T0_DpT1_.has_indirect_call, 0
	.section	.AMDGPU.csdata,"",@progbits
; Kernel info:
; codeLenInByte = 1068
; TotalNumSgprs: 31
; NumVgprs: 32
; NumAgprs: 0
; TotalNumVgprs: 32
; ScratchSize: 0
; MemoryBound: 0
; FloatMode: 240
; IeeeMode: 1
; LDSByteSize: 0 bytes/workgroup (compile time only)
; SGPRBlocks: 3
; VGPRBlocks: 3
; NumSGPRsForWavesPerEU: 31
; NumVGPRsForWavesPerEU: 32
; AccumOffset: 32
; Occupancy: 8
; WaveLimiterHint : 0
; COMPUTE_PGM_RSRC2:SCRATCH_EN: 0
; COMPUTE_PGM_RSRC2:USER_SGPR: 2
; COMPUTE_PGM_RSRC2:TRAP_HANDLER: 0
; COMPUTE_PGM_RSRC2:TGID_X_EN: 1
; COMPUTE_PGM_RSRC2:TGID_Y_EN: 0
; COMPUTE_PGM_RSRC2:TGID_Z_EN: 0
; COMPUTE_PGM_RSRC2:TIDIG_COMP_CNT: 0
; COMPUTE_PGM_RSRC3_GFX90A:ACCUM_OFFSET: 7
; COMPUTE_PGM_RSRC3_GFX90A:TG_SPLIT: 0
	.section	.text._ZN2at6native12_GLOBAL__N_125multi_tensor_apply_kernelINS1_18TensorListMetadataILi2EEENS1_21BinaryOpScalarFunctorIiLi2ELi1ELi1EEEJSt5minusIiEiEEEvT_T0_DpT1_,"axG",@progbits,_ZN2at6native12_GLOBAL__N_125multi_tensor_apply_kernelINS1_18TensorListMetadataILi2EEENS1_21BinaryOpScalarFunctorIiLi2ELi1ELi1EEEJSt5minusIiEiEEEvT_T0_DpT1_,comdat
	.globl	_ZN2at6native12_GLOBAL__N_125multi_tensor_apply_kernelINS1_18TensorListMetadataILi2EEENS1_21BinaryOpScalarFunctorIiLi2ELi1ELi1EEEJSt5minusIiEiEEEvT_T0_DpT1_ ; -- Begin function _ZN2at6native12_GLOBAL__N_125multi_tensor_apply_kernelINS1_18TensorListMetadataILi2EEENS1_21BinaryOpScalarFunctorIiLi2ELi1ELi1EEEJSt5minusIiEiEEEvT_T0_DpT1_
	.p2align	8
	.type	_ZN2at6native12_GLOBAL__N_125multi_tensor_apply_kernelINS1_18TensorListMetadataILi2EEENS1_21BinaryOpScalarFunctorIiLi2ELi1ELi1EEEJSt5minusIiEiEEEvT_T0_DpT1_,@function
_ZN2at6native12_GLOBAL__N_125multi_tensor_apply_kernelINS1_18TensorListMetadataILi2EEENS1_21BinaryOpScalarFunctorIiLi2ELi1ELi1EEEJSt5minusIiEiEEEvT_T0_DpT1_: ; @_ZN2at6native12_GLOBAL__N_125multi_tensor_apply_kernelINS1_18TensorListMetadataILi2EEENS1_21BinaryOpScalarFunctorIiLi2ELi1ELi1EEEJSt5minusIiEiEEEvT_T0_DpT1_
; %bb.0:
	v_mov_b32_e32 v1, s2
	global_load_ubyte v1, v1, s[0:1] offset:1536
	s_add_u32 s4, s0, s2
	s_mul_hi_u32 s7, s2, 3
	s_mul_i32 s2, s2, 3
	s_addc_u32 s8, s1, 0
	s_add_u32 s6, s4, s2
	s_addc_u32 s7, s8, s7
	s_load_dword s6, s[6:7], 0x740
	s_mov_b32 s3, 0
	s_mov_b32 s5, s3
	s_waitcnt lgkmcnt(0)
	s_ashr_i32 s7, s6, 31
	s_lshl_b64 s[12:13], s[6:7], 18
	s_lshl_b64 s[6:7], s[6:7], 16
	s_waitcnt vmcnt(0)
	v_readfirstlane_b32 s2, v1
	s_lshl_b32 s2, s2, 3
	s_load_dword s24, s[0:1], 0xc4c
	s_load_dwordx2 s[16:17], s[0:1], s2 offset:0x400
	s_load_dwordx2 s[10:11], s[0:1], s2 offset:0x0
	;; [unrolled: 1-line block ×3, first 2 shown]
	s_waitcnt lgkmcnt(0)
	s_add_u32 s2, s10, s12
	s_and_b32 s4, s8, 15
	s_and_b32 s2, s2, 15
	s_sub_u32 s14, s16, s6
	s_subb_u32 s15, s17, s7
	s_and_b32 s6, s16, 3
	s_mov_b32 s7, s3
	s_or_b64 s[4:5], s[4:5], s[6:7]
	s_or_b64 s[2:3], s[4:5], s[2:3]
	s_cmp_eq_u64 s[2:3], 0
	s_mov_b64 s[2:3], -1
	s_cbranch_scc1 .LBB97_21
; %bb.1:
	v_cmp_lt_i64_e64 s[2:3], s[14:15], 1
	s_and_b64 vcc, exec, s[2:3]
	s_cbranch_vccnz .LBB97_20
; %bb.2:
	s_load_dword s2, s[0:1], 0xc5c
	v_mov_b64_e32 v[2:3], 0x10000
	v_cmp_lt_i64_e32 vcc, s[14:15], v[2:3]
	s_and_b64 s[4:5], vcc, exec
	s_mov_b32 s3, 0
	s_cselect_b32 s5, s15, 0
	s_cselect_b32 s4, s14, 0x10000
	s_waitcnt lgkmcnt(0)
	s_and_b32 s2, s2, 0xffff
	v_cmp_lt_u64_e32 vcc, s[14:15], v[2:3]
	v_mov_b32_e32 v1, 0
	s_and_b64 s[6:7], vcc, exec
	s_mul_i32 s20, s2, 3
	s_mov_b32 s21, s3
	s_cselect_b32 s17, s15, 0
	s_cselect_b32 s16, s14, 0x10000
	v_lshlrev_b32_e32 v12, 2, v0
	v_mov_b32_e32 v13, v1
	v_lshl_add_u64 v[10:11], s[20:21], 0, v[0:1]
	s_lshl_b32 s20, s2, 3
	v_lshl_add_u64 v[18:19], v[0:1], 0, s[2:3]
	s_lshl_b32 s6, s2, 1
	s_mov_b32 s7, s3
	v_mad_u64_u32 v[8:9], s[22:23], s2, 12, v[12:13]
	v_lshl_add_u64 v[14:15], s[20:21], 0, v[12:13]
	v_lshlrev_b32_e32 v22, 2, v18
	v_mov_b32_e32 v23, v1
	s_lshl_b32 s25, s2, 2
	v_lshl_add_u64 v[2:3], s[10:11], 0, v[12:13]
	s_lshl_b32 s18, s2, 4
	s_mov_b32 s19, s3
	v_lshl_add_u64 v[4:5], s[8:9], 0, v[12:13]
	v_lshl_add_u64 v[6:7], s[10:11], 0, v[8:9]
	;; [unrolled: 1-line block ×8, first 2 shown]
	s_mov_b64 s[20:21], 0
	v_mov_b64_e32 v[24:25], s[4:5]
	s_branch .LBB97_4
.LBB97_3:                               ;   in Loop: Header=BB97_4 Depth=1
	s_or_b64 exec, exec, s[2:3]
	s_add_u32 s20, s20, s25
	s_addc_u32 s21, s21, 0
	v_cmp_lt_i64_e32 vcc, s[20:21], v[24:25]
	v_lshl_add_u64 v[2:3], v[2:3], 0, s[18:19]
	v_lshl_add_u64 v[4:5], v[4:5], 0, s[18:19]
	;; [unrolled: 1-line block ×8, first 2 shown]
	s_cbranch_vccz .LBB97_20
.LBB97_4:                               ; =>This Inner Loop Header: Depth=1
	s_waitcnt vmcnt(0)
	v_lshl_add_u64 v[26:27], v[0:1], 0, s[20:21]
	v_cmp_gt_u64_e32 vcc, s[16:17], v[26:27]
	v_mov_b32_e32 v27, 0
	s_and_saveexec_b64 s[2:3], vcc
	s_cbranch_execz .LBB97_6
; %bb.5:                                ;   in Loop: Header=BB97_4 Depth=1
	v_lshl_add_u64 v[26:27], v[2:3], 0, s[12:13]
	global_load_dword v27, v[26:27], off
.LBB97_6:                               ;   in Loop: Header=BB97_4 Depth=1
	s_or_b64 exec, exec, s[2:3]
	v_lshl_add_u64 v[28:29], v[18:19], 0, s[20:21]
	v_cmp_gt_u64_e64 s[2:3], s[16:17], v[28:29]
	v_mov_b32_e32 v26, 0
	v_mov_b32_e32 v28, 0
	s_and_saveexec_b64 s[4:5], s[2:3]
	s_cbranch_execz .LBB97_8
; %bb.7:                                ;   in Loop: Header=BB97_4 Depth=1
	v_lshl_add_u64 v[28:29], v[20:21], 0, s[12:13]
	global_load_dword v28, v[28:29], off
.LBB97_8:                               ;   in Loop: Header=BB97_4 Depth=1
	s_or_b64 exec, exec, s[4:5]
	v_lshl_add_u64 v[30:31], v[16:17], 0, s[20:21]
	v_cmp_gt_u64_e64 s[4:5], s[16:17], v[30:31]
	s_and_saveexec_b64 s[6:7], s[4:5]
	s_cbranch_execz .LBB97_10
; %bb.9:                                ;   in Loop: Header=BB97_4 Depth=1
	v_lshl_add_u64 v[30:31], v[12:13], 0, s[12:13]
	global_load_dword v26, v[30:31], off
.LBB97_10:                              ;   in Loop: Header=BB97_4 Depth=1
	s_or_b64 exec, exec, s[6:7]
	v_lshl_add_u64 v[30:31], v[10:11], 0, s[20:21]
	v_cmp_gt_u64_e64 s[6:7], s[16:17], v[30:31]
	v_mov_b32_e32 v29, 0
	s_and_saveexec_b64 s[22:23], s[6:7]
	s_cbranch_execnz .LBB97_15
; %bb.11:                               ;   in Loop: Header=BB97_4 Depth=1
	s_or_b64 exec, exec, s[22:23]
	s_and_saveexec_b64 s[22:23], vcc
	s_cbranch_execnz .LBB97_16
.LBB97_12:                              ;   in Loop: Header=BB97_4 Depth=1
	s_or_b64 exec, exec, s[22:23]
	s_and_saveexec_b64 s[22:23], s[2:3]
	s_cbranch_execnz .LBB97_17
.LBB97_13:                              ;   in Loop: Header=BB97_4 Depth=1
	s_or_b64 exec, exec, s[22:23]
	s_and_saveexec_b64 s[2:3], s[4:5]
	s_cbranch_execnz .LBB97_18
.LBB97_14:                              ;   in Loop: Header=BB97_4 Depth=1
	s_or_b64 exec, exec, s[2:3]
	s_and_saveexec_b64 s[2:3], s[6:7]
	s_cbranch_execz .LBB97_3
	s_branch .LBB97_19
.LBB97_15:                              ;   in Loop: Header=BB97_4 Depth=1
	v_lshl_add_u64 v[30:31], v[6:7], 0, s[12:13]
	global_load_dword v29, v[30:31], off
	s_or_b64 exec, exec, s[22:23]
	s_and_saveexec_b64 s[22:23], vcc
	s_cbranch_execz .LBB97_12
.LBB97_16:                              ;   in Loop: Header=BB97_4 Depth=1
	s_waitcnt vmcnt(0)
	v_subrev_u32_e32 v27, s24, v27
	v_lshl_add_u64 v[30:31], v[4:5], 0, s[12:13]
	global_store_dword v[30:31], v27, off
	s_or_b64 exec, exec, s[22:23]
	s_and_saveexec_b64 s[22:23], s[2:3]
	s_cbranch_execz .LBB97_13
.LBB97_17:                              ;   in Loop: Header=BB97_4 Depth=1
	s_waitcnt vmcnt(0)
	v_subrev_u32_e32 v27, s24, v28
	v_lshl_add_u64 v[30:31], v[22:23], 0, s[12:13]
	global_store_dword v[30:31], v27, off
	s_or_b64 exec, exec, s[22:23]
	s_and_saveexec_b64 s[2:3], s[4:5]
	s_cbranch_execz .LBB97_14
.LBB97_18:                              ;   in Loop: Header=BB97_4 Depth=1
	s_waitcnt vmcnt(0)
	v_subrev_u32_e32 v28, s24, v26
	v_lshl_add_u64 v[26:27], v[14:15], 0, s[12:13]
	global_store_dword v[26:27], v28, off
	s_or_b64 exec, exec, s[2:3]
	s_and_saveexec_b64 s[2:3], s[6:7]
	s_cbranch_execz .LBB97_3
.LBB97_19:                              ;   in Loop: Header=BB97_4 Depth=1
	s_waitcnt vmcnt(0)
	v_subrev_u32_e32 v28, s24, v29
	v_lshl_add_u64 v[26:27], v[8:9], 0, s[12:13]
	global_store_dword v[26:27], v28, off
	s_branch .LBB97_3
.LBB97_20:
	s_mov_b64 s[2:3], 0
.LBB97_21:
	s_andn2_b64 vcc, exec, s[2:3]
	s_cbranch_vccnz .LBB97_25
; %bb.22:
	v_mov_b64_e32 v[4:5], 0x10000
	v_cmp_lt_i64_e32 vcc, s[14:15], v[4:5]
	s_and_b64 s[4:5], vcc, exec
	v_mov_b32_e32 v3, 0
	s_cselect_b32 s5, s15, 0
	s_cselect_b32 s4, s14, 0x10000
	v_lshlrev_b32_e32 v2, 2, v0
	s_mov_b32 s3, 0
	v_cmp_gt_i64_e32 vcc, s[4:5], v[2:3]
	s_and_saveexec_b64 s[6:7], vcc
	s_cbranch_execz .LBB97_25
; %bb.23:
	s_load_dword s0, s[0:1], 0xc5c
	v_lshlrev_b32_e32 v2, 4, v0
	v_mov_b32_e32 v1, v3
	s_mov_b32 s14, s24
	v_lshl_add_u64 v[2:3], s[12:13], 0, v[2:3]
	s_waitcnt lgkmcnt(0)
	s_and_b32 s2, s0, 0xffff
	s_lshl_b32 s0, s2, 4
	s_add_u32 s6, s10, 8
	s_mov_b32 s1, s3
	s_addc_u32 s7, s11, 0
	s_mov_b64 s[10:11], 0
.LBB97_24:                              ; =>This Inner Loop Header: Depth=1
	v_lshl_add_u64 v[4:5], s[6:7], 0, v[2:3]
	global_load_dwordx4 v[4:7], v[4:5], off offset:-8
	v_lshl_add_u64 v[0:1], v[0:1], 0, s[2:3]
	v_lshlrev_b64 v[10:11], 2, v[0:1]
	v_cmp_le_i64_e32 vcc, s[4:5], v[10:11]
	v_lshl_add_u64 v[8:9], s[8:9], 0, v[2:3]
	v_lshl_add_u64 v[2:3], v[2:3], 0, s[0:1]
	s_or_b64 s[10:11], vcc, s[10:11]
	s_waitcnt vmcnt(0)
	v_subrev_u32_e32 v5, s14, v5
	v_subrev_u32_e32 v4, s24, v4
	;; [unrolled: 1-line block ×4, first 2 shown]
	global_store_dwordx4 v[8:9], v[4:7], off
	s_andn2_b64 exec, exec, s[10:11]
	s_cbranch_execnz .LBB97_24
.LBB97_25:
	s_endpgm
	.section	.rodata,"a",@progbits
	.p2align	6, 0x0
	.amdhsa_kernel _ZN2at6native12_GLOBAL__N_125multi_tensor_apply_kernelINS1_18TensorListMetadataILi2EEENS1_21BinaryOpScalarFunctorIiLi2ELi1ELi1EEEJSt5minusIiEiEEEvT_T0_DpT1_
		.amdhsa_group_segment_fixed_size 0
		.amdhsa_private_segment_fixed_size 0
		.amdhsa_kernarg_size 3408
		.amdhsa_user_sgpr_count 2
		.amdhsa_user_sgpr_dispatch_ptr 0
		.amdhsa_user_sgpr_queue_ptr 0
		.amdhsa_user_sgpr_kernarg_segment_ptr 1
		.amdhsa_user_sgpr_dispatch_id 0
		.amdhsa_user_sgpr_kernarg_preload_length 0
		.amdhsa_user_sgpr_kernarg_preload_offset 0
		.amdhsa_user_sgpr_private_segment_size 0
		.amdhsa_uses_dynamic_stack 0
		.amdhsa_enable_private_segment 0
		.amdhsa_system_sgpr_workgroup_id_x 1
		.amdhsa_system_sgpr_workgroup_id_y 0
		.amdhsa_system_sgpr_workgroup_id_z 0
		.amdhsa_system_sgpr_workgroup_info 0
		.amdhsa_system_vgpr_workitem_id 0
		.amdhsa_next_free_vgpr 32
		.amdhsa_next_free_sgpr 26
		.amdhsa_accum_offset 32
		.amdhsa_reserve_vcc 1
		.amdhsa_float_round_mode_32 0
		.amdhsa_float_round_mode_16_64 0
		.amdhsa_float_denorm_mode_32 3
		.amdhsa_float_denorm_mode_16_64 3
		.amdhsa_dx10_clamp 1
		.amdhsa_ieee_mode 1
		.amdhsa_fp16_overflow 0
		.amdhsa_tg_split 0
		.amdhsa_exception_fp_ieee_invalid_op 0
		.amdhsa_exception_fp_denorm_src 0
		.amdhsa_exception_fp_ieee_div_zero 0
		.amdhsa_exception_fp_ieee_overflow 0
		.amdhsa_exception_fp_ieee_underflow 0
		.amdhsa_exception_fp_ieee_inexact 0
		.amdhsa_exception_int_div_zero 0
	.end_amdhsa_kernel
	.section	.text._ZN2at6native12_GLOBAL__N_125multi_tensor_apply_kernelINS1_18TensorListMetadataILi2EEENS1_21BinaryOpScalarFunctorIiLi2ELi1ELi1EEEJSt5minusIiEiEEEvT_T0_DpT1_,"axG",@progbits,_ZN2at6native12_GLOBAL__N_125multi_tensor_apply_kernelINS1_18TensorListMetadataILi2EEENS1_21BinaryOpScalarFunctorIiLi2ELi1ELi1EEEJSt5minusIiEiEEEvT_T0_DpT1_,comdat
.Lfunc_end97:
	.size	_ZN2at6native12_GLOBAL__N_125multi_tensor_apply_kernelINS1_18TensorListMetadataILi2EEENS1_21BinaryOpScalarFunctorIiLi2ELi1ELi1EEEJSt5minusIiEiEEEvT_T0_DpT1_, .Lfunc_end97-_ZN2at6native12_GLOBAL__N_125multi_tensor_apply_kernelINS1_18TensorListMetadataILi2EEENS1_21BinaryOpScalarFunctorIiLi2ELi1ELi1EEEJSt5minusIiEiEEEvT_T0_DpT1_
                                        ; -- End function
	.set _ZN2at6native12_GLOBAL__N_125multi_tensor_apply_kernelINS1_18TensorListMetadataILi2EEENS1_21BinaryOpScalarFunctorIiLi2ELi1ELi1EEEJSt5minusIiEiEEEvT_T0_DpT1_.num_vgpr, 32
	.set _ZN2at6native12_GLOBAL__N_125multi_tensor_apply_kernelINS1_18TensorListMetadataILi2EEENS1_21BinaryOpScalarFunctorIiLi2ELi1ELi1EEEJSt5minusIiEiEEEvT_T0_DpT1_.num_agpr, 0
	.set _ZN2at6native12_GLOBAL__N_125multi_tensor_apply_kernelINS1_18TensorListMetadataILi2EEENS1_21BinaryOpScalarFunctorIiLi2ELi1ELi1EEEJSt5minusIiEiEEEvT_T0_DpT1_.numbered_sgpr, 26
	.set _ZN2at6native12_GLOBAL__N_125multi_tensor_apply_kernelINS1_18TensorListMetadataILi2EEENS1_21BinaryOpScalarFunctorIiLi2ELi1ELi1EEEJSt5minusIiEiEEEvT_T0_DpT1_.num_named_barrier, 0
	.set _ZN2at6native12_GLOBAL__N_125multi_tensor_apply_kernelINS1_18TensorListMetadataILi2EEENS1_21BinaryOpScalarFunctorIiLi2ELi1ELi1EEEJSt5minusIiEiEEEvT_T0_DpT1_.private_seg_size, 0
	.set _ZN2at6native12_GLOBAL__N_125multi_tensor_apply_kernelINS1_18TensorListMetadataILi2EEENS1_21BinaryOpScalarFunctorIiLi2ELi1ELi1EEEJSt5minusIiEiEEEvT_T0_DpT1_.uses_vcc, 1
	.set _ZN2at6native12_GLOBAL__N_125multi_tensor_apply_kernelINS1_18TensorListMetadataILi2EEENS1_21BinaryOpScalarFunctorIiLi2ELi1ELi1EEEJSt5minusIiEiEEEvT_T0_DpT1_.uses_flat_scratch, 0
	.set _ZN2at6native12_GLOBAL__N_125multi_tensor_apply_kernelINS1_18TensorListMetadataILi2EEENS1_21BinaryOpScalarFunctorIiLi2ELi1ELi1EEEJSt5minusIiEiEEEvT_T0_DpT1_.has_dyn_sized_stack, 0
	.set _ZN2at6native12_GLOBAL__N_125multi_tensor_apply_kernelINS1_18TensorListMetadataILi2EEENS1_21BinaryOpScalarFunctorIiLi2ELi1ELi1EEEJSt5minusIiEiEEEvT_T0_DpT1_.has_recursion, 0
	.set _ZN2at6native12_GLOBAL__N_125multi_tensor_apply_kernelINS1_18TensorListMetadataILi2EEENS1_21BinaryOpScalarFunctorIiLi2ELi1ELi1EEEJSt5minusIiEiEEEvT_T0_DpT1_.has_indirect_call, 0
	.section	.AMDGPU.csdata,"",@progbits
; Kernel info:
; codeLenInByte = 1112
; TotalNumSgprs: 32
; NumVgprs: 32
; NumAgprs: 0
; TotalNumVgprs: 32
; ScratchSize: 0
; MemoryBound: 0
; FloatMode: 240
; IeeeMode: 1
; LDSByteSize: 0 bytes/workgroup (compile time only)
; SGPRBlocks: 3
; VGPRBlocks: 3
; NumSGPRsForWavesPerEU: 32
; NumVGPRsForWavesPerEU: 32
; AccumOffset: 32
; Occupancy: 8
; WaveLimiterHint : 0
; COMPUTE_PGM_RSRC2:SCRATCH_EN: 0
; COMPUTE_PGM_RSRC2:USER_SGPR: 2
; COMPUTE_PGM_RSRC2:TRAP_HANDLER: 0
; COMPUTE_PGM_RSRC2:TGID_X_EN: 1
; COMPUTE_PGM_RSRC2:TGID_Y_EN: 0
; COMPUTE_PGM_RSRC2:TGID_Z_EN: 0
; COMPUTE_PGM_RSRC2:TIDIG_COMP_CNT: 0
; COMPUTE_PGM_RSRC3_GFX90A:ACCUM_OFFSET: 7
; COMPUTE_PGM_RSRC3_GFX90A:TG_SPLIT: 0
	.section	.text._ZN2at6native12_GLOBAL__N_125multi_tensor_apply_kernelINS1_18TensorListMetadataILi2EEENS1_21BinaryOpScalarFunctorIlLi2ELi1ELi1EEEJSt5minusIlElEEEvT_T0_DpT1_,"axG",@progbits,_ZN2at6native12_GLOBAL__N_125multi_tensor_apply_kernelINS1_18TensorListMetadataILi2EEENS1_21BinaryOpScalarFunctorIlLi2ELi1ELi1EEEJSt5minusIlElEEEvT_T0_DpT1_,comdat
	.globl	_ZN2at6native12_GLOBAL__N_125multi_tensor_apply_kernelINS1_18TensorListMetadataILi2EEENS1_21BinaryOpScalarFunctorIlLi2ELi1ELi1EEEJSt5minusIlElEEEvT_T0_DpT1_ ; -- Begin function _ZN2at6native12_GLOBAL__N_125multi_tensor_apply_kernelINS1_18TensorListMetadataILi2EEENS1_21BinaryOpScalarFunctorIlLi2ELi1ELi1EEEJSt5minusIlElEEEvT_T0_DpT1_
	.p2align	8
	.type	_ZN2at6native12_GLOBAL__N_125multi_tensor_apply_kernelINS1_18TensorListMetadataILi2EEENS1_21BinaryOpScalarFunctorIlLi2ELi1ELi1EEEJSt5minusIlElEEEvT_T0_DpT1_,@function
_ZN2at6native12_GLOBAL__N_125multi_tensor_apply_kernelINS1_18TensorListMetadataILi2EEENS1_21BinaryOpScalarFunctorIlLi2ELi1ELi1EEEJSt5minusIlElEEEvT_T0_DpT1_: ; @_ZN2at6native12_GLOBAL__N_125multi_tensor_apply_kernelINS1_18TensorListMetadataILi2EEENS1_21BinaryOpScalarFunctorIlLi2ELi1ELi1EEEJSt5minusIlElEEEvT_T0_DpT1_
; %bb.0:
	v_mov_b32_e32 v1, s2
	global_load_ubyte v1, v1, s[0:1] offset:1536
	s_add_u32 s4, s0, s2
	s_mul_hi_u32 s7, s2, 3
	s_mul_i32 s2, s2, 3
	s_addc_u32 s8, s1, 0
	s_add_u32 s6, s4, s2
	s_addc_u32 s7, s8, s7
	s_load_dword s6, s[6:7], 0x740
	s_mov_b32 s3, 0
	s_mov_b32 s5, s3
	s_waitcnt lgkmcnt(0)
	s_ashr_i32 s7, s6, 31
	s_lshl_b64 s[14:15], s[6:7], 19
	s_lshl_b64 s[6:7], s[6:7], 16
	s_waitcnt vmcnt(0)
	v_readfirstlane_b32 s2, v1
	s_lshl_b32 s2, s2, 3
	s_load_dwordx2 s[8:9], s[0:1], 0xc50
	s_load_dwordx2 s[18:19], s[0:1], s2 offset:0x400
	s_load_dwordx2 s[10:11], s[0:1], s2 offset:0x0
	;; [unrolled: 1-line block ×3, first 2 shown]
	s_waitcnt lgkmcnt(0)
	s_add_u32 s2, s10, s14
	s_and_b32 s4, s12, 31
	s_and_b32 s2, s2, 31
	s_sub_u32 s16, s18, s6
	s_subb_u32 s17, s19, s7
	s_and_b32 s6, s18, 3
	s_mov_b32 s7, s3
	s_or_b64 s[4:5], s[4:5], s[6:7]
	s_or_b64 s[2:3], s[4:5], s[2:3]
	s_cmp_eq_u64 s[2:3], 0
	s_mov_b64 s[2:3], -1
	s_cbranch_scc1 .LBB98_21
; %bb.1:
	v_cmp_lt_i64_e64 s[2:3], s[16:17], 1
	s_and_b64 vcc, exec, s[2:3]
	s_cbranch_vccnz .LBB98_20
; %bb.2:
	s_load_dword s2, s[0:1], 0xc64
	v_mov_b64_e32 v[2:3], 0x10000
	v_cmp_lt_i64_e32 vcc, s[16:17], v[2:3]
	s_and_b64 s[4:5], vcc, exec
	s_mov_b32 s3, 0
	s_cselect_b32 s19, s17, 0
	s_cselect_b32 s18, s16, 0x10000
	s_waitcnt lgkmcnt(0)
	s_and_b32 s2, s2, 0xffff
	v_cmp_lt_u64_e32 vcc, s[16:17], v[2:3]
	v_mov_b32_e32 v1, 0
	s_and_b64 s[4:5], vcc, exec
	s_mul_i32 s6, s2, 3
	s_mov_b32 s7, s3
	s_cselect_b32 s21, s17, 0
	s_cselect_b32 s20, s16, 0x10000
	v_lshlrev_b32_e32 v12, 3, v0
	v_mov_b32_e32 v13, v1
	v_lshl_add_u64 v[10:11], s[6:7], 0, v[0:1]
	s_lshl_b32 s6, s2, 4
	v_lshl_add_u64 v[18:19], v[0:1], 0, s[2:3]
	s_lshl_b32 s4, s2, 1
	s_mov_b32 s5, s3
	v_mad_u64_u32 v[8:9], s[24:25], s2, 24, v[12:13]
	v_lshl_add_u64 v[14:15], s[6:7], 0, v[12:13]
	v_lshlrev_b32_e32 v22, 3, v18
	v_mov_b32_e32 v23, v1
	s_lshl_b32 s28, s2, 2
	v_lshl_add_u64 v[2:3], s[10:11], 0, v[12:13]
	s_lshl_b32 s22, s2, 5
	s_mov_b32 s23, s3
	v_lshl_add_u64 v[4:5], s[12:13], 0, v[12:13]
	v_lshl_add_u64 v[6:7], s[10:11], 0, v[8:9]
	;; [unrolled: 1-line block ×8, first 2 shown]
	s_mov_b64 s[24:25], 0
	s_branch .LBB98_4
.LBB98_3:                               ;   in Loop: Header=BB98_4 Depth=1
	s_or_b64 exec, exec, s[4:5]
	s_add_u32 s24, s24, s28
	s_addc_u32 s25, s25, 0
	s_waitcnt vmcnt(0)
	v_mov_b64_e32 v[24:25], s[18:19]
	v_cmp_lt_i64_e32 vcc, s[24:25], v[24:25]
	v_lshl_add_u64 v[2:3], v[2:3], 0, s[22:23]
	v_lshl_add_u64 v[4:5], v[4:5], 0, s[22:23]
	;; [unrolled: 1-line block ×8, first 2 shown]
	s_cbranch_vccz .LBB98_20
.LBB98_4:                               ; =>This Inner Loop Header: Depth=1
	v_lshl_add_u64 v[24:25], v[0:1], 0, s[24:25]
	v_cmp_gt_u64_e64 s[4:5], s[20:21], v[24:25]
	v_mov_b64_e32 v[26:27], 0
	v_mov_b64_e32 v[30:31], 0
	s_and_saveexec_b64 s[2:3], s[4:5]
	s_cbranch_execz .LBB98_6
; %bb.5:                                ;   in Loop: Header=BB98_4 Depth=1
	v_lshl_add_u64 v[24:25], v[2:3], 0, s[14:15]
	global_load_dwordx2 v[30:31], v[24:25], off
.LBB98_6:                               ;   in Loop: Header=BB98_4 Depth=1
	s_or_b64 exec, exec, s[2:3]
	v_lshl_add_u64 v[24:25], v[18:19], 0, s[24:25]
	v_cmp_gt_u64_e64 s[6:7], s[20:21], v[24:25]
	s_and_saveexec_b64 s[2:3], s[6:7]
	s_cbranch_execz .LBB98_8
; %bb.7:                                ;   in Loop: Header=BB98_4 Depth=1
	v_lshl_add_u64 v[24:25], v[20:21], 0, s[14:15]
	global_load_dwordx2 v[26:27], v[24:25], off
.LBB98_8:                               ;   in Loop: Header=BB98_4 Depth=1
	s_or_b64 exec, exec, s[2:3]
	v_lshl_add_u64 v[24:25], v[16:17], 0, s[24:25]
	v_cmp_gt_u64_e32 vcc, s[20:21], v[24:25]
	v_mov_b64_e32 v[24:25], 0
	v_mov_b64_e32 v[28:29], 0
	s_and_saveexec_b64 s[2:3], vcc
	s_cbranch_execz .LBB98_10
; %bb.9:                                ;   in Loop: Header=BB98_4 Depth=1
	v_lshl_add_u64 v[28:29], v[12:13], 0, s[14:15]
	global_load_dwordx2 v[28:29], v[28:29], off
.LBB98_10:                              ;   in Loop: Header=BB98_4 Depth=1
	s_or_b64 exec, exec, s[2:3]
	v_lshl_add_u64 v[32:33], v[10:11], 0, s[24:25]
	v_cmp_gt_u64_e64 s[2:3], s[20:21], v[32:33]
	s_and_saveexec_b64 s[26:27], s[2:3]
	s_cbranch_execnz .LBB98_15
; %bb.11:                               ;   in Loop: Header=BB98_4 Depth=1
	s_or_b64 exec, exec, s[26:27]
	s_and_saveexec_b64 s[26:27], s[4:5]
	s_cbranch_execnz .LBB98_16
.LBB98_12:                              ;   in Loop: Header=BB98_4 Depth=1
	s_or_b64 exec, exec, s[26:27]
	s_and_saveexec_b64 s[26:27], s[6:7]
	s_cbranch_execnz .LBB98_17
.LBB98_13:                              ;   in Loop: Header=BB98_4 Depth=1
	s_or_b64 exec, exec, s[26:27]
	s_and_saveexec_b64 s[4:5], vcc
	s_cbranch_execnz .LBB98_18
.LBB98_14:                              ;   in Loop: Header=BB98_4 Depth=1
	s_or_b64 exec, exec, s[4:5]
	s_and_saveexec_b64 s[4:5], s[2:3]
	s_cbranch_execz .LBB98_3
	s_branch .LBB98_19
.LBB98_15:                              ;   in Loop: Header=BB98_4 Depth=1
	v_lshl_add_u64 v[24:25], v[6:7], 0, s[14:15]
	global_load_dwordx2 v[24:25], v[24:25], off
	s_or_b64 exec, exec, s[26:27]
	s_and_saveexec_b64 s[26:27], s[4:5]
	s_cbranch_execz .LBB98_12
.LBB98_16:                              ;   in Loop: Header=BB98_4 Depth=1
	v_mov_b32_e32 v32, s9
	s_waitcnt vmcnt(0)
	v_subrev_co_u32_e64 v30, s[4:5], s8, v30
	s_nop 1
	v_subb_co_u32_e64 v31, s[4:5], v31, v32, s[4:5]
	v_lshl_add_u64 v[32:33], v[4:5], 0, s[14:15]
	global_store_dwordx2 v[32:33], v[30:31], off
	s_or_b64 exec, exec, s[26:27]
	s_and_saveexec_b64 s[26:27], s[6:7]
	s_cbranch_execz .LBB98_13
.LBB98_17:                              ;   in Loop: Header=BB98_4 Depth=1
	s_waitcnt vmcnt(0)
	v_mov_b32_e32 v30, s9
	v_subrev_co_u32_e64 v26, s[4:5], s8, v26
	s_nop 1
	v_subb_co_u32_e64 v27, s[4:5], v27, v30, s[4:5]
	v_lshl_add_u64 v[30:31], v[22:23], 0, s[14:15]
	global_store_dwordx2 v[30:31], v[26:27], off
	s_or_b64 exec, exec, s[26:27]
	s_and_saveexec_b64 s[4:5], vcc
	s_cbranch_execz .LBB98_14
.LBB98_18:                              ;   in Loop: Header=BB98_4 Depth=1
	s_waitcnt vmcnt(0)
	v_mov_b32_e32 v27, s9
	v_subrev_co_u32_e32 v26, vcc, s8, v28
	s_nop 1
	v_subb_co_u32_e32 v27, vcc, v29, v27, vcc
	v_lshl_add_u64 v[28:29], v[14:15], 0, s[14:15]
	global_store_dwordx2 v[28:29], v[26:27], off
	s_or_b64 exec, exec, s[4:5]
	s_and_saveexec_b64 s[4:5], s[2:3]
	s_cbranch_execz .LBB98_3
.LBB98_19:                              ;   in Loop: Header=BB98_4 Depth=1
	s_waitcnt vmcnt(0)
	v_mov_b32_e32 v26, s9
	v_subrev_co_u32_e32 v24, vcc, s8, v24
	s_nop 1
	v_subb_co_u32_e32 v25, vcc, v25, v26, vcc
	v_lshl_add_u64 v[26:27], v[8:9], 0, s[14:15]
	global_store_dwordx2 v[26:27], v[24:25], off
	s_branch .LBB98_3
.LBB98_20:
	s_mov_b64 s[2:3], 0
.LBB98_21:
	s_andn2_b64 vcc, exec, s[2:3]
	s_cbranch_vccnz .LBB98_25
; %bb.22:
	v_mov_b64_e32 v[4:5], 0x10000
	v_cmp_lt_i64_e32 vcc, s[16:17], v[4:5]
	s_and_b64 s[4:5], vcc, exec
	v_mov_b32_e32 v3, 0
	s_cselect_b32 s5, s17, 0
	s_cselect_b32 s4, s16, 0x10000
	v_lshlrev_b32_e32 v2, 2, v0
	s_mov_b32 s3, 0
	v_cmp_gt_i64_e32 vcc, s[4:5], v[2:3]
	s_and_saveexec_b64 s[6:7], vcc
	s_cbranch_execz .LBB98_25
; %bb.23:
	s_load_dword s0, s[0:1], 0xc64
	v_lshlrev_b32_e32 v2, 5, v0
	v_mov_b32_e32 v1, v3
	s_mov_b32 s1, s3
	v_lshl_add_u64 v[2:3], s[14:15], 0, v[2:3]
	s_waitcnt lgkmcnt(0)
	s_and_b32 s2, s0, 0xffff
	s_lshl_b32 s0, s2, 5
	s_mov_b64 s[6:7], 0
	v_mov_b32_e32 v4, s9
.LBB98_24:                              ; =>This Inner Loop Header: Depth=1
	v_lshl_add_u64 v[14:15], s[10:11], 0, v[2:3]
	global_load_dwordx4 v[6:9], v[14:15], off
	global_load_dwordx4 v[10:13], v[14:15], off offset:16
	v_lshl_add_u64 v[0:1], v[0:1], 0, s[2:3]
	v_lshlrev_b64 v[16:17], 2, v[0:1]
	v_cmp_le_i64_e32 vcc, s[4:5], v[16:17]
	s_or_b64 s[6:7], vcc, s[6:7]
	v_lshl_add_u64 v[14:15], s[12:13], 0, v[2:3]
	v_lshl_add_u64 v[2:3], v[2:3], 0, s[0:1]
	s_waitcnt vmcnt(1)
	v_subrev_co_u32_e32 v6, vcc, s8, v6
	s_nop 1
	v_subb_co_u32_e32 v7, vcc, v7, v4, vcc
	v_subrev_co_u32_e32 v8, vcc, s8, v8
	s_nop 1
	v_subb_co_u32_e32 v9, vcc, v9, v4, vcc
	s_waitcnt vmcnt(0)
	v_subrev_co_u32_e32 v10, vcc, s8, v10
	s_nop 1
	v_subb_co_u32_e32 v11, vcc, v11, v4, vcc
	v_subrev_co_u32_e32 v12, vcc, s8, v12
	s_nop 1
	v_subb_co_u32_e32 v13, vcc, v13, v4, vcc
	global_store_dwordx4 v[14:15], v[6:9], off
	global_store_dwordx4 v[14:15], v[10:13], off offset:16
	s_andn2_b64 exec, exec, s[6:7]
	s_cbranch_execnz .LBB98_24
.LBB98_25:
	s_endpgm
	.section	.rodata,"a",@progbits
	.p2align	6, 0x0
	.amdhsa_kernel _ZN2at6native12_GLOBAL__N_125multi_tensor_apply_kernelINS1_18TensorListMetadataILi2EEENS1_21BinaryOpScalarFunctorIlLi2ELi1ELi1EEEJSt5minusIlElEEEvT_T0_DpT1_
		.amdhsa_group_segment_fixed_size 0
		.amdhsa_private_segment_fixed_size 0
		.amdhsa_kernarg_size 3416
		.amdhsa_user_sgpr_count 2
		.amdhsa_user_sgpr_dispatch_ptr 0
		.amdhsa_user_sgpr_queue_ptr 0
		.amdhsa_user_sgpr_kernarg_segment_ptr 1
		.amdhsa_user_sgpr_dispatch_id 0
		.amdhsa_user_sgpr_kernarg_preload_length 0
		.amdhsa_user_sgpr_kernarg_preload_offset 0
		.amdhsa_user_sgpr_private_segment_size 0
		.amdhsa_uses_dynamic_stack 0
		.amdhsa_enable_private_segment 0
		.amdhsa_system_sgpr_workgroup_id_x 1
		.amdhsa_system_sgpr_workgroup_id_y 0
		.amdhsa_system_sgpr_workgroup_id_z 0
		.amdhsa_system_sgpr_workgroup_info 0
		.amdhsa_system_vgpr_workitem_id 0
		.amdhsa_next_free_vgpr 34
		.amdhsa_next_free_sgpr 29
		.amdhsa_accum_offset 36
		.amdhsa_reserve_vcc 1
		.amdhsa_float_round_mode_32 0
		.amdhsa_float_round_mode_16_64 0
		.amdhsa_float_denorm_mode_32 3
		.amdhsa_float_denorm_mode_16_64 3
		.amdhsa_dx10_clamp 1
		.amdhsa_ieee_mode 1
		.amdhsa_fp16_overflow 0
		.amdhsa_tg_split 0
		.amdhsa_exception_fp_ieee_invalid_op 0
		.amdhsa_exception_fp_denorm_src 0
		.amdhsa_exception_fp_ieee_div_zero 0
		.amdhsa_exception_fp_ieee_overflow 0
		.amdhsa_exception_fp_ieee_underflow 0
		.amdhsa_exception_fp_ieee_inexact 0
		.amdhsa_exception_int_div_zero 0
	.end_amdhsa_kernel
	.section	.text._ZN2at6native12_GLOBAL__N_125multi_tensor_apply_kernelINS1_18TensorListMetadataILi2EEENS1_21BinaryOpScalarFunctorIlLi2ELi1ELi1EEEJSt5minusIlElEEEvT_T0_DpT1_,"axG",@progbits,_ZN2at6native12_GLOBAL__N_125multi_tensor_apply_kernelINS1_18TensorListMetadataILi2EEENS1_21BinaryOpScalarFunctorIlLi2ELi1ELi1EEEJSt5minusIlElEEEvT_T0_DpT1_,comdat
.Lfunc_end98:
	.size	_ZN2at6native12_GLOBAL__N_125multi_tensor_apply_kernelINS1_18TensorListMetadataILi2EEENS1_21BinaryOpScalarFunctorIlLi2ELi1ELi1EEEJSt5minusIlElEEEvT_T0_DpT1_, .Lfunc_end98-_ZN2at6native12_GLOBAL__N_125multi_tensor_apply_kernelINS1_18TensorListMetadataILi2EEENS1_21BinaryOpScalarFunctorIlLi2ELi1ELi1EEEJSt5minusIlElEEEvT_T0_DpT1_
                                        ; -- End function
	.set _ZN2at6native12_GLOBAL__N_125multi_tensor_apply_kernelINS1_18TensorListMetadataILi2EEENS1_21BinaryOpScalarFunctorIlLi2ELi1ELi1EEEJSt5minusIlElEEEvT_T0_DpT1_.num_vgpr, 34
	.set _ZN2at6native12_GLOBAL__N_125multi_tensor_apply_kernelINS1_18TensorListMetadataILi2EEENS1_21BinaryOpScalarFunctorIlLi2ELi1ELi1EEEJSt5minusIlElEEEvT_T0_DpT1_.num_agpr, 0
	.set _ZN2at6native12_GLOBAL__N_125multi_tensor_apply_kernelINS1_18TensorListMetadataILi2EEENS1_21BinaryOpScalarFunctorIlLi2ELi1ELi1EEEJSt5minusIlElEEEvT_T0_DpT1_.numbered_sgpr, 29
	.set _ZN2at6native12_GLOBAL__N_125multi_tensor_apply_kernelINS1_18TensorListMetadataILi2EEENS1_21BinaryOpScalarFunctorIlLi2ELi1ELi1EEEJSt5minusIlElEEEvT_T0_DpT1_.num_named_barrier, 0
	.set _ZN2at6native12_GLOBAL__N_125multi_tensor_apply_kernelINS1_18TensorListMetadataILi2EEENS1_21BinaryOpScalarFunctorIlLi2ELi1ELi1EEEJSt5minusIlElEEEvT_T0_DpT1_.private_seg_size, 0
	.set _ZN2at6native12_GLOBAL__N_125multi_tensor_apply_kernelINS1_18TensorListMetadataILi2EEENS1_21BinaryOpScalarFunctorIlLi2ELi1ELi1EEEJSt5minusIlElEEEvT_T0_DpT1_.uses_vcc, 1
	.set _ZN2at6native12_GLOBAL__N_125multi_tensor_apply_kernelINS1_18TensorListMetadataILi2EEENS1_21BinaryOpScalarFunctorIlLi2ELi1ELi1EEEJSt5minusIlElEEEvT_T0_DpT1_.uses_flat_scratch, 0
	.set _ZN2at6native12_GLOBAL__N_125multi_tensor_apply_kernelINS1_18TensorListMetadataILi2EEENS1_21BinaryOpScalarFunctorIlLi2ELi1ELi1EEEJSt5minusIlElEEEvT_T0_DpT1_.has_dyn_sized_stack, 0
	.set _ZN2at6native12_GLOBAL__N_125multi_tensor_apply_kernelINS1_18TensorListMetadataILi2EEENS1_21BinaryOpScalarFunctorIlLi2ELi1ELi1EEEJSt5minusIlElEEEvT_T0_DpT1_.has_recursion, 0
	.set _ZN2at6native12_GLOBAL__N_125multi_tensor_apply_kernelINS1_18TensorListMetadataILi2EEENS1_21BinaryOpScalarFunctorIlLi2ELi1ELi1EEEJSt5minusIlElEEEvT_T0_DpT1_.has_indirect_call, 0
	.section	.AMDGPU.csdata,"",@progbits
; Kernel info:
; codeLenInByte = 1220
; TotalNumSgprs: 35
; NumVgprs: 34
; NumAgprs: 0
; TotalNumVgprs: 34
; ScratchSize: 0
; MemoryBound: 0
; FloatMode: 240
; IeeeMode: 1
; LDSByteSize: 0 bytes/workgroup (compile time only)
; SGPRBlocks: 4
; VGPRBlocks: 4
; NumSGPRsForWavesPerEU: 35
; NumVGPRsForWavesPerEU: 34
; AccumOffset: 36
; Occupancy: 8
; WaveLimiterHint : 0
; COMPUTE_PGM_RSRC2:SCRATCH_EN: 0
; COMPUTE_PGM_RSRC2:USER_SGPR: 2
; COMPUTE_PGM_RSRC2:TRAP_HANDLER: 0
; COMPUTE_PGM_RSRC2:TGID_X_EN: 1
; COMPUTE_PGM_RSRC2:TGID_Y_EN: 0
; COMPUTE_PGM_RSRC2:TGID_Z_EN: 0
; COMPUTE_PGM_RSRC2:TIDIG_COMP_CNT: 0
; COMPUTE_PGM_RSRC3_GFX90A:ACCUM_OFFSET: 8
; COMPUTE_PGM_RSRC3_GFX90A:TG_SPLIT: 0
	.section	.text._ZN2at6native12_GLOBAL__N_125multi_tensor_apply_kernelINS1_18TensorListMetadataILi2EEENS1_21BinaryOpScalarFunctorIsLi2ELi1ELi1EEEJSt5minusIsEsEEEvT_T0_DpT1_,"axG",@progbits,_ZN2at6native12_GLOBAL__N_125multi_tensor_apply_kernelINS1_18TensorListMetadataILi2EEENS1_21BinaryOpScalarFunctorIsLi2ELi1ELi1EEEJSt5minusIsEsEEEvT_T0_DpT1_,comdat
	.globl	_ZN2at6native12_GLOBAL__N_125multi_tensor_apply_kernelINS1_18TensorListMetadataILi2EEENS1_21BinaryOpScalarFunctorIsLi2ELi1ELi1EEEJSt5minusIsEsEEEvT_T0_DpT1_ ; -- Begin function _ZN2at6native12_GLOBAL__N_125multi_tensor_apply_kernelINS1_18TensorListMetadataILi2EEENS1_21BinaryOpScalarFunctorIsLi2ELi1ELi1EEEJSt5minusIsEsEEEvT_T0_DpT1_
	.p2align	8
	.type	_ZN2at6native12_GLOBAL__N_125multi_tensor_apply_kernelINS1_18TensorListMetadataILi2EEENS1_21BinaryOpScalarFunctorIsLi2ELi1ELi1EEEJSt5minusIsEsEEEvT_T0_DpT1_,@function
_ZN2at6native12_GLOBAL__N_125multi_tensor_apply_kernelINS1_18TensorListMetadataILi2EEENS1_21BinaryOpScalarFunctorIsLi2ELi1ELi1EEEJSt5minusIsEsEEEvT_T0_DpT1_: ; @_ZN2at6native12_GLOBAL__N_125multi_tensor_apply_kernelINS1_18TensorListMetadataILi2EEENS1_21BinaryOpScalarFunctorIsLi2ELi1ELi1EEEJSt5minusIsEsEEEvT_T0_DpT1_
; %bb.0:
	v_mov_b32_e32 v1, s2
	global_load_ubyte v1, v1, s[0:1] offset:1536
	s_load_dword s4, s[0:1], 0xc48
	s_mul_hi_u32 s7, s2, 3
	s_mul_i32 s6, s2, 3
	s_mov_b32 s3, 0
	s_mov_b32 s5, s3
	s_waitcnt lgkmcnt(0)
	s_lshr_b32 s26, s4, 16
	s_add_u32 s2, s0, s2
	s_addc_u32 s4, s1, 0
	s_add_u32 s6, s2, s6
	s_addc_u32 s7, s4, s7
	s_load_dword s6, s[6:7], 0x740
	s_waitcnt lgkmcnt(0)
	s_ashr_i32 s7, s6, 31
	s_lshl_b64 s[12:13], s[6:7], 17
	s_lshl_b64 s[6:7], s[6:7], 16
	s_waitcnt vmcnt(0)
	v_readfirstlane_b32 s2, v1
	s_lshl_b32 s2, s2, 3
	s_load_dwordx2 s[16:17], s[0:1], s2 offset:0x400
	s_load_dwordx2 s[8:9], s[0:1], s2 offset:0x0
	;; [unrolled: 1-line block ×3, first 2 shown]
	s_waitcnt lgkmcnt(0)
	s_add_u32 s2, s8, s12
	s_and_b32 s4, s10, 7
	s_and_b32 s2, s2, 7
	s_sub_u32 s14, s16, s6
	s_subb_u32 s15, s17, s7
	s_and_b32 s6, s16, 3
	s_mov_b32 s7, s3
	s_or_b64 s[4:5], s[4:5], s[6:7]
	s_or_b64 s[2:3], s[4:5], s[2:3]
	s_cmp_eq_u64 s[2:3], 0
	s_mov_b64 s[2:3], -1
	s_cbranch_scc1 .LBB99_21
; %bb.1:
	v_cmp_lt_i64_e64 s[2:3], s[14:15], 1
	s_and_b64 vcc, exec, s[2:3]
	s_cbranch_vccnz .LBB99_20
; %bb.2:
	s_load_dword s2, s[0:1], 0xc5c
	v_mov_b64_e32 v[2:3], 0x10000
	v_cmp_lt_i64_e32 vcc, s[14:15], v[2:3]
	s_and_b64 s[4:5], vcc, exec
	s_cselect_b32 s5, s15, 0
	s_cselect_b32 s4, s14, 0x10000
	s_waitcnt lgkmcnt(0)
	s_and_b32 s2, s2, 0xffff
	v_cmp_lt_u64_e32 vcc, s[14:15], v[2:3]
	s_mov_b32 s3, 0
	v_mov_b32_e32 v1, 0
	s_and_b64 s[6:7], vcc, exec
	s_cselect_b32 s17, s15, 0
	s_cselect_b32 s16, s14, 0x10000
	s_lshl_b32 s18, s2, 2
	s_mov_b32 s19, s3
	v_lshlrev_b32_e32 v12, 1, v0
	v_mov_b32_e32 v13, v1
	v_lshl_add_u64 v[18:19], v[0:1], 0, s[2:3]
	s_lshl_b32 s6, s2, 1
	s_mov_b32 s7, s3
	s_mul_i32 s22, s2, 3
	s_mov_b32 s23, s3
	v_mad_u64_u32 v[8:9], s[24:25], s2, 6, v[12:13]
	v_lshl_add_u64 v[14:15], s[18:19], 0, v[12:13]
	v_lshlrev_b32_e32 v22, 1, v18
	v_mov_b32_e32 v23, v1
	v_lshl_add_u64 v[2:3], s[8:9], 0, v[12:13]
	s_lshl_b32 s20, s2, 3
	s_mov_b32 s21, s3
	v_lshl_add_u64 v[4:5], s[10:11], 0, v[12:13]
	v_lshl_add_u64 v[6:7], s[8:9], 0, v[8:9]
	;; [unrolled: 1-line block ×9, first 2 shown]
	s_mov_b64 s[22:23], 0
	v_mov_b64_e32 v[24:25], s[4:5]
	s_branch .LBB99_4
.LBB99_3:                               ;   in Loop: Header=BB99_4 Depth=1
	s_or_b64 exec, exec, s[2:3]
	s_add_u32 s22, s22, s18
	s_addc_u32 s23, s23, 0
	v_cmp_lt_i64_e32 vcc, s[22:23], v[24:25]
	v_lshl_add_u64 v[2:3], v[2:3], 0, s[20:21]
	v_lshl_add_u64 v[4:5], v[4:5], 0, s[20:21]
	;; [unrolled: 1-line block ×8, first 2 shown]
	s_cbranch_vccz .LBB99_20
.LBB99_4:                               ; =>This Inner Loop Header: Depth=1
	s_waitcnt vmcnt(0)
	v_lshl_add_u64 v[26:27], v[0:1], 0, s[22:23]
	v_cmp_gt_u64_e32 vcc, s[16:17], v[26:27]
	v_mov_b32_e32 v27, 0
	s_and_saveexec_b64 s[2:3], vcc
	s_cbranch_execz .LBB99_6
; %bb.5:                                ;   in Loop: Header=BB99_4 Depth=1
	v_lshl_add_u64 v[26:27], v[2:3], 0, s[12:13]
	global_load_ushort v27, v[26:27], off
.LBB99_6:                               ;   in Loop: Header=BB99_4 Depth=1
	s_or_b64 exec, exec, s[2:3]
	v_lshl_add_u64 v[28:29], v[18:19], 0, s[22:23]
	v_cmp_gt_u64_e64 s[2:3], s[16:17], v[28:29]
	v_mov_b32_e32 v26, 0
	v_mov_b32_e32 v28, 0
	s_and_saveexec_b64 s[4:5], s[2:3]
	s_cbranch_execz .LBB99_8
; %bb.7:                                ;   in Loop: Header=BB99_4 Depth=1
	v_lshl_add_u64 v[28:29], v[20:21], 0, s[12:13]
	global_load_ushort v28, v[28:29], off
.LBB99_8:                               ;   in Loop: Header=BB99_4 Depth=1
	s_or_b64 exec, exec, s[4:5]
	v_lshl_add_u64 v[30:31], v[16:17], 0, s[22:23]
	v_cmp_gt_u64_e64 s[4:5], s[16:17], v[30:31]
	s_and_saveexec_b64 s[6:7], s[4:5]
	s_cbranch_execz .LBB99_10
; %bb.9:                                ;   in Loop: Header=BB99_4 Depth=1
	v_lshl_add_u64 v[30:31], v[12:13], 0, s[12:13]
	global_load_ushort v26, v[30:31], off
.LBB99_10:                              ;   in Loop: Header=BB99_4 Depth=1
	s_or_b64 exec, exec, s[6:7]
	v_lshl_add_u64 v[30:31], v[10:11], 0, s[22:23]
	v_cmp_gt_u64_e64 s[6:7], s[16:17], v[30:31]
	v_mov_b32_e32 v29, 0
	s_and_saveexec_b64 s[24:25], s[6:7]
	s_cbranch_execnz .LBB99_15
; %bb.11:                               ;   in Loop: Header=BB99_4 Depth=1
	s_or_b64 exec, exec, s[24:25]
	s_and_saveexec_b64 s[24:25], vcc
	s_cbranch_execnz .LBB99_16
.LBB99_12:                              ;   in Loop: Header=BB99_4 Depth=1
	s_or_b64 exec, exec, s[24:25]
	s_and_saveexec_b64 s[24:25], s[2:3]
	s_cbranch_execnz .LBB99_17
.LBB99_13:                              ;   in Loop: Header=BB99_4 Depth=1
	s_or_b64 exec, exec, s[24:25]
	s_and_saveexec_b64 s[2:3], s[4:5]
	s_cbranch_execnz .LBB99_18
.LBB99_14:                              ;   in Loop: Header=BB99_4 Depth=1
	s_or_b64 exec, exec, s[2:3]
	s_and_saveexec_b64 s[2:3], s[6:7]
	s_cbranch_execz .LBB99_3
	s_branch .LBB99_19
.LBB99_15:                              ;   in Loop: Header=BB99_4 Depth=1
	v_lshl_add_u64 v[30:31], v[6:7], 0, s[12:13]
	global_load_ushort v29, v[30:31], off
	s_or_b64 exec, exec, s[24:25]
	s_and_saveexec_b64 s[24:25], vcc
	s_cbranch_execz .LBB99_12
.LBB99_16:                              ;   in Loop: Header=BB99_4 Depth=1
	s_waitcnt vmcnt(0)
	v_subrev_u16_e32 v27, s26, v27
	v_lshl_add_u64 v[30:31], v[4:5], 0, s[12:13]
	global_store_short v[30:31], v27, off
	s_or_b64 exec, exec, s[24:25]
	s_and_saveexec_b64 s[24:25], s[2:3]
	s_cbranch_execz .LBB99_13
.LBB99_17:                              ;   in Loop: Header=BB99_4 Depth=1
	s_waitcnt vmcnt(0)
	v_subrev_u16_e32 v27, s26, v28
	v_lshl_add_u64 v[30:31], v[22:23], 0, s[12:13]
	global_store_short v[30:31], v27, off
	s_or_b64 exec, exec, s[24:25]
	s_and_saveexec_b64 s[2:3], s[4:5]
	s_cbranch_execz .LBB99_14
.LBB99_18:                              ;   in Loop: Header=BB99_4 Depth=1
	s_waitcnt vmcnt(0)
	v_subrev_u16_e32 v28, s26, v26
	v_lshl_add_u64 v[26:27], v[14:15], 0, s[12:13]
	global_store_short v[26:27], v28, off
	s_or_b64 exec, exec, s[2:3]
	s_and_saveexec_b64 s[2:3], s[6:7]
	s_cbranch_execz .LBB99_3
.LBB99_19:                              ;   in Loop: Header=BB99_4 Depth=1
	s_waitcnt vmcnt(0)
	v_subrev_u16_e32 v28, s26, v29
	v_lshl_add_u64 v[26:27], v[8:9], 0, s[12:13]
	global_store_short v[26:27], v28, off
	s_branch .LBB99_3
.LBB99_20:
	s_mov_b64 s[2:3], 0
.LBB99_21:
	s_andn2_b64 vcc, exec, s[2:3]
	s_cbranch_vccnz .LBB99_25
; %bb.22:
	v_mov_b64_e32 v[4:5], 0x10000
	v_cmp_lt_i64_e32 vcc, s[14:15], v[4:5]
	s_and_b64 s[4:5], vcc, exec
	v_mov_b32_e32 v3, 0
	s_cselect_b32 s5, s15, 0
	s_cselect_b32 s4, s14, 0x10000
	v_lshlrev_b32_e32 v2, 2, v0
	s_mov_b32 s3, 0
	v_cmp_gt_i64_e32 vcc, s[4:5], v[2:3]
	s_and_saveexec_b64 s[6:7], vcc
	s_cbranch_execz .LBB99_25
; %bb.23:
	s_load_dword s0, s[0:1], 0xc5c
	v_lshlrev_b32_e32 v2, 3, v0
	v_mov_b32_e32 v1, v3
	s_mov_b32 s1, s3
	v_lshl_add_u64 v[2:3], s[12:13], 0, v[2:3]
	s_waitcnt lgkmcnt(0)
	s_and_b32 s2, s0, 0xffff
	s_lshl_b32 s0, s2, 3
	s_mov_b64 s[6:7], 0
	s_mov_b32 s12, 0x5040100
.LBB99_24:                              ; =>This Inner Loop Header: Depth=1
	v_lshl_add_u64 v[4:5], s[8:9], 0, v[2:3]
	global_load_dwordx2 v[4:5], v[4:5], off
	v_lshl_add_u64 v[0:1], v[0:1], 0, s[2:3]
	v_lshlrev_b64 v[8:9], 2, v[0:1]
	v_cmp_le_i64_e32 vcc, s[4:5], v[8:9]
	v_lshl_add_u64 v[6:7], s[10:11], 0, v[2:3]
	v_lshl_add_u64 v[2:3], v[2:3], 0, s[0:1]
	s_or_b64 s[6:7], vcc, s[6:7]
	s_waitcnt vmcnt(0)
	v_subrev_u16_e32 v8, s26, v4
	v_sub_u16_sdwa v4, v4, s26 dst_sel:DWORD dst_unused:UNUSED_PAD src0_sel:WORD_1 src1_sel:DWORD
	v_subrev_u16_e32 v9, s26, v5
	v_sub_u16_sdwa v5, v5, s26 dst_sel:DWORD dst_unused:UNUSED_PAD src0_sel:WORD_1 src1_sel:DWORD
	v_perm_b32 v5, v5, v9, s12
	v_perm_b32 v4, v4, v8, s12
	global_store_dwordx2 v[6:7], v[4:5], off
	s_andn2_b64 exec, exec, s[6:7]
	s_cbranch_execnz .LBB99_24
.LBB99_25:
	s_endpgm
	.section	.rodata,"a",@progbits
	.p2align	6, 0x0
	.amdhsa_kernel _ZN2at6native12_GLOBAL__N_125multi_tensor_apply_kernelINS1_18TensorListMetadataILi2EEENS1_21BinaryOpScalarFunctorIsLi2ELi1ELi1EEEJSt5minusIsEsEEEvT_T0_DpT1_
		.amdhsa_group_segment_fixed_size 0
		.amdhsa_private_segment_fixed_size 0
		.amdhsa_kernarg_size 3408
		.amdhsa_user_sgpr_count 2
		.amdhsa_user_sgpr_dispatch_ptr 0
		.amdhsa_user_sgpr_queue_ptr 0
		.amdhsa_user_sgpr_kernarg_segment_ptr 1
		.amdhsa_user_sgpr_dispatch_id 0
		.amdhsa_user_sgpr_kernarg_preload_length 0
		.amdhsa_user_sgpr_kernarg_preload_offset 0
		.amdhsa_user_sgpr_private_segment_size 0
		.amdhsa_uses_dynamic_stack 0
		.amdhsa_enable_private_segment 0
		.amdhsa_system_sgpr_workgroup_id_x 1
		.amdhsa_system_sgpr_workgroup_id_y 0
		.amdhsa_system_sgpr_workgroup_id_z 0
		.amdhsa_system_sgpr_workgroup_info 0
		.amdhsa_system_vgpr_workitem_id 0
		.amdhsa_next_free_vgpr 32
		.amdhsa_next_free_sgpr 27
		.amdhsa_accum_offset 32
		.amdhsa_reserve_vcc 1
		.amdhsa_float_round_mode_32 0
		.amdhsa_float_round_mode_16_64 0
		.amdhsa_float_denorm_mode_32 3
		.amdhsa_float_denorm_mode_16_64 3
		.amdhsa_dx10_clamp 1
		.amdhsa_ieee_mode 1
		.amdhsa_fp16_overflow 0
		.amdhsa_tg_split 0
		.amdhsa_exception_fp_ieee_invalid_op 0
		.amdhsa_exception_fp_denorm_src 0
		.amdhsa_exception_fp_ieee_div_zero 0
		.amdhsa_exception_fp_ieee_overflow 0
		.amdhsa_exception_fp_ieee_underflow 0
		.amdhsa_exception_fp_ieee_inexact 0
		.amdhsa_exception_int_div_zero 0
	.end_amdhsa_kernel
	.section	.text._ZN2at6native12_GLOBAL__N_125multi_tensor_apply_kernelINS1_18TensorListMetadataILi2EEENS1_21BinaryOpScalarFunctorIsLi2ELi1ELi1EEEJSt5minusIsEsEEEvT_T0_DpT1_,"axG",@progbits,_ZN2at6native12_GLOBAL__N_125multi_tensor_apply_kernelINS1_18TensorListMetadataILi2EEENS1_21BinaryOpScalarFunctorIsLi2ELi1ELi1EEEJSt5minusIsEsEEEvT_T0_DpT1_,comdat
.Lfunc_end99:
	.size	_ZN2at6native12_GLOBAL__N_125multi_tensor_apply_kernelINS1_18TensorListMetadataILi2EEENS1_21BinaryOpScalarFunctorIsLi2ELi1ELi1EEEJSt5minusIsEsEEEvT_T0_DpT1_, .Lfunc_end99-_ZN2at6native12_GLOBAL__N_125multi_tensor_apply_kernelINS1_18TensorListMetadataILi2EEENS1_21BinaryOpScalarFunctorIsLi2ELi1ELi1EEEJSt5minusIsEsEEEvT_T0_DpT1_
                                        ; -- End function
	.set _ZN2at6native12_GLOBAL__N_125multi_tensor_apply_kernelINS1_18TensorListMetadataILi2EEENS1_21BinaryOpScalarFunctorIsLi2ELi1ELi1EEEJSt5minusIsEsEEEvT_T0_DpT1_.num_vgpr, 32
	.set _ZN2at6native12_GLOBAL__N_125multi_tensor_apply_kernelINS1_18TensorListMetadataILi2EEENS1_21BinaryOpScalarFunctorIsLi2ELi1ELi1EEEJSt5minusIsEsEEEvT_T0_DpT1_.num_agpr, 0
	.set _ZN2at6native12_GLOBAL__N_125multi_tensor_apply_kernelINS1_18TensorListMetadataILi2EEENS1_21BinaryOpScalarFunctorIsLi2ELi1ELi1EEEJSt5minusIsEsEEEvT_T0_DpT1_.numbered_sgpr, 27
	.set _ZN2at6native12_GLOBAL__N_125multi_tensor_apply_kernelINS1_18TensorListMetadataILi2EEENS1_21BinaryOpScalarFunctorIsLi2ELi1ELi1EEEJSt5minusIsEsEEEvT_T0_DpT1_.num_named_barrier, 0
	.set _ZN2at6native12_GLOBAL__N_125multi_tensor_apply_kernelINS1_18TensorListMetadataILi2EEENS1_21BinaryOpScalarFunctorIsLi2ELi1ELi1EEEJSt5minusIsEsEEEvT_T0_DpT1_.private_seg_size, 0
	.set _ZN2at6native12_GLOBAL__N_125multi_tensor_apply_kernelINS1_18TensorListMetadataILi2EEENS1_21BinaryOpScalarFunctorIsLi2ELi1ELi1EEEJSt5minusIsEsEEEvT_T0_DpT1_.uses_vcc, 1
	.set _ZN2at6native12_GLOBAL__N_125multi_tensor_apply_kernelINS1_18TensorListMetadataILi2EEENS1_21BinaryOpScalarFunctorIsLi2ELi1ELi1EEEJSt5minusIsEsEEEvT_T0_DpT1_.uses_flat_scratch, 0
	.set _ZN2at6native12_GLOBAL__N_125multi_tensor_apply_kernelINS1_18TensorListMetadataILi2EEENS1_21BinaryOpScalarFunctorIsLi2ELi1ELi1EEEJSt5minusIsEsEEEvT_T0_DpT1_.has_dyn_sized_stack, 0
	.set _ZN2at6native12_GLOBAL__N_125multi_tensor_apply_kernelINS1_18TensorListMetadataILi2EEENS1_21BinaryOpScalarFunctorIsLi2ELi1ELi1EEEJSt5minusIsEsEEEvT_T0_DpT1_.has_recursion, 0
	.set _ZN2at6native12_GLOBAL__N_125multi_tensor_apply_kernelINS1_18TensorListMetadataILi2EEENS1_21BinaryOpScalarFunctorIsLi2ELi1ELi1EEEJSt5minusIsEsEEEvT_T0_DpT1_.has_indirect_call, 0
	.section	.AMDGPU.csdata,"",@progbits
; Kernel info:
; codeLenInByte = 1140
; TotalNumSgprs: 33
; NumVgprs: 32
; NumAgprs: 0
; TotalNumVgprs: 32
; ScratchSize: 0
; MemoryBound: 0
; FloatMode: 240
; IeeeMode: 1
; LDSByteSize: 0 bytes/workgroup (compile time only)
; SGPRBlocks: 4
; VGPRBlocks: 3
; NumSGPRsForWavesPerEU: 33
; NumVGPRsForWavesPerEU: 32
; AccumOffset: 32
; Occupancy: 8
; WaveLimiterHint : 0
; COMPUTE_PGM_RSRC2:SCRATCH_EN: 0
; COMPUTE_PGM_RSRC2:USER_SGPR: 2
; COMPUTE_PGM_RSRC2:TRAP_HANDLER: 0
; COMPUTE_PGM_RSRC2:TGID_X_EN: 1
; COMPUTE_PGM_RSRC2:TGID_Y_EN: 0
; COMPUTE_PGM_RSRC2:TGID_Z_EN: 0
; COMPUTE_PGM_RSRC2:TIDIG_COMP_CNT: 0
; COMPUTE_PGM_RSRC3_GFX90A:ACCUM_OFFSET: 7
; COMPUTE_PGM_RSRC3_GFX90A:TG_SPLIT: 0
	.section	.text._ZN2at6native12_GLOBAL__N_125multi_tensor_apply_kernelINS1_18TensorListMetadataILi2EEENS1_21BinaryOpScalarFunctorIdLi2ELi1ELi1EEEJSt5minusIdEdEEEvT_T0_DpT1_,"axG",@progbits,_ZN2at6native12_GLOBAL__N_125multi_tensor_apply_kernelINS1_18TensorListMetadataILi2EEENS1_21BinaryOpScalarFunctorIdLi2ELi1ELi1EEEJSt5minusIdEdEEEvT_T0_DpT1_,comdat
	.globl	_ZN2at6native12_GLOBAL__N_125multi_tensor_apply_kernelINS1_18TensorListMetadataILi2EEENS1_21BinaryOpScalarFunctorIdLi2ELi1ELi1EEEJSt5minusIdEdEEEvT_T0_DpT1_ ; -- Begin function _ZN2at6native12_GLOBAL__N_125multi_tensor_apply_kernelINS1_18TensorListMetadataILi2EEENS1_21BinaryOpScalarFunctorIdLi2ELi1ELi1EEEJSt5minusIdEdEEEvT_T0_DpT1_
	.p2align	8
	.type	_ZN2at6native12_GLOBAL__N_125multi_tensor_apply_kernelINS1_18TensorListMetadataILi2EEENS1_21BinaryOpScalarFunctorIdLi2ELi1ELi1EEEJSt5minusIdEdEEEvT_T0_DpT1_,@function
_ZN2at6native12_GLOBAL__N_125multi_tensor_apply_kernelINS1_18TensorListMetadataILi2EEENS1_21BinaryOpScalarFunctorIdLi2ELi1ELi1EEEJSt5minusIdEdEEEvT_T0_DpT1_: ; @_ZN2at6native12_GLOBAL__N_125multi_tensor_apply_kernelINS1_18TensorListMetadataILi2EEENS1_21BinaryOpScalarFunctorIdLi2ELi1ELi1EEEJSt5minusIdEdEEEvT_T0_DpT1_
; %bb.0:
	v_mov_b32_e32 v1, s2
	global_load_ubyte v1, v1, s[0:1] offset:1536
	s_add_u32 s4, s0, s2
	s_mul_hi_u32 s7, s2, 3
	s_mul_i32 s2, s2, 3
	s_addc_u32 s8, s1, 0
	s_add_u32 s6, s4, s2
	s_addc_u32 s7, s8, s7
	s_load_dword s6, s[6:7], 0x740
	s_mov_b32 s3, 0
	s_mov_b32 s5, s3
	s_waitcnt lgkmcnt(0)
	s_ashr_i32 s7, s6, 31
	s_lshl_b64 s[14:15], s[6:7], 19
	s_lshl_b64 s[6:7], s[6:7], 16
	s_waitcnt vmcnt(0)
	v_readfirstlane_b32 s2, v1
	s_lshl_b32 s2, s2, 3
	s_load_dwordx2 s[8:9], s[0:1], 0xc50
	s_load_dwordx2 s[18:19], s[0:1], s2 offset:0x400
	s_load_dwordx2 s[10:11], s[0:1], s2 offset:0x0
	;; [unrolled: 1-line block ×3, first 2 shown]
	s_waitcnt lgkmcnt(0)
	s_add_u32 s2, s10, s14
	s_and_b32 s4, s12, 31
	s_and_b32 s2, s2, 31
	s_sub_u32 s16, s18, s6
	s_subb_u32 s17, s19, s7
	s_and_b32 s6, s18, 3
	s_mov_b32 s7, s3
	s_or_b64 s[4:5], s[4:5], s[6:7]
	s_or_b64 s[2:3], s[4:5], s[2:3]
	s_cmp_eq_u64 s[2:3], 0
	s_mov_b64 s[2:3], -1
	s_cbranch_scc1 .LBB100_21
; %bb.1:
	v_cmp_lt_i64_e64 s[2:3], s[16:17], 1
	s_and_b64 vcc, exec, s[2:3]
	s_cbranch_vccnz .LBB100_20
; %bb.2:
	s_load_dword s2, s[0:1], 0xc64
	v_mov_b64_e32 v[2:3], 0x10000
	v_cmp_lt_i64_e32 vcc, s[16:17], v[2:3]
	s_and_b64 s[4:5], vcc, exec
	s_mov_b32 s3, 0
	s_cselect_b32 s19, s17, 0
	s_cselect_b32 s18, s16, 0x10000
	s_waitcnt lgkmcnt(0)
	s_and_b32 s2, s2, 0xffff
	v_cmp_lt_u64_e32 vcc, s[16:17], v[2:3]
	v_mov_b32_e32 v1, 0
	s_and_b64 s[4:5], vcc, exec
	s_mul_i32 s6, s2, 3
	s_mov_b32 s7, s3
	s_cselect_b32 s21, s17, 0
	s_cselect_b32 s20, s16, 0x10000
	v_lshlrev_b32_e32 v12, 3, v0
	v_mov_b32_e32 v13, v1
	v_lshl_add_u64 v[10:11], s[6:7], 0, v[0:1]
	s_lshl_b32 s6, s2, 4
	v_lshl_add_u64 v[18:19], v[0:1], 0, s[2:3]
	s_lshl_b32 s4, s2, 1
	s_mov_b32 s5, s3
	v_mad_u64_u32 v[8:9], s[24:25], s2, 24, v[12:13]
	v_lshl_add_u64 v[14:15], s[6:7], 0, v[12:13]
	v_lshlrev_b32_e32 v22, 3, v18
	v_mov_b32_e32 v23, v1
	s_lshl_b32 s28, s2, 2
	v_lshl_add_u64 v[2:3], s[10:11], 0, v[12:13]
	s_lshl_b32 s22, s2, 5
	s_mov_b32 s23, s3
	v_lshl_add_u64 v[4:5], s[12:13], 0, v[12:13]
	v_lshl_add_u64 v[6:7], s[10:11], 0, v[8:9]
	;; [unrolled: 1-line block ×8, first 2 shown]
	s_mov_b64 s[24:25], 0
	s_branch .LBB100_4
.LBB100_3:                              ;   in Loop: Header=BB100_4 Depth=1
	s_or_b64 exec, exec, s[2:3]
	s_add_u32 s24, s24, s28
	s_addc_u32 s25, s25, 0
	s_waitcnt vmcnt(0)
	v_mov_b64_e32 v[24:25], s[18:19]
	v_cmp_lt_i64_e32 vcc, s[24:25], v[24:25]
	v_lshl_add_u64 v[2:3], v[2:3], 0, s[22:23]
	v_lshl_add_u64 v[4:5], v[4:5], 0, s[22:23]
	;; [unrolled: 1-line block ×8, first 2 shown]
	s_cbranch_vccz .LBB100_20
.LBB100_4:                              ; =>This Inner Loop Header: Depth=1
	v_lshl_add_u64 v[24:25], v[0:1], 0, s[24:25]
	v_cmp_gt_u64_e32 vcc, s[20:21], v[24:25]
	v_mov_b64_e32 v[24:25], 0
	v_mov_b64_e32 v[28:29], 0
	s_and_saveexec_b64 s[2:3], vcc
	s_cbranch_execz .LBB100_6
; %bb.5:                                ;   in Loop: Header=BB100_4 Depth=1
	v_lshl_add_u64 v[26:27], v[2:3], 0, s[14:15]
	global_load_dwordx2 v[28:29], v[26:27], off
.LBB100_6:                              ;   in Loop: Header=BB100_4 Depth=1
	s_or_b64 exec, exec, s[2:3]
	v_lshl_add_u64 v[26:27], v[18:19], 0, s[24:25]
	v_cmp_gt_u64_e64 s[2:3], s[20:21], v[26:27]
	s_and_saveexec_b64 s[4:5], s[2:3]
	s_cbranch_execz .LBB100_8
; %bb.7:                                ;   in Loop: Header=BB100_4 Depth=1
	v_lshl_add_u64 v[24:25], v[20:21], 0, s[14:15]
	global_load_dwordx2 v[24:25], v[24:25], off
.LBB100_8:                              ;   in Loop: Header=BB100_4 Depth=1
	s_or_b64 exec, exec, s[4:5]
	v_lshl_add_u64 v[26:27], v[16:17], 0, s[24:25]
	v_cmp_gt_u64_e64 s[4:5], s[20:21], v[26:27]
	v_mov_b64_e32 v[26:27], 0
	v_mov_b64_e32 v[30:31], 0
	s_and_saveexec_b64 s[6:7], s[4:5]
	s_cbranch_execz .LBB100_10
; %bb.9:                                ;   in Loop: Header=BB100_4 Depth=1
	v_lshl_add_u64 v[30:31], v[12:13], 0, s[14:15]
	global_load_dwordx2 v[30:31], v[30:31], off
.LBB100_10:                             ;   in Loop: Header=BB100_4 Depth=1
	s_or_b64 exec, exec, s[6:7]
	v_lshl_add_u64 v[32:33], v[10:11], 0, s[24:25]
	v_cmp_gt_u64_e64 s[6:7], s[20:21], v[32:33]
	s_and_saveexec_b64 s[26:27], s[6:7]
	s_cbranch_execnz .LBB100_15
; %bb.11:                               ;   in Loop: Header=BB100_4 Depth=1
	s_or_b64 exec, exec, s[26:27]
	s_and_saveexec_b64 s[26:27], vcc
	s_cbranch_execnz .LBB100_16
.LBB100_12:                             ;   in Loop: Header=BB100_4 Depth=1
	s_or_b64 exec, exec, s[26:27]
	s_and_saveexec_b64 s[26:27], s[2:3]
	s_cbranch_execnz .LBB100_17
.LBB100_13:                             ;   in Loop: Header=BB100_4 Depth=1
	s_or_b64 exec, exec, s[26:27]
	s_and_saveexec_b64 s[2:3], s[4:5]
	s_cbranch_execnz .LBB100_18
.LBB100_14:                             ;   in Loop: Header=BB100_4 Depth=1
	s_or_b64 exec, exec, s[2:3]
	s_and_saveexec_b64 s[2:3], s[6:7]
	s_cbranch_execz .LBB100_3
	s_branch .LBB100_19
.LBB100_15:                             ;   in Loop: Header=BB100_4 Depth=1
	v_lshl_add_u64 v[26:27], v[6:7], 0, s[14:15]
	global_load_dwordx2 v[26:27], v[26:27], off
	s_or_b64 exec, exec, s[26:27]
	s_and_saveexec_b64 s[26:27], vcc
	s_cbranch_execz .LBB100_12
.LBB100_16:                             ;   in Loop: Header=BB100_4 Depth=1
	s_waitcnt vmcnt(0)
	v_add_f64 v[28:29], v[28:29], -s[8:9]
	v_lshl_add_u64 v[32:33], v[4:5], 0, s[14:15]
	global_store_dwordx2 v[32:33], v[28:29], off
	s_or_b64 exec, exec, s[26:27]
	s_and_saveexec_b64 s[26:27], s[2:3]
	s_cbranch_execz .LBB100_13
.LBB100_17:                             ;   in Loop: Header=BB100_4 Depth=1
	s_waitcnt vmcnt(0)
	v_add_f64 v[24:25], v[24:25], -s[8:9]
	v_lshl_add_u64 v[28:29], v[22:23], 0, s[14:15]
	global_store_dwordx2 v[28:29], v[24:25], off
	s_or_b64 exec, exec, s[26:27]
	s_and_saveexec_b64 s[2:3], s[4:5]
	s_cbranch_execz .LBB100_14
.LBB100_18:                             ;   in Loop: Header=BB100_4 Depth=1
	s_waitcnt vmcnt(0)
	v_add_f64 v[24:25], v[30:31], -s[8:9]
	v_lshl_add_u64 v[28:29], v[14:15], 0, s[14:15]
	global_store_dwordx2 v[28:29], v[24:25], off
	s_or_b64 exec, exec, s[2:3]
	s_and_saveexec_b64 s[2:3], s[6:7]
	s_cbranch_execz .LBB100_3
.LBB100_19:                             ;   in Loop: Header=BB100_4 Depth=1
	s_waitcnt vmcnt(0)
	v_add_f64 v[24:25], v[26:27], -s[8:9]
	v_lshl_add_u64 v[26:27], v[8:9], 0, s[14:15]
	global_store_dwordx2 v[26:27], v[24:25], off
	s_branch .LBB100_3
.LBB100_20:
	s_mov_b64 s[2:3], 0
.LBB100_21:
	s_andn2_b64 vcc, exec, s[2:3]
	s_cbranch_vccnz .LBB100_25
; %bb.22:
	v_mov_b64_e32 v[4:5], 0x10000
	v_cmp_lt_i64_e32 vcc, s[16:17], v[4:5]
	s_and_b64 s[4:5], vcc, exec
	v_mov_b32_e32 v3, 0
	s_cselect_b32 s5, s17, 0
	s_cselect_b32 s4, s16, 0x10000
	v_lshlrev_b32_e32 v2, 2, v0
	s_mov_b32 s3, 0
	v_cmp_gt_i64_e32 vcc, s[4:5], v[2:3]
	s_and_saveexec_b64 s[6:7], vcc
	s_cbranch_execz .LBB100_25
; %bb.23:
	s_load_dword s0, s[0:1], 0xc64
	v_lshlrev_b32_e32 v2, 5, v0
	v_mov_b32_e32 v1, v3
	s_mov_b32 s1, s3
	v_lshl_add_u64 v[2:3], s[14:15], 0, v[2:3]
	s_waitcnt lgkmcnt(0)
	s_and_b32 s2, s0, 0xffff
	s_lshl_b32 s0, s2, 5
	s_mov_b64 s[6:7], 0
.LBB100_24:                             ; =>This Inner Loop Header: Depth=1
	v_lshl_add_u64 v[12:13], s[10:11], 0, v[2:3]
	global_load_dwordx4 v[4:7], v[12:13], off
	global_load_dwordx4 v[8:11], v[12:13], off offset:16
	v_lshl_add_u64 v[0:1], v[0:1], 0, s[2:3]
	v_lshlrev_b64 v[14:15], 2, v[0:1]
	v_cmp_le_i64_e32 vcc, s[4:5], v[14:15]
	v_lshl_add_u64 v[12:13], s[12:13], 0, v[2:3]
	v_lshl_add_u64 v[2:3], v[2:3], 0, s[0:1]
	s_or_b64 s[6:7], vcc, s[6:7]
	s_waitcnt vmcnt(1)
	v_add_f64 v[4:5], v[4:5], -s[8:9]
	v_add_f64 v[6:7], v[6:7], -s[8:9]
	s_waitcnt vmcnt(0)
	v_add_f64 v[8:9], v[8:9], -s[8:9]
	v_add_f64 v[10:11], v[10:11], -s[8:9]
	global_store_dwordx4 v[12:13], v[4:7], off
	global_store_dwordx4 v[12:13], v[8:11], off offset:16
	s_andn2_b64 exec, exec, s[6:7]
	s_cbranch_execnz .LBB100_24
.LBB100_25:
	s_endpgm
	.section	.rodata,"a",@progbits
	.p2align	6, 0x0
	.amdhsa_kernel _ZN2at6native12_GLOBAL__N_125multi_tensor_apply_kernelINS1_18TensorListMetadataILi2EEENS1_21BinaryOpScalarFunctorIdLi2ELi1ELi1EEEJSt5minusIdEdEEEvT_T0_DpT1_
		.amdhsa_group_segment_fixed_size 0
		.amdhsa_private_segment_fixed_size 0
		.amdhsa_kernarg_size 3416
		.amdhsa_user_sgpr_count 2
		.amdhsa_user_sgpr_dispatch_ptr 0
		.amdhsa_user_sgpr_queue_ptr 0
		.amdhsa_user_sgpr_kernarg_segment_ptr 1
		.amdhsa_user_sgpr_dispatch_id 0
		.amdhsa_user_sgpr_kernarg_preload_length 0
		.amdhsa_user_sgpr_kernarg_preload_offset 0
		.amdhsa_user_sgpr_private_segment_size 0
		.amdhsa_uses_dynamic_stack 0
		.amdhsa_enable_private_segment 0
		.amdhsa_system_sgpr_workgroup_id_x 1
		.amdhsa_system_sgpr_workgroup_id_y 0
		.amdhsa_system_sgpr_workgroup_id_z 0
		.amdhsa_system_sgpr_workgroup_info 0
		.amdhsa_system_vgpr_workitem_id 0
		.amdhsa_next_free_vgpr 34
		.amdhsa_next_free_sgpr 29
		.amdhsa_accum_offset 36
		.amdhsa_reserve_vcc 1
		.amdhsa_float_round_mode_32 0
		.amdhsa_float_round_mode_16_64 0
		.amdhsa_float_denorm_mode_32 3
		.amdhsa_float_denorm_mode_16_64 3
		.amdhsa_dx10_clamp 1
		.amdhsa_ieee_mode 1
		.amdhsa_fp16_overflow 0
		.amdhsa_tg_split 0
		.amdhsa_exception_fp_ieee_invalid_op 0
		.amdhsa_exception_fp_denorm_src 0
		.amdhsa_exception_fp_ieee_div_zero 0
		.amdhsa_exception_fp_ieee_overflow 0
		.amdhsa_exception_fp_ieee_underflow 0
		.amdhsa_exception_fp_ieee_inexact 0
		.amdhsa_exception_int_div_zero 0
	.end_amdhsa_kernel
	.section	.text._ZN2at6native12_GLOBAL__N_125multi_tensor_apply_kernelINS1_18TensorListMetadataILi2EEENS1_21BinaryOpScalarFunctorIdLi2ELi1ELi1EEEJSt5minusIdEdEEEvT_T0_DpT1_,"axG",@progbits,_ZN2at6native12_GLOBAL__N_125multi_tensor_apply_kernelINS1_18TensorListMetadataILi2EEENS1_21BinaryOpScalarFunctorIdLi2ELi1ELi1EEEJSt5minusIdEdEEEvT_T0_DpT1_,comdat
.Lfunc_end100:
	.size	_ZN2at6native12_GLOBAL__N_125multi_tensor_apply_kernelINS1_18TensorListMetadataILi2EEENS1_21BinaryOpScalarFunctorIdLi2ELi1ELi1EEEJSt5minusIdEdEEEvT_T0_DpT1_, .Lfunc_end100-_ZN2at6native12_GLOBAL__N_125multi_tensor_apply_kernelINS1_18TensorListMetadataILi2EEENS1_21BinaryOpScalarFunctorIdLi2ELi1ELi1EEEJSt5minusIdEdEEEvT_T0_DpT1_
                                        ; -- End function
	.set _ZN2at6native12_GLOBAL__N_125multi_tensor_apply_kernelINS1_18TensorListMetadataILi2EEENS1_21BinaryOpScalarFunctorIdLi2ELi1ELi1EEEJSt5minusIdEdEEEvT_T0_DpT1_.num_vgpr, 34
	.set _ZN2at6native12_GLOBAL__N_125multi_tensor_apply_kernelINS1_18TensorListMetadataILi2EEENS1_21BinaryOpScalarFunctorIdLi2ELi1ELi1EEEJSt5minusIdEdEEEvT_T0_DpT1_.num_agpr, 0
	.set _ZN2at6native12_GLOBAL__N_125multi_tensor_apply_kernelINS1_18TensorListMetadataILi2EEENS1_21BinaryOpScalarFunctorIdLi2ELi1ELi1EEEJSt5minusIdEdEEEvT_T0_DpT1_.numbered_sgpr, 29
	.set _ZN2at6native12_GLOBAL__N_125multi_tensor_apply_kernelINS1_18TensorListMetadataILi2EEENS1_21BinaryOpScalarFunctorIdLi2ELi1ELi1EEEJSt5minusIdEdEEEvT_T0_DpT1_.num_named_barrier, 0
	.set _ZN2at6native12_GLOBAL__N_125multi_tensor_apply_kernelINS1_18TensorListMetadataILi2EEENS1_21BinaryOpScalarFunctorIdLi2ELi1ELi1EEEJSt5minusIdEdEEEvT_T0_DpT1_.private_seg_size, 0
	.set _ZN2at6native12_GLOBAL__N_125multi_tensor_apply_kernelINS1_18TensorListMetadataILi2EEENS1_21BinaryOpScalarFunctorIdLi2ELi1ELi1EEEJSt5minusIdEdEEEvT_T0_DpT1_.uses_vcc, 1
	.set _ZN2at6native12_GLOBAL__N_125multi_tensor_apply_kernelINS1_18TensorListMetadataILi2EEENS1_21BinaryOpScalarFunctorIdLi2ELi1ELi1EEEJSt5minusIdEdEEEvT_T0_DpT1_.uses_flat_scratch, 0
	.set _ZN2at6native12_GLOBAL__N_125multi_tensor_apply_kernelINS1_18TensorListMetadataILi2EEENS1_21BinaryOpScalarFunctorIdLi2ELi1ELi1EEEJSt5minusIdEdEEEvT_T0_DpT1_.has_dyn_sized_stack, 0
	.set _ZN2at6native12_GLOBAL__N_125multi_tensor_apply_kernelINS1_18TensorListMetadataILi2EEENS1_21BinaryOpScalarFunctorIdLi2ELi1ELi1EEEJSt5minusIdEdEEEvT_T0_DpT1_.has_recursion, 0
	.set _ZN2at6native12_GLOBAL__N_125multi_tensor_apply_kernelINS1_18TensorListMetadataILi2EEENS1_21BinaryOpScalarFunctorIdLi2ELi1ELi1EEEJSt5minusIdEdEEEvT_T0_DpT1_.has_indirect_call, 0
	.section	.AMDGPU.csdata,"",@progbits
; Kernel info:
; codeLenInByte = 1152
; TotalNumSgprs: 35
; NumVgprs: 34
; NumAgprs: 0
; TotalNumVgprs: 34
; ScratchSize: 0
; MemoryBound: 0
; FloatMode: 240
; IeeeMode: 1
; LDSByteSize: 0 bytes/workgroup (compile time only)
; SGPRBlocks: 4
; VGPRBlocks: 4
; NumSGPRsForWavesPerEU: 35
; NumVGPRsForWavesPerEU: 34
; AccumOffset: 36
; Occupancy: 8
; WaveLimiterHint : 0
; COMPUTE_PGM_RSRC2:SCRATCH_EN: 0
; COMPUTE_PGM_RSRC2:USER_SGPR: 2
; COMPUTE_PGM_RSRC2:TRAP_HANDLER: 0
; COMPUTE_PGM_RSRC2:TGID_X_EN: 1
; COMPUTE_PGM_RSRC2:TGID_Y_EN: 0
; COMPUTE_PGM_RSRC2:TGID_Z_EN: 0
; COMPUTE_PGM_RSRC2:TIDIG_COMP_CNT: 0
; COMPUTE_PGM_RSRC3_GFX90A:ACCUM_OFFSET: 8
; COMPUTE_PGM_RSRC3_GFX90A:TG_SPLIT: 0
	.section	.text._ZN2at6native12_GLOBAL__N_125multi_tensor_apply_kernelINS1_18TensorListMetadataILi2EEENS1_21BinaryOpScalarFunctorIfLi2ELi1ELi1EEEJSt5minusIfEfEEEvT_T0_DpT1_,"axG",@progbits,_ZN2at6native12_GLOBAL__N_125multi_tensor_apply_kernelINS1_18TensorListMetadataILi2EEENS1_21BinaryOpScalarFunctorIfLi2ELi1ELi1EEEJSt5minusIfEfEEEvT_T0_DpT1_,comdat
	.globl	_ZN2at6native12_GLOBAL__N_125multi_tensor_apply_kernelINS1_18TensorListMetadataILi2EEENS1_21BinaryOpScalarFunctorIfLi2ELi1ELi1EEEJSt5minusIfEfEEEvT_T0_DpT1_ ; -- Begin function _ZN2at6native12_GLOBAL__N_125multi_tensor_apply_kernelINS1_18TensorListMetadataILi2EEENS1_21BinaryOpScalarFunctorIfLi2ELi1ELi1EEEJSt5minusIfEfEEEvT_T0_DpT1_
	.p2align	8
	.type	_ZN2at6native12_GLOBAL__N_125multi_tensor_apply_kernelINS1_18TensorListMetadataILi2EEENS1_21BinaryOpScalarFunctorIfLi2ELi1ELi1EEEJSt5minusIfEfEEEvT_T0_DpT1_,@function
_ZN2at6native12_GLOBAL__N_125multi_tensor_apply_kernelINS1_18TensorListMetadataILi2EEENS1_21BinaryOpScalarFunctorIfLi2ELi1ELi1EEEJSt5minusIfEfEEEvT_T0_DpT1_: ; @_ZN2at6native12_GLOBAL__N_125multi_tensor_apply_kernelINS1_18TensorListMetadataILi2EEENS1_21BinaryOpScalarFunctorIfLi2ELi1ELi1EEEJSt5minusIfEfEEEvT_T0_DpT1_
; %bb.0:
	v_mov_b32_e32 v1, s2
	global_load_ubyte v1, v1, s[0:1] offset:1536
	s_add_u32 s4, s0, s2
	s_mul_hi_u32 s7, s2, 3
	s_mul_i32 s2, s2, 3
	s_addc_u32 s8, s1, 0
	s_add_u32 s6, s4, s2
	s_addc_u32 s7, s8, s7
	s_load_dword s6, s[6:7], 0x740
	s_mov_b32 s3, 0
	s_mov_b32 s5, s3
	s_waitcnt lgkmcnt(0)
	s_ashr_i32 s7, s6, 31
	s_lshl_b64 s[14:15], s[6:7], 18
	s_lshl_b64 s[6:7], s[6:7], 16
	s_waitcnt vmcnt(0)
	v_readfirstlane_b32 s2, v1
	s_lshl_b32 s2, s2, 3
	s_load_dword s8, s[0:1], 0xc4c
	s_load_dwordx2 s[18:19], s[0:1], s2 offset:0x400
	s_load_dwordx2 s[12:13], s[0:1], s2 offset:0x0
	;; [unrolled: 1-line block ×3, first 2 shown]
	s_waitcnt lgkmcnt(0)
	s_add_u32 s2, s12, s14
	s_and_b32 s4, s10, 15
	s_and_b32 s2, s2, 15
	s_sub_u32 s16, s18, s6
	s_subb_u32 s17, s19, s7
	s_and_b32 s6, s18, 3
	s_mov_b32 s7, s3
	s_or_b64 s[4:5], s[4:5], s[6:7]
	s_or_b64 s[2:3], s[4:5], s[2:3]
	s_cmp_eq_u64 s[2:3], 0
	s_mov_b64 s[2:3], -1
	s_cbranch_scc1 .LBB101_21
; %bb.1:
	v_cmp_lt_i64_e64 s[2:3], s[16:17], 1
	s_and_b64 vcc, exec, s[2:3]
	s_cbranch_vccnz .LBB101_20
; %bb.2:
	s_load_dword s2, s[0:1], 0xc5c
	v_mov_b64_e32 v[2:3], 0x10000
	v_cmp_lt_i64_e32 vcc, s[16:17], v[2:3]
	s_and_b64 s[4:5], vcc, exec
	s_mov_b32 s3, 0
	s_cselect_b32 s5, s17, 0
	s_cselect_b32 s4, s16, 0x10000
	s_waitcnt lgkmcnt(0)
	s_and_b32 s2, s2, 0xffff
	v_cmp_lt_u64_e32 vcc, s[16:17], v[2:3]
	v_mov_b32_e32 v1, 0
	s_and_b64 s[6:7], vcc, exec
	s_mul_i32 s22, s2, 3
	s_mov_b32 s23, s3
	s_cselect_b32 s19, s17, 0
	s_cselect_b32 s18, s16, 0x10000
	v_lshlrev_b32_e32 v12, 2, v0
	v_mov_b32_e32 v13, v1
	v_lshl_add_u64 v[10:11], s[22:23], 0, v[0:1]
	s_lshl_b32 s22, s2, 3
	v_lshl_add_u64 v[18:19], v[0:1], 0, s[2:3]
	s_lshl_b32 s6, s2, 1
	s_mov_b32 s7, s3
	v_mad_u64_u32 v[8:9], s[24:25], s2, 12, v[12:13]
	v_lshl_add_u64 v[14:15], s[22:23], 0, v[12:13]
	v_lshlrev_b32_e32 v22, 2, v18
	v_mov_b32_e32 v23, v1
	s_lshl_b32 s9, s2, 2
	v_lshl_add_u64 v[2:3], s[12:13], 0, v[12:13]
	s_lshl_b32 s20, s2, 4
	s_mov_b32 s21, s3
	v_lshl_add_u64 v[4:5], s[10:11], 0, v[12:13]
	v_lshl_add_u64 v[6:7], s[12:13], 0, v[8:9]
	;; [unrolled: 1-line block ×8, first 2 shown]
	s_mov_b64 s[22:23], 0
	v_mov_b64_e32 v[24:25], s[4:5]
	s_branch .LBB101_4
.LBB101_3:                              ;   in Loop: Header=BB101_4 Depth=1
	s_or_b64 exec, exec, s[2:3]
	s_add_u32 s22, s22, s9
	s_addc_u32 s23, s23, 0
	v_cmp_lt_i64_e32 vcc, s[22:23], v[24:25]
	v_lshl_add_u64 v[2:3], v[2:3], 0, s[20:21]
	v_lshl_add_u64 v[4:5], v[4:5], 0, s[20:21]
	;; [unrolled: 1-line block ×8, first 2 shown]
	s_cbranch_vccz .LBB101_20
.LBB101_4:                              ; =>This Inner Loop Header: Depth=1
	s_waitcnt vmcnt(0)
	v_lshl_add_u64 v[26:27], v[0:1], 0, s[22:23]
	v_cmp_gt_u64_e32 vcc, s[18:19], v[26:27]
	v_mov_b32_e32 v27, 0
	s_and_saveexec_b64 s[2:3], vcc
	s_cbranch_execz .LBB101_6
; %bb.5:                                ;   in Loop: Header=BB101_4 Depth=1
	v_lshl_add_u64 v[26:27], v[2:3], 0, s[14:15]
	global_load_dword v27, v[26:27], off
.LBB101_6:                              ;   in Loop: Header=BB101_4 Depth=1
	s_or_b64 exec, exec, s[2:3]
	v_lshl_add_u64 v[28:29], v[18:19], 0, s[22:23]
	v_cmp_gt_u64_e64 s[2:3], s[18:19], v[28:29]
	v_mov_b32_e32 v26, 0
	v_mov_b32_e32 v28, 0
	s_and_saveexec_b64 s[4:5], s[2:3]
	s_cbranch_execz .LBB101_8
; %bb.7:                                ;   in Loop: Header=BB101_4 Depth=1
	v_lshl_add_u64 v[28:29], v[20:21], 0, s[14:15]
	global_load_dword v28, v[28:29], off
.LBB101_8:                              ;   in Loop: Header=BB101_4 Depth=1
	s_or_b64 exec, exec, s[4:5]
	v_lshl_add_u64 v[30:31], v[16:17], 0, s[22:23]
	v_cmp_gt_u64_e64 s[4:5], s[18:19], v[30:31]
	s_and_saveexec_b64 s[6:7], s[4:5]
	s_cbranch_execz .LBB101_10
; %bb.9:                                ;   in Loop: Header=BB101_4 Depth=1
	v_lshl_add_u64 v[30:31], v[12:13], 0, s[14:15]
	global_load_dword v26, v[30:31], off
.LBB101_10:                             ;   in Loop: Header=BB101_4 Depth=1
	s_or_b64 exec, exec, s[6:7]
	v_lshl_add_u64 v[30:31], v[10:11], 0, s[22:23]
	v_cmp_gt_u64_e64 s[6:7], s[18:19], v[30:31]
	v_mov_b32_e32 v29, 0
	s_and_saveexec_b64 s[24:25], s[6:7]
	s_cbranch_execnz .LBB101_15
; %bb.11:                               ;   in Loop: Header=BB101_4 Depth=1
	s_or_b64 exec, exec, s[24:25]
	s_and_saveexec_b64 s[24:25], vcc
	s_cbranch_execnz .LBB101_16
.LBB101_12:                             ;   in Loop: Header=BB101_4 Depth=1
	s_or_b64 exec, exec, s[24:25]
	s_and_saveexec_b64 s[24:25], s[2:3]
	s_cbranch_execnz .LBB101_17
.LBB101_13:                             ;   in Loop: Header=BB101_4 Depth=1
	s_or_b64 exec, exec, s[24:25]
	s_and_saveexec_b64 s[2:3], s[4:5]
	s_cbranch_execnz .LBB101_18
.LBB101_14:                             ;   in Loop: Header=BB101_4 Depth=1
	s_or_b64 exec, exec, s[2:3]
	s_and_saveexec_b64 s[2:3], s[6:7]
	s_cbranch_execz .LBB101_3
	s_branch .LBB101_19
.LBB101_15:                             ;   in Loop: Header=BB101_4 Depth=1
	v_lshl_add_u64 v[30:31], v[6:7], 0, s[14:15]
	global_load_dword v29, v[30:31], off
	s_or_b64 exec, exec, s[24:25]
	s_and_saveexec_b64 s[24:25], vcc
	s_cbranch_execz .LBB101_12
.LBB101_16:                             ;   in Loop: Header=BB101_4 Depth=1
	s_waitcnt vmcnt(0)
	v_subrev_f32_e32 v27, s8, v27
	v_lshl_add_u64 v[30:31], v[4:5], 0, s[14:15]
	global_store_dword v[30:31], v27, off
	s_or_b64 exec, exec, s[24:25]
	s_and_saveexec_b64 s[24:25], s[2:3]
	s_cbranch_execz .LBB101_13
.LBB101_17:                             ;   in Loop: Header=BB101_4 Depth=1
	s_waitcnt vmcnt(0)
	v_subrev_f32_e32 v27, s8, v28
	v_lshl_add_u64 v[30:31], v[22:23], 0, s[14:15]
	global_store_dword v[30:31], v27, off
	s_or_b64 exec, exec, s[24:25]
	s_and_saveexec_b64 s[2:3], s[4:5]
	s_cbranch_execz .LBB101_14
.LBB101_18:                             ;   in Loop: Header=BB101_4 Depth=1
	s_waitcnt vmcnt(0)
	v_subrev_f32_e32 v28, s8, v26
	v_lshl_add_u64 v[26:27], v[14:15], 0, s[14:15]
	global_store_dword v[26:27], v28, off
	s_or_b64 exec, exec, s[2:3]
	s_and_saveexec_b64 s[2:3], s[6:7]
	s_cbranch_execz .LBB101_3
.LBB101_19:                             ;   in Loop: Header=BB101_4 Depth=1
	s_waitcnt vmcnt(0)
	v_subrev_f32_e32 v28, s8, v29
	v_lshl_add_u64 v[26:27], v[8:9], 0, s[14:15]
	global_store_dword v[26:27], v28, off
	s_branch .LBB101_3
.LBB101_20:
	s_mov_b64 s[2:3], 0
.LBB101_21:
	s_andn2_b64 vcc, exec, s[2:3]
	s_cbranch_vccnz .LBB101_25
; %bb.22:
	v_mov_b64_e32 v[4:5], 0x10000
	v_cmp_lt_i64_e32 vcc, s[16:17], v[4:5]
	s_and_b64 s[4:5], vcc, exec
	v_mov_b32_e32 v3, 0
	s_cselect_b32 s5, s17, 0
	s_cselect_b32 s4, s16, 0x10000
	v_lshlrev_b32_e32 v2, 2, v0
	s_mov_b32 s3, 0
	v_cmp_gt_i64_e32 vcc, s[4:5], v[2:3]
	s_and_saveexec_b64 s[6:7], vcc
	s_cbranch_execz .LBB101_25
; %bb.23:
	s_load_dword s0, s[0:1], 0xc5c
	v_lshlrev_b32_e32 v2, 4, v0
	v_mov_b32_e32 v1, v3
	s_mov_b32 s9, s8
	v_lshl_add_u64 v[2:3], s[14:15], 0, v[2:3]
	s_waitcnt lgkmcnt(0)
	s_and_b32 s2, s0, 0xffff
	s_lshl_b32 s0, s2, 4
	s_add_u32 s6, s12, 8
	s_mov_b32 s1, s3
	s_addc_u32 s7, s13, 0
	s_mov_b64 s[12:13], 0
.LBB101_24:                             ; =>This Inner Loop Header: Depth=1
	v_lshl_add_u64 v[4:5], s[6:7], 0, v[2:3]
	global_load_dwordx4 v[4:7], v[4:5], off offset:-8
	v_lshl_add_u64 v[0:1], v[0:1], 0, s[2:3]
	v_lshlrev_b64 v[10:11], 2, v[0:1]
	v_cmp_le_i64_e32 vcc, s[4:5], v[10:11]
	v_lshl_add_u64 v[8:9], s[10:11], 0, v[2:3]
	v_lshl_add_u64 v[2:3], v[2:3], 0, s[0:1]
	s_or_b64 s[12:13], vcc, s[12:13]
	s_waitcnt vmcnt(0)
	v_pk_add_f32 v[4:5], v[4:5], s[8:9] neg_lo:[0,1] neg_hi:[0,1]
	v_pk_add_f32 v[6:7], v[6:7], s[8:9] neg_lo:[0,1] neg_hi:[0,1]
	global_store_dwordx4 v[8:9], v[4:7], off
	s_andn2_b64 exec, exec, s[12:13]
	s_cbranch_execnz .LBB101_24
.LBB101_25:
	s_endpgm
	.section	.rodata,"a",@progbits
	.p2align	6, 0x0
	.amdhsa_kernel _ZN2at6native12_GLOBAL__N_125multi_tensor_apply_kernelINS1_18TensorListMetadataILi2EEENS1_21BinaryOpScalarFunctorIfLi2ELi1ELi1EEEJSt5minusIfEfEEEvT_T0_DpT1_
		.amdhsa_group_segment_fixed_size 0
		.amdhsa_private_segment_fixed_size 0
		.amdhsa_kernarg_size 3408
		.amdhsa_user_sgpr_count 2
		.amdhsa_user_sgpr_dispatch_ptr 0
		.amdhsa_user_sgpr_queue_ptr 0
		.amdhsa_user_sgpr_kernarg_segment_ptr 1
		.amdhsa_user_sgpr_dispatch_id 0
		.amdhsa_user_sgpr_kernarg_preload_length 0
		.amdhsa_user_sgpr_kernarg_preload_offset 0
		.amdhsa_user_sgpr_private_segment_size 0
		.amdhsa_uses_dynamic_stack 0
		.amdhsa_enable_private_segment 0
		.amdhsa_system_sgpr_workgroup_id_x 1
		.amdhsa_system_sgpr_workgroup_id_y 0
		.amdhsa_system_sgpr_workgroup_id_z 0
		.amdhsa_system_sgpr_workgroup_info 0
		.amdhsa_system_vgpr_workitem_id 0
		.amdhsa_next_free_vgpr 32
		.amdhsa_next_free_sgpr 26
		.amdhsa_accum_offset 32
		.amdhsa_reserve_vcc 1
		.amdhsa_float_round_mode_32 0
		.amdhsa_float_round_mode_16_64 0
		.amdhsa_float_denorm_mode_32 3
		.amdhsa_float_denorm_mode_16_64 3
		.amdhsa_dx10_clamp 1
		.amdhsa_ieee_mode 1
		.amdhsa_fp16_overflow 0
		.amdhsa_tg_split 0
		.amdhsa_exception_fp_ieee_invalid_op 0
		.amdhsa_exception_fp_denorm_src 0
		.amdhsa_exception_fp_ieee_div_zero 0
		.amdhsa_exception_fp_ieee_overflow 0
		.amdhsa_exception_fp_ieee_underflow 0
		.amdhsa_exception_fp_ieee_inexact 0
		.amdhsa_exception_int_div_zero 0
	.end_amdhsa_kernel
	.section	.text._ZN2at6native12_GLOBAL__N_125multi_tensor_apply_kernelINS1_18TensorListMetadataILi2EEENS1_21BinaryOpScalarFunctorIfLi2ELi1ELi1EEEJSt5minusIfEfEEEvT_T0_DpT1_,"axG",@progbits,_ZN2at6native12_GLOBAL__N_125multi_tensor_apply_kernelINS1_18TensorListMetadataILi2EEENS1_21BinaryOpScalarFunctorIfLi2ELi1ELi1EEEJSt5minusIfEfEEEvT_T0_DpT1_,comdat
.Lfunc_end101:
	.size	_ZN2at6native12_GLOBAL__N_125multi_tensor_apply_kernelINS1_18TensorListMetadataILi2EEENS1_21BinaryOpScalarFunctorIfLi2ELi1ELi1EEEJSt5minusIfEfEEEvT_T0_DpT1_, .Lfunc_end101-_ZN2at6native12_GLOBAL__N_125multi_tensor_apply_kernelINS1_18TensorListMetadataILi2EEENS1_21BinaryOpScalarFunctorIfLi2ELi1ELi1EEEJSt5minusIfEfEEEvT_T0_DpT1_
                                        ; -- End function
	.set _ZN2at6native12_GLOBAL__N_125multi_tensor_apply_kernelINS1_18TensorListMetadataILi2EEENS1_21BinaryOpScalarFunctorIfLi2ELi1ELi1EEEJSt5minusIfEfEEEvT_T0_DpT1_.num_vgpr, 32
	.set _ZN2at6native12_GLOBAL__N_125multi_tensor_apply_kernelINS1_18TensorListMetadataILi2EEENS1_21BinaryOpScalarFunctorIfLi2ELi1ELi1EEEJSt5minusIfEfEEEvT_T0_DpT1_.num_agpr, 0
	.set _ZN2at6native12_GLOBAL__N_125multi_tensor_apply_kernelINS1_18TensorListMetadataILi2EEENS1_21BinaryOpScalarFunctorIfLi2ELi1ELi1EEEJSt5minusIfEfEEEvT_T0_DpT1_.numbered_sgpr, 26
	.set _ZN2at6native12_GLOBAL__N_125multi_tensor_apply_kernelINS1_18TensorListMetadataILi2EEENS1_21BinaryOpScalarFunctorIfLi2ELi1ELi1EEEJSt5minusIfEfEEEvT_T0_DpT1_.num_named_barrier, 0
	.set _ZN2at6native12_GLOBAL__N_125multi_tensor_apply_kernelINS1_18TensorListMetadataILi2EEENS1_21BinaryOpScalarFunctorIfLi2ELi1ELi1EEEJSt5minusIfEfEEEvT_T0_DpT1_.private_seg_size, 0
	.set _ZN2at6native12_GLOBAL__N_125multi_tensor_apply_kernelINS1_18TensorListMetadataILi2EEENS1_21BinaryOpScalarFunctorIfLi2ELi1ELi1EEEJSt5minusIfEfEEEvT_T0_DpT1_.uses_vcc, 1
	.set _ZN2at6native12_GLOBAL__N_125multi_tensor_apply_kernelINS1_18TensorListMetadataILi2EEENS1_21BinaryOpScalarFunctorIfLi2ELi1ELi1EEEJSt5minusIfEfEEEvT_T0_DpT1_.uses_flat_scratch, 0
	.set _ZN2at6native12_GLOBAL__N_125multi_tensor_apply_kernelINS1_18TensorListMetadataILi2EEENS1_21BinaryOpScalarFunctorIfLi2ELi1ELi1EEEJSt5minusIfEfEEEvT_T0_DpT1_.has_dyn_sized_stack, 0
	.set _ZN2at6native12_GLOBAL__N_125multi_tensor_apply_kernelINS1_18TensorListMetadataILi2EEENS1_21BinaryOpScalarFunctorIfLi2ELi1ELi1EEEJSt5minusIfEfEEEvT_T0_DpT1_.has_recursion, 0
	.set _ZN2at6native12_GLOBAL__N_125multi_tensor_apply_kernelINS1_18TensorListMetadataILi2EEENS1_21BinaryOpScalarFunctorIfLi2ELi1ELi1EEEJSt5minusIfEfEEEvT_T0_DpT1_.has_indirect_call, 0
	.section	.AMDGPU.csdata,"",@progbits
; Kernel info:
; codeLenInByte = 1112
; TotalNumSgprs: 32
; NumVgprs: 32
; NumAgprs: 0
; TotalNumVgprs: 32
; ScratchSize: 0
; MemoryBound: 0
; FloatMode: 240
; IeeeMode: 1
; LDSByteSize: 0 bytes/workgroup (compile time only)
; SGPRBlocks: 3
; VGPRBlocks: 3
; NumSGPRsForWavesPerEU: 32
; NumVGPRsForWavesPerEU: 32
; AccumOffset: 32
; Occupancy: 8
; WaveLimiterHint : 0
; COMPUTE_PGM_RSRC2:SCRATCH_EN: 0
; COMPUTE_PGM_RSRC2:USER_SGPR: 2
; COMPUTE_PGM_RSRC2:TRAP_HANDLER: 0
; COMPUTE_PGM_RSRC2:TGID_X_EN: 1
; COMPUTE_PGM_RSRC2:TGID_Y_EN: 0
; COMPUTE_PGM_RSRC2:TGID_Z_EN: 0
; COMPUTE_PGM_RSRC2:TIDIG_COMP_CNT: 0
; COMPUTE_PGM_RSRC3_GFX90A:ACCUM_OFFSET: 7
; COMPUTE_PGM_RSRC3_GFX90A:TG_SPLIT: 0
	.section	.text._ZN2at6native12_GLOBAL__N_125multi_tensor_apply_kernelINS1_18TensorListMetadataILi2EEENS1_21BinaryOpScalarFunctorIN3c107complexIdEELi2ELi1ELi1EEEJSt5minusIS8_ES8_EEEvT_T0_DpT1_,"axG",@progbits,_ZN2at6native12_GLOBAL__N_125multi_tensor_apply_kernelINS1_18TensorListMetadataILi2EEENS1_21BinaryOpScalarFunctorIN3c107complexIdEELi2ELi1ELi1EEEJSt5minusIS8_ES8_EEEvT_T0_DpT1_,comdat
	.globl	_ZN2at6native12_GLOBAL__N_125multi_tensor_apply_kernelINS1_18TensorListMetadataILi2EEENS1_21BinaryOpScalarFunctorIN3c107complexIdEELi2ELi1ELi1EEEJSt5minusIS8_ES8_EEEvT_T0_DpT1_ ; -- Begin function _ZN2at6native12_GLOBAL__N_125multi_tensor_apply_kernelINS1_18TensorListMetadataILi2EEENS1_21BinaryOpScalarFunctorIN3c107complexIdEELi2ELi1ELi1EEEJSt5minusIS8_ES8_EEEvT_T0_DpT1_
	.p2align	8
	.type	_ZN2at6native12_GLOBAL__N_125multi_tensor_apply_kernelINS1_18TensorListMetadataILi2EEENS1_21BinaryOpScalarFunctorIN3c107complexIdEELi2ELi1ELi1EEEJSt5minusIS8_ES8_EEEvT_T0_DpT1_,@function
_ZN2at6native12_GLOBAL__N_125multi_tensor_apply_kernelINS1_18TensorListMetadataILi2EEENS1_21BinaryOpScalarFunctorIN3c107complexIdEELi2ELi1ELi1EEEJSt5minusIS8_ES8_EEEvT_T0_DpT1_: ; @_ZN2at6native12_GLOBAL__N_125multi_tensor_apply_kernelINS1_18TensorListMetadataILi2EEENS1_21BinaryOpScalarFunctorIN3c107complexIdEELi2ELi1ELi1EEEJSt5minusIS8_ES8_EEEvT_T0_DpT1_
; %bb.0:
	v_mov_b32_e32 v1, s2
	global_load_ubyte v1, v1, s[0:1] offset:1536
	s_add_u32 s4, s0, s2
	s_mul_hi_u32 s5, s2, 3
	s_mul_i32 s2, s2, 3
	s_addc_u32 s6, s1, 0
	s_add_u32 s4, s4, s2
	s_addc_u32 s5, s6, s5
	s_load_dwordx4 s[8:11], s[0:1], 0xc50
	s_load_dword s6, s[4:5], 0x740
	s_mov_b32 s3, 0
	s_mov_b32 s5, s3
	s_waitcnt lgkmcnt(0)
	s_ashr_i32 s7, s6, 31
	s_lshl_b64 s[16:17], s[6:7], 20
	s_waitcnt vmcnt(0)
	v_readfirstlane_b32 s2, v1
	s_lshl_b32 s2, s2, 3
	s_load_dwordx2 s[12:13], s[0:1], s2 offset:0x0
	s_load_dwordx2 s[18:19], s[0:1], s2 offset:0x400
	s_load_dwordx2 s[14:15], s[0:1], s2 offset:0x200
	s_waitcnt lgkmcnt(0)
	s_add_u32 s12, s12, s16
	s_addc_u32 s13, s13, s17
	s_and_b32 s2, s12, 63
	s_add_u32 s14, s14, s16
	s_addc_u32 s15, s15, s17
	s_and_b32 s4, s14, 63
	s_lshl_b64 s[6:7], s[6:7], 16
	s_sub_u32 s16, s18, s6
	s_subb_u32 s17, s19, s7
	s_and_b32 s6, s18, 3
	s_mov_b32 s7, s3
	s_or_b64 s[4:5], s[4:5], s[6:7]
	s_or_b64 s[2:3], s[4:5], s[2:3]
	s_cmp_eq_u64 s[2:3], 0
	s_mov_b64 s[2:3], -1
	s_cbranch_scc1 .LBB102_21
; %bb.1:
	v_cmp_lt_i64_e64 s[2:3], s[16:17], 1
	s_and_b64 vcc, exec, s[2:3]
	s_cbranch_vccnz .LBB102_20
; %bb.2:
	s_load_dword s4, s[0:1], 0xc6c
	v_mov_b64_e32 v[2:3], 0x10000
	v_cmp_lt_i64_e32 vcc, s[16:17], v[2:3]
	s_and_b64 s[2:3], vcc, exec
	s_cselect_b32 s21, s17, 0
	s_cselect_b32 s20, s16, 0x10000
	s_waitcnt lgkmcnt(0)
	s_and_b32 s18, s4, 0xffff
	v_cmp_lt_u64_e32 vcc, s[16:17], v[2:3]
	s_mov_b32 s19, 0
	s_and_b64 s[2:3], vcc, exec
	v_mov_b32_e32 v1, 0
	s_cselect_b32 s23, s17, 0
	s_cselect_b32 s22, s16, 0x10000
	s_lshl_b32 s24, s18, 1
	s_mov_b32 s25, s19
	s_mul_i32 s26, s18, 3
	s_mov_b32 s27, s19
	s_lshl_b32 s33, s18, 2
	s_mov_b64 s[28:29], 0
	s_branch .LBB102_4
.LBB102_3:                              ;   in Loop: Header=BB102_4 Depth=1
	s_or_b64 exec, exec, s[2:3]
	s_add_u32 s28, s28, s33
	s_addc_u32 s29, s29, 0
	s_waitcnt vmcnt(0)
	v_mov_b64_e32 v[2:3], s[20:21]
	v_cmp_lt_i64_e32 vcc, s[28:29], v[2:3]
	s_cbranch_vccz .LBB102_20
.LBB102_4:                              ; =>This Inner Loop Header: Depth=1
	v_lshl_add_u64 v[18:19], s[28:29], 0, v[0:1]
	v_cmp_gt_u64_e32 vcc, s[22:23], v[18:19]
	v_mov_b64_e32 v[4:5], 0
	v_mov_b64_e32 v[8:9], 0
	;; [unrolled: 1-line block ×3, first 2 shown]
	s_and_saveexec_b64 s[2:3], vcc
	s_cbranch_execz .LBB102_6
; %bb.5:                                ;   in Loop: Header=BB102_4 Depth=1
	v_lshl_add_u64 v[2:3], v[18:19], 4, s[12:13]
	global_load_dwordx4 v[6:9], v[2:3], off
.LBB102_6:                              ;   in Loop: Header=BB102_4 Depth=1
	s_or_b64 exec, exec, s[2:3]
	v_lshl_add_u64 v[20:21], v[18:19], 0, s[18:19]
	v_cmp_gt_u64_e64 s[2:3], s[22:23], v[20:21]
	v_mov_b64_e32 v[2:3], 0
	s_and_saveexec_b64 s[4:5], s[2:3]
	s_cbranch_execz .LBB102_8
; %bb.7:                                ;   in Loop: Header=BB102_4 Depth=1
	v_lshl_add_u64 v[2:3], v[20:21], 4, s[12:13]
	global_load_dwordx4 v[2:5], v[2:3], off
.LBB102_8:                              ;   in Loop: Header=BB102_4 Depth=1
	s_or_b64 exec, exec, s[4:5]
	v_lshl_add_u64 v[22:23], v[18:19], 0, s[24:25]
	v_cmp_gt_u64_e64 s[4:5], s[22:23], v[22:23]
	v_mov_b64_e32 v[12:13], 0
	v_mov_b64_e32 v[16:17], 0
	;; [unrolled: 1-line block ×3, first 2 shown]
	s_and_saveexec_b64 s[6:7], s[4:5]
	s_cbranch_execz .LBB102_10
; %bb.9:                                ;   in Loop: Header=BB102_4 Depth=1
	v_lshl_add_u64 v[10:11], v[22:23], 4, s[12:13]
	global_load_dwordx4 v[14:17], v[10:11], off
.LBB102_10:                             ;   in Loop: Header=BB102_4 Depth=1
	s_or_b64 exec, exec, s[6:7]
	v_lshl_add_u64 v[24:25], v[18:19], 0, s[26:27]
	v_cmp_gt_u64_e64 s[6:7], s[22:23], v[24:25]
	v_mov_b64_e32 v[10:11], 0
	s_and_saveexec_b64 s[30:31], s[6:7]
	s_cbranch_execnz .LBB102_15
; %bb.11:                               ;   in Loop: Header=BB102_4 Depth=1
	s_or_b64 exec, exec, s[30:31]
	s_and_saveexec_b64 s[30:31], vcc
	s_cbranch_execnz .LBB102_16
.LBB102_12:                             ;   in Loop: Header=BB102_4 Depth=1
	s_or_b64 exec, exec, s[30:31]
	s_and_saveexec_b64 s[30:31], s[2:3]
	s_cbranch_execnz .LBB102_17
.LBB102_13:                             ;   in Loop: Header=BB102_4 Depth=1
	s_or_b64 exec, exec, s[30:31]
	s_and_saveexec_b64 s[2:3], s[4:5]
	s_cbranch_execnz .LBB102_18
.LBB102_14:                             ;   in Loop: Header=BB102_4 Depth=1
	s_or_b64 exec, exec, s[2:3]
	s_and_saveexec_b64 s[2:3], s[6:7]
	s_cbranch_execz .LBB102_3
	s_branch .LBB102_19
.LBB102_15:                             ;   in Loop: Header=BB102_4 Depth=1
	v_lshl_add_u64 v[10:11], v[24:25], 4, s[12:13]
	global_load_dwordx4 v[10:13], v[10:11], off
	s_or_b64 exec, exec, s[30:31]
	s_and_saveexec_b64 s[30:31], vcc
	s_cbranch_execz .LBB102_12
.LBB102_16:                             ;   in Loop: Header=BB102_4 Depth=1
	v_lshl_add_u64 v[18:19], v[18:19], 4, s[14:15]
	s_waitcnt vmcnt(0)
	v_add_f64 v[6:7], v[6:7], -s[8:9]
	v_add_f64 v[8:9], v[8:9], -s[10:11]
	global_store_dwordx4 v[18:19], v[6:9], off
	s_or_b64 exec, exec, s[30:31]
	s_and_saveexec_b64 s[30:31], s[2:3]
	s_cbranch_execz .LBB102_13
.LBB102_17:                             ;   in Loop: Header=BB102_4 Depth=1
	s_waitcnt vmcnt(0)
	v_add_f64 v[2:3], v[2:3], -s[8:9]
	v_add_f64 v[4:5], v[4:5], -s[10:11]
	v_lshl_add_u64 v[6:7], v[20:21], 4, s[14:15]
	global_store_dwordx4 v[6:7], v[2:5], off
	s_or_b64 exec, exec, s[30:31]
	s_and_saveexec_b64 s[2:3], s[4:5]
	s_cbranch_execz .LBB102_14
.LBB102_18:                             ;   in Loop: Header=BB102_4 Depth=1
	s_waitcnt vmcnt(0)
	v_add_f64 v[2:3], v[14:15], -s[8:9]
	v_add_f64 v[4:5], v[16:17], -s[10:11]
	v_lshl_add_u64 v[6:7], v[22:23], 4, s[14:15]
	global_store_dwordx4 v[6:7], v[2:5], off
	s_or_b64 exec, exec, s[2:3]
	s_and_saveexec_b64 s[2:3], s[6:7]
	s_cbranch_execz .LBB102_3
.LBB102_19:                             ;   in Loop: Header=BB102_4 Depth=1
	s_waitcnt vmcnt(0)
	v_add_f64 v[2:3], v[10:11], -s[8:9]
	v_add_f64 v[4:5], v[12:13], -s[10:11]
	v_lshl_add_u64 v[6:7], v[24:25], 4, s[14:15]
	global_store_dwordx4 v[6:7], v[2:5], off
	s_branch .LBB102_3
.LBB102_20:
	s_mov_b64 s[2:3], 0
.LBB102_21:
	s_andn2_b64 vcc, exec, s[2:3]
	s_cbranch_vccnz .LBB102_25
; %bb.22:
	v_mov_b64_e32 v[4:5], 0x10000
	v_cmp_lt_i64_e32 vcc, s[16:17], v[4:5]
	s_and_b64 s[4:5], vcc, exec
	v_mov_b32_e32 v3, 0
	s_cselect_b32 s5, s17, 0
	s_cselect_b32 s4, s16, 0x10000
	v_lshlrev_b32_e32 v2, 2, v0
	s_mov_b32 s3, 0
	v_cmp_gt_i64_e32 vcc, s[4:5], v[2:3]
	s_and_saveexec_b64 s[6:7], vcc
	s_cbranch_execz .LBB102_25
; %bb.23:
	s_load_dword s0, s[0:1], 0xc6c
	v_mov_b32_e32 v1, v3
	v_lshlrev_b32_e32 v2, 6, v0
	s_waitcnt lgkmcnt(0)
	s_and_b32 s2, s0, 0xffff
	s_lshl_b32 s6, s2, 6
	s_mov_b64 s[0:1], 0
.LBB102_24:                             ; =>This Inner Loop Header: Depth=1
	v_lshl_add_u64 v[20:21], s[12:13], 0, v[2:3]
	global_load_dwordx4 v[4:7], v[20:21], off
	global_load_dwordx4 v[8:11], v[20:21], off offset:16
	global_load_dwordx4 v[12:15], v[20:21], off offset:32
	;; [unrolled: 1-line block ×3, first 2 shown]
	v_lshl_add_u64 v[20:21], s[14:15], 0, v[2:3]
	s_add_u32 s14, s14, s6
	v_lshl_add_u64 v[0:1], v[0:1], 0, s[2:3]
	s_addc_u32 s15, s15, 0
	v_lshlrev_b64 v[22:23], 2, v[0:1]
	s_add_u32 s12, s12, s6
	v_cmp_le_i64_e32 vcc, s[4:5], v[22:23]
	s_addc_u32 s13, s13, 0
	s_or_b64 s[0:1], vcc, s[0:1]
	s_waitcnt vmcnt(3)
	v_add_f64 v[4:5], v[4:5], -s[8:9]
	v_add_f64 v[6:7], v[6:7], -s[10:11]
	s_waitcnt vmcnt(2)
	v_add_f64 v[8:9], v[8:9], -s[8:9]
	v_add_f64 v[10:11], v[10:11], -s[10:11]
	;; [unrolled: 3-line block ×4, first 2 shown]
	global_store_dwordx4 v[20:21], v[4:7], off
	global_store_dwordx4 v[20:21], v[8:11], off offset:16
	global_store_dwordx4 v[20:21], v[12:15], off offset:32
	;; [unrolled: 1-line block ×3, first 2 shown]
	s_andn2_b64 exec, exec, s[0:1]
	s_cbranch_execnz .LBB102_24
.LBB102_25:
	s_endpgm
	.section	.rodata,"a",@progbits
	.p2align	6, 0x0
	.amdhsa_kernel _ZN2at6native12_GLOBAL__N_125multi_tensor_apply_kernelINS1_18TensorListMetadataILi2EEENS1_21BinaryOpScalarFunctorIN3c107complexIdEELi2ELi1ELi1EEEJSt5minusIS8_ES8_EEEvT_T0_DpT1_
		.amdhsa_group_segment_fixed_size 0
		.amdhsa_private_segment_fixed_size 0
		.amdhsa_kernarg_size 3424
		.amdhsa_user_sgpr_count 2
		.amdhsa_user_sgpr_dispatch_ptr 0
		.amdhsa_user_sgpr_queue_ptr 0
		.amdhsa_user_sgpr_kernarg_segment_ptr 1
		.amdhsa_user_sgpr_dispatch_id 0
		.amdhsa_user_sgpr_kernarg_preload_length 0
		.amdhsa_user_sgpr_kernarg_preload_offset 0
		.amdhsa_user_sgpr_private_segment_size 0
		.amdhsa_uses_dynamic_stack 0
		.amdhsa_enable_private_segment 0
		.amdhsa_system_sgpr_workgroup_id_x 1
		.amdhsa_system_sgpr_workgroup_id_y 0
		.amdhsa_system_sgpr_workgroup_id_z 0
		.amdhsa_system_sgpr_workgroup_info 0
		.amdhsa_system_vgpr_workitem_id 0
		.amdhsa_next_free_vgpr 26
		.amdhsa_next_free_sgpr 34
		.amdhsa_accum_offset 28
		.amdhsa_reserve_vcc 1
		.amdhsa_float_round_mode_32 0
		.amdhsa_float_round_mode_16_64 0
		.amdhsa_float_denorm_mode_32 3
		.amdhsa_float_denorm_mode_16_64 3
		.amdhsa_dx10_clamp 1
		.amdhsa_ieee_mode 1
		.amdhsa_fp16_overflow 0
		.amdhsa_tg_split 0
		.amdhsa_exception_fp_ieee_invalid_op 0
		.amdhsa_exception_fp_denorm_src 0
		.amdhsa_exception_fp_ieee_div_zero 0
		.amdhsa_exception_fp_ieee_overflow 0
		.amdhsa_exception_fp_ieee_underflow 0
		.amdhsa_exception_fp_ieee_inexact 0
		.amdhsa_exception_int_div_zero 0
	.end_amdhsa_kernel
	.section	.text._ZN2at6native12_GLOBAL__N_125multi_tensor_apply_kernelINS1_18TensorListMetadataILi2EEENS1_21BinaryOpScalarFunctorIN3c107complexIdEELi2ELi1ELi1EEEJSt5minusIS8_ES8_EEEvT_T0_DpT1_,"axG",@progbits,_ZN2at6native12_GLOBAL__N_125multi_tensor_apply_kernelINS1_18TensorListMetadataILi2EEENS1_21BinaryOpScalarFunctorIN3c107complexIdEELi2ELi1ELi1EEEJSt5minusIS8_ES8_EEEvT_T0_DpT1_,comdat
.Lfunc_end102:
	.size	_ZN2at6native12_GLOBAL__N_125multi_tensor_apply_kernelINS1_18TensorListMetadataILi2EEENS1_21BinaryOpScalarFunctorIN3c107complexIdEELi2ELi1ELi1EEEJSt5minusIS8_ES8_EEEvT_T0_DpT1_, .Lfunc_end102-_ZN2at6native12_GLOBAL__N_125multi_tensor_apply_kernelINS1_18TensorListMetadataILi2EEENS1_21BinaryOpScalarFunctorIN3c107complexIdEELi2ELi1ELi1EEEJSt5minusIS8_ES8_EEEvT_T0_DpT1_
                                        ; -- End function
	.set _ZN2at6native12_GLOBAL__N_125multi_tensor_apply_kernelINS1_18TensorListMetadataILi2EEENS1_21BinaryOpScalarFunctorIN3c107complexIdEELi2ELi1ELi1EEEJSt5minusIS8_ES8_EEEvT_T0_DpT1_.num_vgpr, 26
	.set _ZN2at6native12_GLOBAL__N_125multi_tensor_apply_kernelINS1_18TensorListMetadataILi2EEENS1_21BinaryOpScalarFunctorIN3c107complexIdEELi2ELi1ELi1EEEJSt5minusIS8_ES8_EEEvT_T0_DpT1_.num_agpr, 0
	.set _ZN2at6native12_GLOBAL__N_125multi_tensor_apply_kernelINS1_18TensorListMetadataILi2EEENS1_21BinaryOpScalarFunctorIN3c107complexIdEELi2ELi1ELi1EEEJSt5minusIS8_ES8_EEEvT_T0_DpT1_.numbered_sgpr, 34
	.set _ZN2at6native12_GLOBAL__N_125multi_tensor_apply_kernelINS1_18TensorListMetadataILi2EEENS1_21BinaryOpScalarFunctorIN3c107complexIdEELi2ELi1ELi1EEEJSt5minusIS8_ES8_EEEvT_T0_DpT1_.num_named_barrier, 0
	.set _ZN2at6native12_GLOBAL__N_125multi_tensor_apply_kernelINS1_18TensorListMetadataILi2EEENS1_21BinaryOpScalarFunctorIN3c107complexIdEELi2ELi1ELi1EEEJSt5minusIS8_ES8_EEEvT_T0_DpT1_.private_seg_size, 0
	.set _ZN2at6native12_GLOBAL__N_125multi_tensor_apply_kernelINS1_18TensorListMetadataILi2EEENS1_21BinaryOpScalarFunctorIN3c107complexIdEELi2ELi1ELi1EEEJSt5minusIS8_ES8_EEEvT_T0_DpT1_.uses_vcc, 1
	.set _ZN2at6native12_GLOBAL__N_125multi_tensor_apply_kernelINS1_18TensorListMetadataILi2EEENS1_21BinaryOpScalarFunctorIN3c107complexIdEELi2ELi1ELi1EEEJSt5minusIS8_ES8_EEEvT_T0_DpT1_.uses_flat_scratch, 0
	.set _ZN2at6native12_GLOBAL__N_125multi_tensor_apply_kernelINS1_18TensorListMetadataILi2EEENS1_21BinaryOpScalarFunctorIN3c107complexIdEELi2ELi1ELi1EEEJSt5minusIS8_ES8_EEEvT_T0_DpT1_.has_dyn_sized_stack, 0
	.set _ZN2at6native12_GLOBAL__N_125multi_tensor_apply_kernelINS1_18TensorListMetadataILi2EEENS1_21BinaryOpScalarFunctorIN3c107complexIdEELi2ELi1ELi1EEEJSt5minusIS8_ES8_EEEvT_T0_DpT1_.has_recursion, 0
	.set _ZN2at6native12_GLOBAL__N_125multi_tensor_apply_kernelINS1_18TensorListMetadataILi2EEENS1_21BinaryOpScalarFunctorIN3c107complexIdEELi2ELi1ELi1EEEJSt5minusIS8_ES8_EEEvT_T0_DpT1_.has_indirect_call, 0
	.section	.AMDGPU.csdata,"",@progbits
; Kernel info:
; codeLenInByte = 1084
; TotalNumSgprs: 40
; NumVgprs: 26
; NumAgprs: 0
; TotalNumVgprs: 26
; ScratchSize: 0
; MemoryBound: 1
; FloatMode: 240
; IeeeMode: 1
; LDSByteSize: 0 bytes/workgroup (compile time only)
; SGPRBlocks: 4
; VGPRBlocks: 3
; NumSGPRsForWavesPerEU: 40
; NumVGPRsForWavesPerEU: 26
; AccumOffset: 28
; Occupancy: 8
; WaveLimiterHint : 0
; COMPUTE_PGM_RSRC2:SCRATCH_EN: 0
; COMPUTE_PGM_RSRC2:USER_SGPR: 2
; COMPUTE_PGM_RSRC2:TRAP_HANDLER: 0
; COMPUTE_PGM_RSRC2:TGID_X_EN: 1
; COMPUTE_PGM_RSRC2:TGID_Y_EN: 0
; COMPUTE_PGM_RSRC2:TGID_Z_EN: 0
; COMPUTE_PGM_RSRC2:TIDIG_COMP_CNT: 0
; COMPUTE_PGM_RSRC3_GFX90A:ACCUM_OFFSET: 6
; COMPUTE_PGM_RSRC3_GFX90A:TG_SPLIT: 0
	.section	.text._ZN2at6native12_GLOBAL__N_125multi_tensor_apply_kernelINS1_18TensorListMetadataILi2EEENS1_21BinaryOpScalarFunctorIN3c107complexIfEELi2ELi1ELi1EEEJSt5minusIS8_ES8_EEEvT_T0_DpT1_,"axG",@progbits,_ZN2at6native12_GLOBAL__N_125multi_tensor_apply_kernelINS1_18TensorListMetadataILi2EEENS1_21BinaryOpScalarFunctorIN3c107complexIfEELi2ELi1ELi1EEEJSt5minusIS8_ES8_EEEvT_T0_DpT1_,comdat
	.globl	_ZN2at6native12_GLOBAL__N_125multi_tensor_apply_kernelINS1_18TensorListMetadataILi2EEENS1_21BinaryOpScalarFunctorIN3c107complexIfEELi2ELi1ELi1EEEJSt5minusIS8_ES8_EEEvT_T0_DpT1_ ; -- Begin function _ZN2at6native12_GLOBAL__N_125multi_tensor_apply_kernelINS1_18TensorListMetadataILi2EEENS1_21BinaryOpScalarFunctorIN3c107complexIfEELi2ELi1ELi1EEEJSt5minusIS8_ES8_EEEvT_T0_DpT1_
	.p2align	8
	.type	_ZN2at6native12_GLOBAL__N_125multi_tensor_apply_kernelINS1_18TensorListMetadataILi2EEENS1_21BinaryOpScalarFunctorIN3c107complexIfEELi2ELi1ELi1EEEJSt5minusIS8_ES8_EEEvT_T0_DpT1_,@function
_ZN2at6native12_GLOBAL__N_125multi_tensor_apply_kernelINS1_18TensorListMetadataILi2EEENS1_21BinaryOpScalarFunctorIN3c107complexIfEELi2ELi1ELi1EEEJSt5minusIS8_ES8_EEEvT_T0_DpT1_: ; @_ZN2at6native12_GLOBAL__N_125multi_tensor_apply_kernelINS1_18TensorListMetadataILi2EEENS1_21BinaryOpScalarFunctorIN3c107complexIfEELi2ELi1ELi1EEEJSt5minusIS8_ES8_EEEvT_T0_DpT1_
; %bb.0:
	v_mov_b32_e32 v1, s2
	global_load_ubyte v1, v1, s[0:1] offset:1536
	s_add_u32 s3, s0, s2
	s_mul_hi_u32 s4, s2, 3
	s_mul_i32 s2, s2, 3
	s_addc_u32 s5, s1, 0
	s_add_u32 s2, s3, s2
	s_addc_u32 s3, s5, s4
	s_load_dword s6, s[2:3], 0x740
	s_mov_b32 s19, 0
	s_mov_b32 s21, s19
	s_waitcnt lgkmcnt(0)
	s_ashr_i32 s7, s6, 31
	s_lshl_b64 s[16:17], s[6:7], 19
	s_waitcnt vmcnt(0)
	v_readfirstlane_b32 s2, v1
	s_lshl_b32 s10, s2, 3
	s_load_dwordx2 s[2:3], s[0:1], s10 offset:0x0
	s_load_dwordx2 s[8:9], s[0:1], 0xc50
	s_load_dwordx2 s[22:23], s[0:1], s10 offset:0x400
	s_load_dwordx2 s[4:5], s[0:1], s10 offset:0x200
	s_waitcnt lgkmcnt(0)
	s_add_u32 s10, s2, s16
	s_addc_u32 s11, s3, s17
	s_and_b32 s18, s10, 31
	s_add_u32 s12, s4, s16
	s_addc_u32 s13, s5, s17
	s_and_b32 s20, s12, 31
	s_lshl_b64 s[6:7], s[6:7], 16
	s_sub_u32 s14, s22, s6
	s_subb_u32 s15, s23, s7
	s_and_b32 s6, s22, 3
	s_mov_b32 s7, s19
	s_or_b64 s[6:7], s[20:21], s[6:7]
	s_or_b64 s[6:7], s[6:7], s[18:19]
	s_cmp_eq_u64 s[6:7], 0
	s_mov_b64 s[6:7], -1
	s_cbranch_scc1 .LBB103_19
; %bb.1:
	v_cmp_lt_i64_e64 s[6:7], s[14:15], 1
	s_and_b64 vcc, exec, s[6:7]
	s_cbranch_vccnz .LBB103_18
; %bb.2:
	s_load_dword s6, s[0:1], 0xc64
	v_mov_b64_e32 v[2:3], 0x10000
	v_cmp_lt_i64_e32 vcc, s[14:15], v[2:3]
	s_and_b64 s[20:21], vcc, exec
	s_mov_b32 s7, 0
	s_cselect_b32 s21, s15, 0
	s_cselect_b32 s20, s14, 0x10000
	s_waitcnt lgkmcnt(0)
	s_and_b32 s6, s6, 0xffff
	v_cmp_lt_u64_e32 vcc, s[14:15], v[2:3]
	v_mov_b32_e32 v1, 0
	s_and_b64 s[22:23], vcc, exec
	s_mul_i32 s28, s6, 3
	s_mov_b32 s29, s7
	s_cselect_b32 s23, s15, 0
	s_cselect_b32 s22, s14, 0x10000
	v_lshlrev_b32_e32 v12, 3, v0
	v_mov_b32_e32 v13, v1
	v_lshl_add_u64 v[10:11], s[28:29], 0, v[0:1]
	s_lshl_b32 s28, s6, 4
	v_lshl_add_u64 v[18:19], v[0:1], 0, s[6:7]
	s_mov_b64 s[18:19], src_private_base
	s_lshl_b32 s26, s6, 1
	s_mov_b32 s27, s7
	v_mad_u64_u32 v[8:9], s[30:31], s6, 24, v[12:13]
	v_lshl_add_u64 v[14:15], s[28:29], 0, v[12:13]
	v_lshlrev_b32_e32 v22, 3, v18
	v_mov_b32_e32 v23, v1
	s_lshl_b32 s18, s6, 2
	v_lshl_add_u64 v[2:3], s[2:3], 0, v[12:13]
	s_lshl_b32 s24, s6, 5
	s_mov_b32 s25, s7
	v_lshl_add_u64 v[4:5], s[4:5], 0, v[12:13]
	v_lshl_add_u64 v[6:7], s[2:3], 0, v[8:9]
	;; [unrolled: 1-line block ×8, first 2 shown]
	s_mov_b64 s[26:27], 0
	v_mov_b32_e32 v34, v1
	v_mov_b32_e32 v35, v1
	;; [unrolled: 1-line block ×3, first 2 shown]
	s_branch .LBB103_4
.LBB103_3:                              ;   in Loop: Header=BB103_4 Depth=1
	s_or_b64 exec, exec, s[2:3]
	s_add_u32 s26, s26, s18
	s_addc_u32 s27, s27, 0
	v_mov_b64_e32 v[24:25], s[20:21]
	v_cmp_ge_i64_e32 vcc, s[26:27], v[24:25]
	v_lshl_add_u64 v[2:3], v[2:3], 0, s[24:25]
	v_lshl_add_u64 v[4:5], v[4:5], 0, s[24:25]
	;; [unrolled: 1-line block ×8, first 2 shown]
	s_cbranch_vccnz .LBB103_18
.LBB103_4:                              ; =>This Inner Loop Header: Depth=1
	v_lshl_add_u64 v[24:25], v[0:1], 0, s[26:27]
	v_cmp_gt_u64_e32 vcc, s[22:23], v[24:25]
	v_mov_b32_e32 v24, 0
	v_mov_b32_e32 v25, 0
	s_and_saveexec_b64 s[2:3], vcc
	s_cbranch_execz .LBB103_6
; %bb.5:                                ;   in Loop: Header=BB103_4 Depth=1
	v_lshl_add_u64 v[24:25], v[2:3], 0, s[16:17]
	global_load_dwordx2 v[24:25], v[24:25], off
.LBB103_6:                              ;   in Loop: Header=BB103_4 Depth=1
	s_or_b64 exec, exec, s[2:3]
	v_lshl_add_u64 v[26:27], v[18:19], 0, s[26:27]
	v_cmp_gt_u64_e64 s[2:3], s[22:23], v[26:27]
	v_mov_b32_e32 v26, 0
	v_mov_b32_e32 v27, 0
	s_and_saveexec_b64 s[4:5], s[2:3]
	s_cbranch_execz .LBB103_8
; %bb.7:                                ;   in Loop: Header=BB103_4 Depth=1
	v_lshl_add_u64 v[26:27], v[20:21], 0, s[16:17]
	global_load_dwordx2 v[26:27], v[26:27], off
.LBB103_8:                              ;   in Loop: Header=BB103_4 Depth=1
	s_or_b64 exec, exec, s[4:5]
	v_lshl_add_u64 v[28:29], v[16:17], 0, s[26:27]
	v_cmp_gt_u64_e64 s[4:5], s[22:23], v[28:29]
	v_mov_b64_e32 v[28:29], 0
	s_and_saveexec_b64 s[6:7], s[4:5]
	s_cbranch_execz .LBB103_10
; %bb.9:                                ;   in Loop: Header=BB103_4 Depth=1
	v_lshl_add_u64 v[28:29], v[12:13], 0, s[16:17]
	global_load_dwordx2 v[28:29], v[28:29], off
.LBB103_10:                             ;   in Loop: Header=BB103_4 Depth=1
	s_or_b64 exec, exec, s[6:7]
	v_lshl_add_u64 v[30:31], v[10:11], 0, s[26:27]
	v_lshl_add_u64 v[36:37], v[6:7], 0, s[16:17]
	v_mov_b32_e32 v33, s19
	v_cmp_gt_u64_e64 s[6:7], s[22:23], v[30:31]
	scratch_store_dwordx2 off, v[34:35], off
	s_nop 0
	v_cndmask_b32_e64 v31, v33, v37, s[6:7]
	v_cndmask_b32_e64 v30, v32, v36, s[6:7]
	flat_load_dwordx2 v[30:31], v[30:31]
	s_waitcnt vmcnt(0) lgkmcnt(0)
	v_pk_add_f32 v[30:31], v[30:31], s[8:9] neg_lo:[0,1] neg_hi:[0,1]
	scratch_store_dwordx2 off, v[30:31], off
	s_and_saveexec_b64 s[28:29], vcc
	s_cbranch_execnz .LBB103_14
; %bb.11:                               ;   in Loop: Header=BB103_4 Depth=1
	s_or_b64 exec, exec, s[28:29]
	s_and_saveexec_b64 s[28:29], s[2:3]
	s_cbranch_execnz .LBB103_15
.LBB103_12:                             ;   in Loop: Header=BB103_4 Depth=1
	s_or_b64 exec, exec, s[28:29]
	s_and_saveexec_b64 s[2:3], s[4:5]
	s_cbranch_execnz .LBB103_16
.LBB103_13:                             ;   in Loop: Header=BB103_4 Depth=1
	s_or_b64 exec, exec, s[2:3]
	s_and_saveexec_b64 s[2:3], s[6:7]
	s_cbranch_execz .LBB103_3
	s_branch .LBB103_17
.LBB103_14:                             ;   in Loop: Header=BB103_4 Depth=1
	v_lshl_add_u64 v[36:37], v[4:5], 0, s[16:17]
	v_pk_add_f32 v[24:25], v[24:25], s[8:9] neg_lo:[0,1] neg_hi:[0,1]
	global_store_dwordx2 v[36:37], v[24:25], off
	s_or_b64 exec, exec, s[28:29]
	s_and_saveexec_b64 s[28:29], s[2:3]
	s_cbranch_execz .LBB103_12
.LBB103_15:                             ;   in Loop: Header=BB103_4 Depth=1
	v_pk_add_f32 v[24:25], v[26:27], s[8:9] neg_lo:[0,1] neg_hi:[0,1]
	v_lshl_add_u64 v[26:27], v[22:23], 0, s[16:17]
	global_store_dwordx2 v[26:27], v[24:25], off
	s_or_b64 exec, exec, s[28:29]
	s_and_saveexec_b64 s[2:3], s[4:5]
	s_cbranch_execz .LBB103_13
.LBB103_16:                             ;   in Loop: Header=BB103_4 Depth=1
	v_pk_add_f32 v[24:25], v[28:29], s[8:9] neg_lo:[0,1] neg_hi:[0,1]
	v_lshl_add_u64 v[26:27], v[14:15], 0, s[16:17]
	global_store_dwordx2 v[26:27], v[24:25], off
	s_or_b64 exec, exec, s[2:3]
	s_and_saveexec_b64 s[2:3], s[6:7]
	s_cbranch_execz .LBB103_3
.LBB103_17:                             ;   in Loop: Header=BB103_4 Depth=1
	v_lshl_add_u64 v[24:25], v[8:9], 0, s[16:17]
	global_store_dwordx2 v[24:25], v[30:31], off
	s_branch .LBB103_3
.LBB103_18:
	s_mov_b64 s[6:7], 0
.LBB103_19:
	s_andn2_b64 vcc, exec, s[6:7]
	s_cbranch_vccnz .LBB103_24
; %bb.20:
	v_mov_b64_e32 v[2:3], 0x10000
	v_cmp_lt_i64_e32 vcc, s[14:15], v[2:3]
	s_and_b64 s[4:5], vcc, exec
	v_mov_b32_e32 v7, 0
	s_cselect_b32 s5, s15, 0
	s_cselect_b32 s4, s14, 0x10000
	v_lshlrev_b32_e32 v6, 2, v0
	s_mov_b32 s3, 0
	v_cmp_gt_i64_e32 vcc, s[4:5], v[6:7]
	s_and_saveexec_b64 s[6:7], vcc
	s_cbranch_execz .LBB103_24
; %bb.21:
	s_load_dword s0, s[0:1], 0xc64
	v_mov_b32_e32 v1, v7
	v_lshlrev_b32_e32 v6, 5, v0
	s_waitcnt lgkmcnt(0)
	s_and_b32 s2, s0, 0xffff
	s_lshl_b32 s6, s2, 5
	s_mov_b64 s[0:1], 0
.LBB103_22:                             ; =>This Inner Loop Header: Depth=1
	v_lshl_add_u64 v[12:13], s[10:11], 0, v[6:7]
	global_load_dwordx4 v[2:5], v[12:13], off offset:16
	global_load_dwordx4 v[8:11], v[12:13], off
	v_lshl_add_u64 v[12:13], s[12:13], 0, v[6:7]
	s_add_u32 s12, s12, s6
	v_lshl_add_u64 v[0:1], v[0:1], 0, s[2:3]
	s_addc_u32 s13, s13, 0
	v_lshlrev_b64 v[14:15], 2, v[0:1]
	s_add_u32 s10, s10, s6
	v_cmp_le_i64_e32 vcc, s[4:5], v[14:15]
	s_addc_u32 s11, s11, 0
	s_or_b64 s[0:1], vcc, s[0:1]
	s_waitcnt vmcnt(1)
	v_pk_add_f32 v[4:5], v[4:5], s[8:9] neg_lo:[0,1] neg_hi:[0,1]
	s_waitcnt vmcnt(0)
	v_pk_add_f32 v[8:9], v[8:9], s[8:9] neg_lo:[0,1] neg_hi:[0,1]
	v_pk_add_f32 v[10:11], v[10:11], s[8:9] neg_lo:[0,1] neg_hi:[0,1]
	;; [unrolled: 1-line block ×3, first 2 shown]
	global_store_dwordx4 v[12:13], v[8:11], off
	global_store_dwordx4 v[12:13], v[2:5], off offset:16
	s_andn2_b64 exec, exec, s[0:1]
	s_cbranch_execnz .LBB103_22
; %bb.23:
	s_or_b64 exec, exec, s[0:1]
	scratch_store_dwordx2 off, v[4:5], off
.LBB103_24:
	s_endpgm
	.section	.rodata,"a",@progbits
	.p2align	6, 0x0
	.amdhsa_kernel _ZN2at6native12_GLOBAL__N_125multi_tensor_apply_kernelINS1_18TensorListMetadataILi2EEENS1_21BinaryOpScalarFunctorIN3c107complexIfEELi2ELi1ELi1EEEJSt5minusIS8_ES8_EEEvT_T0_DpT1_
		.amdhsa_group_segment_fixed_size 0
		.amdhsa_private_segment_fixed_size 16
		.amdhsa_kernarg_size 3416
		.amdhsa_user_sgpr_count 2
		.amdhsa_user_sgpr_dispatch_ptr 0
		.amdhsa_user_sgpr_queue_ptr 0
		.amdhsa_user_sgpr_kernarg_segment_ptr 1
		.amdhsa_user_sgpr_dispatch_id 0
		.amdhsa_user_sgpr_kernarg_preload_length 0
		.amdhsa_user_sgpr_kernarg_preload_offset 0
		.amdhsa_user_sgpr_private_segment_size 0
		.amdhsa_uses_dynamic_stack 0
		.amdhsa_enable_private_segment 1
		.amdhsa_system_sgpr_workgroup_id_x 1
		.amdhsa_system_sgpr_workgroup_id_y 0
		.amdhsa_system_sgpr_workgroup_id_z 0
		.amdhsa_system_sgpr_workgroup_info 0
		.amdhsa_system_vgpr_workitem_id 0
		.amdhsa_next_free_vgpr 38
		.amdhsa_next_free_sgpr 32
		.amdhsa_accum_offset 40
		.amdhsa_reserve_vcc 1
		.amdhsa_float_round_mode_32 0
		.amdhsa_float_round_mode_16_64 0
		.amdhsa_float_denorm_mode_32 3
		.amdhsa_float_denorm_mode_16_64 3
		.amdhsa_dx10_clamp 1
		.amdhsa_ieee_mode 1
		.amdhsa_fp16_overflow 0
		.amdhsa_tg_split 0
		.amdhsa_exception_fp_ieee_invalid_op 0
		.amdhsa_exception_fp_denorm_src 0
		.amdhsa_exception_fp_ieee_div_zero 0
		.amdhsa_exception_fp_ieee_overflow 0
		.amdhsa_exception_fp_ieee_underflow 0
		.amdhsa_exception_fp_ieee_inexact 0
		.amdhsa_exception_int_div_zero 0
	.end_amdhsa_kernel
	.section	.text._ZN2at6native12_GLOBAL__N_125multi_tensor_apply_kernelINS1_18TensorListMetadataILi2EEENS1_21BinaryOpScalarFunctorIN3c107complexIfEELi2ELi1ELi1EEEJSt5minusIS8_ES8_EEEvT_T0_DpT1_,"axG",@progbits,_ZN2at6native12_GLOBAL__N_125multi_tensor_apply_kernelINS1_18TensorListMetadataILi2EEENS1_21BinaryOpScalarFunctorIN3c107complexIfEELi2ELi1ELi1EEEJSt5minusIS8_ES8_EEEvT_T0_DpT1_,comdat
.Lfunc_end103:
	.size	_ZN2at6native12_GLOBAL__N_125multi_tensor_apply_kernelINS1_18TensorListMetadataILi2EEENS1_21BinaryOpScalarFunctorIN3c107complexIfEELi2ELi1ELi1EEEJSt5minusIS8_ES8_EEEvT_T0_DpT1_, .Lfunc_end103-_ZN2at6native12_GLOBAL__N_125multi_tensor_apply_kernelINS1_18TensorListMetadataILi2EEENS1_21BinaryOpScalarFunctorIN3c107complexIfEELi2ELi1ELi1EEEJSt5minusIS8_ES8_EEEvT_T0_DpT1_
                                        ; -- End function
	.set _ZN2at6native12_GLOBAL__N_125multi_tensor_apply_kernelINS1_18TensorListMetadataILi2EEENS1_21BinaryOpScalarFunctorIN3c107complexIfEELi2ELi1ELi1EEEJSt5minusIS8_ES8_EEEvT_T0_DpT1_.num_vgpr, 38
	.set _ZN2at6native12_GLOBAL__N_125multi_tensor_apply_kernelINS1_18TensorListMetadataILi2EEENS1_21BinaryOpScalarFunctorIN3c107complexIfEELi2ELi1ELi1EEEJSt5minusIS8_ES8_EEEvT_T0_DpT1_.num_agpr, 0
	.set _ZN2at6native12_GLOBAL__N_125multi_tensor_apply_kernelINS1_18TensorListMetadataILi2EEENS1_21BinaryOpScalarFunctorIN3c107complexIfEELi2ELi1ELi1EEEJSt5minusIS8_ES8_EEEvT_T0_DpT1_.numbered_sgpr, 32
	.set _ZN2at6native12_GLOBAL__N_125multi_tensor_apply_kernelINS1_18TensorListMetadataILi2EEENS1_21BinaryOpScalarFunctorIN3c107complexIfEELi2ELi1ELi1EEEJSt5minusIS8_ES8_EEEvT_T0_DpT1_.num_named_barrier, 0
	.set _ZN2at6native12_GLOBAL__N_125multi_tensor_apply_kernelINS1_18TensorListMetadataILi2EEENS1_21BinaryOpScalarFunctorIN3c107complexIfEELi2ELi1ELi1EEEJSt5minusIS8_ES8_EEEvT_T0_DpT1_.private_seg_size, 16
	.set _ZN2at6native12_GLOBAL__N_125multi_tensor_apply_kernelINS1_18TensorListMetadataILi2EEENS1_21BinaryOpScalarFunctorIN3c107complexIfEELi2ELi1ELi1EEEJSt5minusIS8_ES8_EEEvT_T0_DpT1_.uses_vcc, 1
	.set _ZN2at6native12_GLOBAL__N_125multi_tensor_apply_kernelINS1_18TensorListMetadataILi2EEENS1_21BinaryOpScalarFunctorIN3c107complexIfEELi2ELi1ELi1EEEJSt5minusIS8_ES8_EEEvT_T0_DpT1_.uses_flat_scratch, 0
	.set _ZN2at6native12_GLOBAL__N_125multi_tensor_apply_kernelINS1_18TensorListMetadataILi2EEENS1_21BinaryOpScalarFunctorIN3c107complexIfEELi2ELi1ELi1EEEJSt5minusIS8_ES8_EEEvT_T0_DpT1_.has_dyn_sized_stack, 0
	.set _ZN2at6native12_GLOBAL__N_125multi_tensor_apply_kernelINS1_18TensorListMetadataILi2EEENS1_21BinaryOpScalarFunctorIN3c107complexIfEELi2ELi1ELi1EEEJSt5minusIS8_ES8_EEEvT_T0_DpT1_.has_recursion, 0
	.set _ZN2at6native12_GLOBAL__N_125multi_tensor_apply_kernelINS1_18TensorListMetadataILi2EEENS1_21BinaryOpScalarFunctorIN3c107complexIfEELi2ELi1ELi1EEEJSt5minusIS8_ES8_EEEvT_T0_DpT1_.has_indirect_call, 0
	.section	.AMDGPU.csdata,"",@progbits
; Kernel info:
; codeLenInByte = 1192
; TotalNumSgprs: 38
; NumVgprs: 38
; NumAgprs: 0
; TotalNumVgprs: 38
; ScratchSize: 16
; MemoryBound: 0
; FloatMode: 240
; IeeeMode: 1
; LDSByteSize: 0 bytes/workgroup (compile time only)
; SGPRBlocks: 4
; VGPRBlocks: 4
; NumSGPRsForWavesPerEU: 38
; NumVGPRsForWavesPerEU: 38
; AccumOffset: 40
; Occupancy: 8
; WaveLimiterHint : 0
; COMPUTE_PGM_RSRC2:SCRATCH_EN: 1
; COMPUTE_PGM_RSRC2:USER_SGPR: 2
; COMPUTE_PGM_RSRC2:TRAP_HANDLER: 0
; COMPUTE_PGM_RSRC2:TGID_X_EN: 1
; COMPUTE_PGM_RSRC2:TGID_Y_EN: 0
; COMPUTE_PGM_RSRC2:TGID_Z_EN: 0
; COMPUTE_PGM_RSRC2:TIDIG_COMP_CNT: 0
; COMPUTE_PGM_RSRC3_GFX90A:ACCUM_OFFSET: 9
; COMPUTE_PGM_RSRC3_GFX90A:TG_SPLIT: 0
	.section	.text._ZN2at6native12_GLOBAL__N_125multi_tensor_apply_kernelINS1_18TensorListMetadataILi2EEENS1_21BinaryOpScalarFunctorIbLi2ELi1ELi1EEEJSt5minusIbEbEEEvT_T0_DpT1_,"axG",@progbits,_ZN2at6native12_GLOBAL__N_125multi_tensor_apply_kernelINS1_18TensorListMetadataILi2EEENS1_21BinaryOpScalarFunctorIbLi2ELi1ELi1EEEJSt5minusIbEbEEEvT_T0_DpT1_,comdat
	.globl	_ZN2at6native12_GLOBAL__N_125multi_tensor_apply_kernelINS1_18TensorListMetadataILi2EEENS1_21BinaryOpScalarFunctorIbLi2ELi1ELi1EEEJSt5minusIbEbEEEvT_T0_DpT1_ ; -- Begin function _ZN2at6native12_GLOBAL__N_125multi_tensor_apply_kernelINS1_18TensorListMetadataILi2EEENS1_21BinaryOpScalarFunctorIbLi2ELi1ELi1EEEJSt5minusIbEbEEEvT_T0_DpT1_
	.p2align	8
	.type	_ZN2at6native12_GLOBAL__N_125multi_tensor_apply_kernelINS1_18TensorListMetadataILi2EEENS1_21BinaryOpScalarFunctorIbLi2ELi1ELi1EEEJSt5minusIbEbEEEvT_T0_DpT1_,@function
_ZN2at6native12_GLOBAL__N_125multi_tensor_apply_kernelINS1_18TensorListMetadataILi2EEENS1_21BinaryOpScalarFunctorIbLi2ELi1ELi1EEEJSt5minusIbEbEEEvT_T0_DpT1_: ; @_ZN2at6native12_GLOBAL__N_125multi_tensor_apply_kernelINS1_18TensorListMetadataILi2EEENS1_21BinaryOpScalarFunctorIbLi2ELi1ELi1EEEJSt5minusIbEbEEEvT_T0_DpT1_
; %bb.0:
	v_mov_b32_e32 v1, s2
	global_load_ubyte v1, v1, s[0:1] offset:1536
	s_load_dword s6, s[0:1], 0xc48
	s_mul_hi_u32 s3, s2, 3
	s_mul_i32 s4, s2, 3
	s_waitcnt lgkmcnt(0)
	s_bitcmp1_b32 s6, 16
	s_cselect_b64 s[16:17], -1, 0
	s_add_u32 s2, s0, s2
	s_addc_u32 s5, s1, 0
	s_add_u32 s2, s2, s4
	s_addc_u32 s3, s5, s3
	s_load_dword s2, s[2:3], 0x740
	s_waitcnt vmcnt(0)
	v_readfirstlane_b32 s3, v1
	s_lshl_b32 s7, s3, 3
	s_load_dwordx2 s[10:11], s[0:1], s7 offset:0x0
	s_load_dwordx2 s[4:5], s[0:1], s7 offset:0x400
	s_load_dwordx2 s[12:13], s[0:1], s7 offset:0x200
	s_waitcnt lgkmcnt(0)
	s_ashr_i32 s3, s2, 31
	s_lshl_b64 s[14:15], s[2:3], 16
	s_add_u32 s2, s10, s14
	s_sub_u32 s18, s4, s14
	s_subb_u32 s19, s5, s15
	s_or_b32 s3, s4, s12
	s_or_b32 s2, s3, s2
	s_bfe_u32 s33, s6, 0x10010
	s_and_b32 s2, s2, 3
	s_cmp_eq_u32 s2, 0
	s_mov_b64 s[2:3], -1
	s_cbranch_scc1 .LBB104_21
; %bb.1:
	v_cmp_lt_i64_e64 s[2:3], s[18:19], 1
	s_and_b64 vcc, exec, s[2:3]
	s_cbranch_vccnz .LBB104_20
; %bb.2:
	s_load_dword s2, s[0:1], 0xc5c
	v_mov_b64_e32 v[2:3], 0x10000
	v_cmp_lt_i64_e32 vcc, s[18:19], v[2:3]
	s_and_b64 s[4:5], vcc, exec
	s_cselect_b32 s5, s19, 0
	s_cselect_b32 s4, s18, 0x10000
	s_waitcnt lgkmcnt(0)
	s_and_b32 s2, s2, 0xffff
	v_cmp_lt_u64_e32 vcc, s[18:19], v[2:3]
	s_and_b64 s[6:7], vcc, exec
	s_cselect_b32 s21, s19, 0
	s_cselect_b32 s20, s18, 0x10000
	s_lshl_b32 s6, s2, 1
	s_mul_i32 s8, s2, 3
	s_lshl_b32 s34, s2, 2
	s_mov_b32 s3, 0
	s_add_u32 s22, s14, s8
	v_mov_b32_e32 v1, 0
	s_mov_b32 s9, s3
	s_addc_u32 s23, s15, 0
	v_lshl_add_u64 v[10:11], s[8:9], 0, v[0:1]
	s_add_u32 s8, s14, s6
	v_lshl_add_u64 v[18:19], s[14:15], 0, v[0:1]
	s_addc_u32 s9, s15, 0
	s_mov_b32 s7, s3
	v_lshl_add_u64 v[8:9], s[22:23], 0, v[0:1]
	v_lshl_add_u64 v[14:15], s[8:9], 0, v[0:1]
	;; [unrolled: 1-line block ×13, first 2 shown]
	s_mov_b64 s[22:23], 0
	v_mov_b64_e32 v[24:25], s[4:5]
	s_branch .LBB104_4
.LBB104_3:                              ;   in Loop: Header=BB104_4 Depth=1
	s_or_b64 exec, exec, s[2:3]
	s_add_u32 s22, s22, s34
	s_addc_u32 s23, s23, 0
	v_cmp_lt_i64_e32 vcc, s[22:23], v[24:25]
	s_cbranch_vccz .LBB104_20
.LBB104_4:                              ; =>This Inner Loop Header: Depth=1
	v_lshl_add_u64 v[26:27], v[0:1], 0, s[22:23]
	v_cmp_gt_u64_e32 vcc, s[20:21], v[26:27]
	s_mov_b64 s[24:25], s[16:17]
	s_and_saveexec_b64 s[4:5], vcc
	s_cbranch_execz .LBB104_6
; %bb.5:                                ;   in Loop: Header=BB104_4 Depth=1
	v_lshl_add_u64 v[26:27], v[2:3], 0, s[22:23]
	global_load_ubyte v26, v[26:27], off
	s_andn2_b64 s[6:7], s[16:17], exec
	s_waitcnt vmcnt(0)
	v_cmp_ne_u16_e64 s[2:3], s33, v26
	s_and_b64 s[2:3], s[2:3], exec
	s_or_b64 s[24:25], s[6:7], s[2:3]
.LBB104_6:                              ;   in Loop: Header=BB104_4 Depth=1
	s_or_b64 exec, exec, s[4:5]
	v_lshl_add_u64 v[26:27], v[22:23], 0, s[22:23]
	v_cmp_gt_u64_e64 s[2:3], s[20:21], v[26:27]
	s_mov_b64 s[26:27], s[16:17]
	s_and_saveexec_b64 s[6:7], s[2:3]
	s_cbranch_execz .LBB104_8
; %bb.7:                                ;   in Loop: Header=BB104_4 Depth=1
	v_lshl_add_u64 v[26:27], v[18:19], 0, s[22:23]
	global_load_ubyte v26, v[26:27], off
	s_andn2_b64 s[8:9], s[16:17], exec
	s_waitcnt vmcnt(0)
	v_cmp_ne_u16_e64 s[4:5], s33, v26
	s_and_b64 s[4:5], s[4:5], exec
	s_or_b64 s[26:27], s[8:9], s[4:5]
.LBB104_8:                              ;   in Loop: Header=BB104_4 Depth=1
	s_or_b64 exec, exec, s[6:7]
	v_lshl_add_u64 v[26:27], v[16:17], 0, s[22:23]
	v_cmp_gt_u64_e64 s[4:5], s[20:21], v[26:27]
	s_mov_b64 s[28:29], s[16:17]
	s_and_saveexec_b64 s[8:9], s[4:5]
	s_cbranch_execz .LBB104_10
; %bb.9:                                ;   in Loop: Header=BB104_4 Depth=1
	v_lshl_add_u64 v[26:27], v[12:13], 0, s[22:23]
	global_load_ubyte v26, v[26:27], off
	s_andn2_b64 s[28:29], s[16:17], exec
	s_waitcnt vmcnt(0)
	v_cmp_ne_u16_e64 s[6:7], s33, v26
	s_and_b64 s[6:7], s[6:7], exec
	s_or_b64 s[28:29], s[28:29], s[6:7]
.LBB104_10:                             ;   in Loop: Header=BB104_4 Depth=1
	s_or_b64 exec, exec, s[8:9]
	v_lshl_add_u64 v[26:27], v[10:11], 0, s[22:23]
	v_cmp_gt_u64_e64 s[6:7], s[20:21], v[26:27]
	v_mov_b32_e32 v26, s33
	s_and_saveexec_b64 s[30:31], s[6:7]
	s_cbranch_execnz .LBB104_15
; %bb.11:                               ;   in Loop: Header=BB104_4 Depth=1
	s_or_b64 exec, exec, s[30:31]
	s_and_saveexec_b64 s[8:9], vcc
	s_cbranch_execnz .LBB104_16
.LBB104_12:                             ;   in Loop: Header=BB104_4 Depth=1
	s_or_b64 exec, exec, s[8:9]
	s_and_saveexec_b64 s[8:9], s[2:3]
	s_cbranch_execnz .LBB104_17
.LBB104_13:                             ;   in Loop: Header=BB104_4 Depth=1
	s_or_b64 exec, exec, s[8:9]
	s_and_saveexec_b64 s[2:3], s[4:5]
	s_cbranch_execnz .LBB104_18
.LBB104_14:                             ;   in Loop: Header=BB104_4 Depth=1
	s_or_b64 exec, exec, s[2:3]
	s_and_saveexec_b64 s[2:3], s[6:7]
	s_cbranch_execz .LBB104_3
	s_branch .LBB104_19
.LBB104_15:                             ;   in Loop: Header=BB104_4 Depth=1
	v_lshl_add_u64 v[26:27], v[6:7], 0, s[22:23]
	global_load_ubyte v26, v[26:27], off
	s_waitcnt vmcnt(0)
	v_cmp_ne_u16_e64 s[8:9], s33, v26
	s_nop 1
	v_cndmask_b32_e64 v26, 0, 1, s[8:9]
	s_or_b64 exec, exec, s[30:31]
	s_and_saveexec_b64 s[8:9], vcc
	s_cbranch_execz .LBB104_12
.LBB104_16:                             ;   in Loop: Header=BB104_4 Depth=1
	v_cndmask_b32_e64 v27, 0, 1, s[24:25]
	v_lshl_add_u64 v[28:29], v[4:5], 0, s[22:23]
	global_store_byte v[28:29], v27, off
	s_or_b64 exec, exec, s[8:9]
	s_and_saveexec_b64 s[8:9], s[2:3]
	s_cbranch_execz .LBB104_13
.LBB104_17:                             ;   in Loop: Header=BB104_4 Depth=1
	v_cndmask_b32_e64 v27, 0, 1, s[26:27]
	v_lshl_add_u64 v[28:29], v[20:21], 0, s[22:23]
	global_store_byte v[28:29], v27, off
	s_or_b64 exec, exec, s[8:9]
	s_and_saveexec_b64 s[2:3], s[4:5]
	s_cbranch_execz .LBB104_14
.LBB104_18:                             ;   in Loop: Header=BB104_4 Depth=1
	v_cndmask_b32_e64 v27, 0, 1, s[28:29]
	v_lshl_add_u64 v[28:29], v[14:15], 0, s[22:23]
	global_store_byte v[28:29], v27, off
	s_or_b64 exec, exec, s[2:3]
	s_and_saveexec_b64 s[2:3], s[6:7]
	s_cbranch_execz .LBB104_3
.LBB104_19:                             ;   in Loop: Header=BB104_4 Depth=1
	v_lshl_add_u64 v[28:29], v[8:9], 0, s[22:23]
	global_store_byte v[28:29], v26, off
	s_branch .LBB104_3
.LBB104_20:
	s_mov_b64 s[2:3], 0
.LBB104_21:
	s_andn2_b64 vcc, exec, s[2:3]
	s_cbranch_vccnz .LBB104_25
; %bb.22:
	v_mov_b64_e32 v[4:5], 0x10000
	v_cmp_lt_i64_e32 vcc, s[18:19], v[4:5]
	s_and_b64 s[4:5], vcc, exec
	v_mov_b32_e32 v3, 0
	s_cselect_b32 s5, s19, 0
	s_cselect_b32 s4, s18, 0x10000
	v_lshlrev_b32_e32 v2, 2, v0
	s_mov_b32 s3, 0
	v_cmp_gt_i64_e32 vcc, s[4:5], v[2:3]
	s_and_saveexec_b64 s[6:7], vcc
	s_cbranch_execz .LBB104_25
; %bb.23:
	s_load_dword s0, s[0:1], 0xc5c
	v_mov_b32_e32 v1, v3
	v_lshl_add_u64 v[2:3], s[14:15], 0, v[2:3]
	s_mov_b32 s1, s3
	s_mov_b64 s[6:7], 0
	s_waitcnt lgkmcnt(0)
	s_and_b32 s2, s0, 0xffff
	s_lshl_b32 s0, s2, 2
	s_movk_i32 s8, 0xff
.LBB104_24:                             ; =>This Inner Loop Header: Depth=1
	v_lshl_add_u64 v[4:5], s[10:11], 0, v[2:3]
	global_load_dword v8, v[4:5], off
	v_lshl_add_u64 v[0:1], v[0:1], 0, s[2:3]
	v_lshlrev_b64 v[6:7], 2, v[0:1]
	v_cmp_le_i64_e32 vcc, s[4:5], v[6:7]
	s_or_b64 s[6:7], vcc, s[6:7]
	v_lshl_add_u64 v[4:5], s[12:13], 0, v[2:3]
	v_lshl_add_u64 v[2:3], v[2:3], 0, s[0:1]
	s_waitcnt vmcnt(0)
	v_cmp_ne_u16_sdwa s[14:15], v8, s33 src0_sel:BYTE_0 src1_sel:DWORD
	s_nop 1
	v_cndmask_b32_e64 v6, 0, 1, s[14:15]
	v_lshrrev_b32_e32 v7, 8, v8
	v_cmp_ne_u16_sdwa s[14:15], v8, s33 src0_sel:BYTE_3 src1_sel:DWORD
	v_and_b32_sdwa v9, v8, s8 dst_sel:DWORD dst_unused:UNUSED_PAD src0_sel:WORD_1 src1_sel:DWORD
	v_cmp_ne_u16_e32 vcc, s33, v9
	v_cndmask_b32_e64 v8, 0, 1, s[14:15]
	v_cmp_ne_u16_sdwa s[14:15], v7, s33 src0_sel:BYTE_0 src1_sel:DWORD
	v_cndmask_b32_e64 v9, 0, 1, vcc
	v_lshlrev_b16_e32 v8, 8, v8
	v_cndmask_b32_e64 v7, 0, 1, s[14:15]
	v_lshlrev_b16_e32 v7, 8, v7
	v_or_b32_sdwa v8, v9, v8 dst_sel:WORD_1 dst_unused:UNUSED_PAD src0_sel:DWORD src1_sel:DWORD
	v_or_b32_e32 v6, v6, v7
	v_or_b32_sdwa v6, v6, v8 dst_sel:DWORD dst_unused:UNUSED_PAD src0_sel:WORD_0 src1_sel:DWORD
	global_store_dword v[4:5], v6, off
	s_andn2_b64 exec, exec, s[6:7]
	s_cbranch_execnz .LBB104_24
.LBB104_25:
	s_endpgm
	.section	.rodata,"a",@progbits
	.p2align	6, 0x0
	.amdhsa_kernel _ZN2at6native12_GLOBAL__N_125multi_tensor_apply_kernelINS1_18TensorListMetadataILi2EEENS1_21BinaryOpScalarFunctorIbLi2ELi1ELi1EEEJSt5minusIbEbEEEvT_T0_DpT1_
		.amdhsa_group_segment_fixed_size 0
		.amdhsa_private_segment_fixed_size 0
		.amdhsa_kernarg_size 3408
		.amdhsa_user_sgpr_count 2
		.amdhsa_user_sgpr_dispatch_ptr 0
		.amdhsa_user_sgpr_queue_ptr 0
		.amdhsa_user_sgpr_kernarg_segment_ptr 1
		.amdhsa_user_sgpr_dispatch_id 0
		.amdhsa_user_sgpr_kernarg_preload_length 0
		.amdhsa_user_sgpr_kernarg_preload_offset 0
		.amdhsa_user_sgpr_private_segment_size 0
		.amdhsa_uses_dynamic_stack 0
		.amdhsa_enable_private_segment 0
		.amdhsa_system_sgpr_workgroup_id_x 1
		.amdhsa_system_sgpr_workgroup_id_y 0
		.amdhsa_system_sgpr_workgroup_id_z 0
		.amdhsa_system_sgpr_workgroup_info 0
		.amdhsa_system_vgpr_workitem_id 0
		.amdhsa_next_free_vgpr 30
		.amdhsa_next_free_sgpr 35
		.amdhsa_accum_offset 32
		.amdhsa_reserve_vcc 1
		.amdhsa_float_round_mode_32 0
		.amdhsa_float_round_mode_16_64 0
		.amdhsa_float_denorm_mode_32 3
		.amdhsa_float_denorm_mode_16_64 3
		.amdhsa_dx10_clamp 1
		.amdhsa_ieee_mode 1
		.amdhsa_fp16_overflow 0
		.amdhsa_tg_split 0
		.amdhsa_exception_fp_ieee_invalid_op 0
		.amdhsa_exception_fp_denorm_src 0
		.amdhsa_exception_fp_ieee_div_zero 0
		.amdhsa_exception_fp_ieee_overflow 0
		.amdhsa_exception_fp_ieee_underflow 0
		.amdhsa_exception_fp_ieee_inexact 0
		.amdhsa_exception_int_div_zero 0
	.end_amdhsa_kernel
	.section	.text._ZN2at6native12_GLOBAL__N_125multi_tensor_apply_kernelINS1_18TensorListMetadataILi2EEENS1_21BinaryOpScalarFunctorIbLi2ELi1ELi1EEEJSt5minusIbEbEEEvT_T0_DpT1_,"axG",@progbits,_ZN2at6native12_GLOBAL__N_125multi_tensor_apply_kernelINS1_18TensorListMetadataILi2EEENS1_21BinaryOpScalarFunctorIbLi2ELi1ELi1EEEJSt5minusIbEbEEEvT_T0_DpT1_,comdat
.Lfunc_end104:
	.size	_ZN2at6native12_GLOBAL__N_125multi_tensor_apply_kernelINS1_18TensorListMetadataILi2EEENS1_21BinaryOpScalarFunctorIbLi2ELi1ELi1EEEJSt5minusIbEbEEEvT_T0_DpT1_, .Lfunc_end104-_ZN2at6native12_GLOBAL__N_125multi_tensor_apply_kernelINS1_18TensorListMetadataILi2EEENS1_21BinaryOpScalarFunctorIbLi2ELi1ELi1EEEJSt5minusIbEbEEEvT_T0_DpT1_
                                        ; -- End function
	.set _ZN2at6native12_GLOBAL__N_125multi_tensor_apply_kernelINS1_18TensorListMetadataILi2EEENS1_21BinaryOpScalarFunctorIbLi2ELi1ELi1EEEJSt5minusIbEbEEEvT_T0_DpT1_.num_vgpr, 30
	.set _ZN2at6native12_GLOBAL__N_125multi_tensor_apply_kernelINS1_18TensorListMetadataILi2EEENS1_21BinaryOpScalarFunctorIbLi2ELi1ELi1EEEJSt5minusIbEbEEEvT_T0_DpT1_.num_agpr, 0
	.set _ZN2at6native12_GLOBAL__N_125multi_tensor_apply_kernelINS1_18TensorListMetadataILi2EEENS1_21BinaryOpScalarFunctorIbLi2ELi1ELi1EEEJSt5minusIbEbEEEvT_T0_DpT1_.numbered_sgpr, 35
	.set _ZN2at6native12_GLOBAL__N_125multi_tensor_apply_kernelINS1_18TensorListMetadataILi2EEENS1_21BinaryOpScalarFunctorIbLi2ELi1ELi1EEEJSt5minusIbEbEEEvT_T0_DpT1_.num_named_barrier, 0
	.set _ZN2at6native12_GLOBAL__N_125multi_tensor_apply_kernelINS1_18TensorListMetadataILi2EEENS1_21BinaryOpScalarFunctorIbLi2ELi1ELi1EEEJSt5minusIbEbEEEvT_T0_DpT1_.private_seg_size, 0
	.set _ZN2at6native12_GLOBAL__N_125multi_tensor_apply_kernelINS1_18TensorListMetadataILi2EEENS1_21BinaryOpScalarFunctorIbLi2ELi1ELi1EEEJSt5minusIbEbEEEvT_T0_DpT1_.uses_vcc, 1
	.set _ZN2at6native12_GLOBAL__N_125multi_tensor_apply_kernelINS1_18TensorListMetadataILi2EEENS1_21BinaryOpScalarFunctorIbLi2ELi1ELi1EEEJSt5minusIbEbEEEvT_T0_DpT1_.uses_flat_scratch, 0
	.set _ZN2at6native12_GLOBAL__N_125multi_tensor_apply_kernelINS1_18TensorListMetadataILi2EEENS1_21BinaryOpScalarFunctorIbLi2ELi1ELi1EEEJSt5minusIbEbEEEvT_T0_DpT1_.has_dyn_sized_stack, 0
	.set _ZN2at6native12_GLOBAL__N_125multi_tensor_apply_kernelINS1_18TensorListMetadataILi2EEENS1_21BinaryOpScalarFunctorIbLi2ELi1ELi1EEEJSt5minusIbEbEEEvT_T0_DpT1_.has_recursion, 0
	.set _ZN2at6native12_GLOBAL__N_125multi_tensor_apply_kernelINS1_18TensorListMetadataILi2EEENS1_21BinaryOpScalarFunctorIbLi2ELi1ELi1EEEJSt5minusIbEbEEEvT_T0_DpT1_.has_indirect_call, 0
	.section	.AMDGPU.csdata,"",@progbits
; Kernel info:
; codeLenInByte = 1204
; TotalNumSgprs: 41
; NumVgprs: 30
; NumAgprs: 0
; TotalNumVgprs: 30
; ScratchSize: 0
; MemoryBound: 0
; FloatMode: 240
; IeeeMode: 1
; LDSByteSize: 0 bytes/workgroup (compile time only)
; SGPRBlocks: 5
; VGPRBlocks: 3
; NumSGPRsForWavesPerEU: 41
; NumVGPRsForWavesPerEU: 30
; AccumOffset: 32
; Occupancy: 8
; WaveLimiterHint : 0
; COMPUTE_PGM_RSRC2:SCRATCH_EN: 0
; COMPUTE_PGM_RSRC2:USER_SGPR: 2
; COMPUTE_PGM_RSRC2:TRAP_HANDLER: 0
; COMPUTE_PGM_RSRC2:TGID_X_EN: 1
; COMPUTE_PGM_RSRC2:TGID_Y_EN: 0
; COMPUTE_PGM_RSRC2:TGID_Z_EN: 0
; COMPUTE_PGM_RSRC2:TIDIG_COMP_CNT: 0
; COMPUTE_PGM_RSRC3_GFX90A:ACCUM_OFFSET: 7
; COMPUTE_PGM_RSRC3_GFX90A:TG_SPLIT: 0
	.section	.text._ZN2at6native12_GLOBAL__N_125multi_tensor_apply_kernelINS1_18TensorListMetadataILi2EEENS1_21BinaryOpScalarFunctorIN3c104HalfELi2ELi1ELi1EEEJSt5minusIfEfEEEvT_T0_DpT1_,"axG",@progbits,_ZN2at6native12_GLOBAL__N_125multi_tensor_apply_kernelINS1_18TensorListMetadataILi2EEENS1_21BinaryOpScalarFunctorIN3c104HalfELi2ELi1ELi1EEEJSt5minusIfEfEEEvT_T0_DpT1_,comdat
	.globl	_ZN2at6native12_GLOBAL__N_125multi_tensor_apply_kernelINS1_18TensorListMetadataILi2EEENS1_21BinaryOpScalarFunctorIN3c104HalfELi2ELi1ELi1EEEJSt5minusIfEfEEEvT_T0_DpT1_ ; -- Begin function _ZN2at6native12_GLOBAL__N_125multi_tensor_apply_kernelINS1_18TensorListMetadataILi2EEENS1_21BinaryOpScalarFunctorIN3c104HalfELi2ELi1ELi1EEEJSt5minusIfEfEEEvT_T0_DpT1_
	.p2align	8
	.type	_ZN2at6native12_GLOBAL__N_125multi_tensor_apply_kernelINS1_18TensorListMetadataILi2EEENS1_21BinaryOpScalarFunctorIN3c104HalfELi2ELi1ELi1EEEJSt5minusIfEfEEEvT_T0_DpT1_,@function
_ZN2at6native12_GLOBAL__N_125multi_tensor_apply_kernelINS1_18TensorListMetadataILi2EEENS1_21BinaryOpScalarFunctorIN3c104HalfELi2ELi1ELi1EEEJSt5minusIfEfEEEvT_T0_DpT1_: ; @_ZN2at6native12_GLOBAL__N_125multi_tensor_apply_kernelINS1_18TensorListMetadataILi2EEENS1_21BinaryOpScalarFunctorIN3c104HalfELi2ELi1ELi1EEEJSt5minusIfEfEEEvT_T0_DpT1_
; %bb.0:
	v_mov_b32_e32 v1, s2
	global_load_ubyte v1, v1, s[0:1] offset:1536
	s_add_u32 s4, s0, s2
	s_mul_hi_u32 s7, s2, 3
	s_mul_i32 s2, s2, 3
	s_addc_u32 s8, s1, 0
	s_add_u32 s6, s4, s2
	s_addc_u32 s7, s8, s7
	s_load_dword s6, s[6:7], 0x740
	s_mov_b32 s3, 0
	s_mov_b32 s5, s3
	s_waitcnt lgkmcnt(0)
	s_ashr_i32 s7, s6, 31
	s_lshl_b64 s[12:13], s[6:7], 17
	s_lshl_b64 s[6:7], s[6:7], 16
	s_waitcnt vmcnt(0)
	v_readfirstlane_b32 s2, v1
	s_lshl_b32 s2, s2, 3
	s_load_dword s26, s[0:1], 0xc4c
	s_load_dwordx2 s[16:17], s[0:1], s2 offset:0x400
	s_load_dwordx2 s[8:9], s[0:1], s2 offset:0x0
	;; [unrolled: 1-line block ×3, first 2 shown]
	s_waitcnt lgkmcnt(0)
	s_add_u32 s2, s8, s12
	s_and_b32 s4, s10, 7
	s_and_b32 s2, s2, 7
	s_sub_u32 s14, s16, s6
	s_subb_u32 s15, s17, s7
	s_and_b32 s6, s16, 3
	s_mov_b32 s7, s3
	s_or_b64 s[4:5], s[4:5], s[6:7]
	s_or_b64 s[2:3], s[4:5], s[2:3]
	s_cmp_eq_u64 s[2:3], 0
	s_mov_b64 s[2:3], -1
	s_cbranch_scc1 .LBB105_21
; %bb.1:
	v_cmp_lt_i64_e64 s[2:3], s[14:15], 1
	s_and_b64 vcc, exec, s[2:3]
	s_cbranch_vccnz .LBB105_20
; %bb.2:
	s_load_dword s2, s[0:1], 0xc5c
	v_mov_b64_e32 v[2:3], 0x10000
	v_cmp_lt_i64_e32 vcc, s[14:15], v[2:3]
	s_and_b64 s[4:5], vcc, exec
	s_cselect_b32 s5, s15, 0
	s_cselect_b32 s4, s14, 0x10000
	s_waitcnt lgkmcnt(0)
	s_and_b32 s2, s2, 0xffff
	v_cmp_lt_u64_e32 vcc, s[14:15], v[2:3]
	s_mov_b32 s3, 0
	v_mov_b32_e32 v1, 0
	s_and_b64 s[6:7], vcc, exec
	s_cselect_b32 s17, s15, 0
	s_cselect_b32 s16, s14, 0x10000
	s_lshl_b32 s18, s2, 2
	s_mov_b32 s19, s3
	v_lshlrev_b32_e32 v12, 1, v0
	v_mov_b32_e32 v13, v1
	v_lshl_add_u64 v[18:19], v[0:1], 0, s[2:3]
	s_lshl_b32 s6, s2, 1
	s_mov_b32 s7, s3
	s_mul_i32 s22, s2, 3
	s_mov_b32 s23, s3
	v_mad_u64_u32 v[8:9], s[24:25], s2, 6, v[12:13]
	v_lshl_add_u64 v[14:15], s[18:19], 0, v[12:13]
	v_lshlrev_b32_e32 v22, 1, v18
	v_mov_b32_e32 v23, v1
	v_lshl_add_u64 v[2:3], s[8:9], 0, v[12:13]
	s_lshl_b32 s20, s2, 3
	s_mov_b32 s21, s3
	v_lshl_add_u64 v[4:5], s[10:11], 0, v[12:13]
	v_lshl_add_u64 v[6:7], s[8:9], 0, v[8:9]
	;; [unrolled: 1-line block ×9, first 2 shown]
	s_mov_b64 s[22:23], 0
	v_mov_b64_e32 v[24:25], s[4:5]
	s_branch .LBB105_4
.LBB105_3:                              ;   in Loop: Header=BB105_4 Depth=1
	s_or_b64 exec, exec, s[2:3]
	s_add_u32 s22, s22, s18
	s_addc_u32 s23, s23, 0
	v_cmp_lt_i64_e32 vcc, s[22:23], v[24:25]
	v_lshl_add_u64 v[2:3], v[2:3], 0, s[20:21]
	v_lshl_add_u64 v[4:5], v[4:5], 0, s[20:21]
	;; [unrolled: 1-line block ×8, first 2 shown]
	s_cbranch_vccz .LBB105_20
.LBB105_4:                              ; =>This Inner Loop Header: Depth=1
	v_lshl_add_u64 v[26:27], v[0:1], 0, s[22:23]
	v_cmp_gt_u64_e32 vcc, s[16:17], v[26:27]
	v_mov_b32_e32 v27, 0
	s_and_saveexec_b64 s[2:3], vcc
	s_cbranch_execz .LBB105_6
; %bb.5:                                ;   in Loop: Header=BB105_4 Depth=1
	v_lshl_add_u64 v[26:27], v[2:3], 0, s[12:13]
	global_load_ushort v26, v[26:27], off
	s_waitcnt vmcnt(0)
	v_cvt_f32_f16_e32 v27, v26
.LBB105_6:                              ;   in Loop: Header=BB105_4 Depth=1
	s_or_b64 exec, exec, s[2:3]
	v_lshl_add_u64 v[28:29], v[18:19], 0, s[22:23]
	v_cmp_gt_u64_e64 s[2:3], s[16:17], v[28:29]
	v_mov_b32_e32 v26, 0
	v_mov_b32_e32 v28, 0
	s_and_saveexec_b64 s[4:5], s[2:3]
	s_cbranch_execz .LBB105_8
; %bb.7:                                ;   in Loop: Header=BB105_4 Depth=1
	v_lshl_add_u64 v[28:29], v[20:21], 0, s[12:13]
	global_load_ushort v28, v[28:29], off
	s_waitcnt vmcnt(0)
	v_cvt_f32_f16_e32 v28, v28
.LBB105_8:                              ;   in Loop: Header=BB105_4 Depth=1
	s_or_b64 exec, exec, s[4:5]
	v_lshl_add_u64 v[30:31], v[16:17], 0, s[22:23]
	v_cmp_gt_u64_e64 s[4:5], s[16:17], v[30:31]
	s_and_saveexec_b64 s[6:7], s[4:5]
	s_cbranch_execz .LBB105_10
; %bb.9:                                ;   in Loop: Header=BB105_4 Depth=1
	v_lshl_add_u64 v[30:31], v[12:13], 0, s[12:13]
	global_load_ushort v26, v[30:31], off
	s_waitcnt vmcnt(0)
	v_cvt_f32_f16_e32 v26, v26
.LBB105_10:                             ;   in Loop: Header=BB105_4 Depth=1
	s_or_b64 exec, exec, s[6:7]
	v_lshl_add_u64 v[30:31], v[10:11], 0, s[22:23]
	v_cmp_gt_u64_e64 s[6:7], s[16:17], v[30:31]
	v_mov_b32_e32 v29, 0
	s_and_saveexec_b64 s[24:25], s[6:7]
	s_cbranch_execnz .LBB105_15
; %bb.11:                               ;   in Loop: Header=BB105_4 Depth=1
	s_or_b64 exec, exec, s[24:25]
	s_and_saveexec_b64 s[24:25], vcc
	s_cbranch_execnz .LBB105_16
.LBB105_12:                             ;   in Loop: Header=BB105_4 Depth=1
	s_or_b64 exec, exec, s[24:25]
	s_and_saveexec_b64 s[24:25], s[2:3]
	s_cbranch_execnz .LBB105_17
.LBB105_13:                             ;   in Loop: Header=BB105_4 Depth=1
	s_or_b64 exec, exec, s[24:25]
	s_and_saveexec_b64 s[2:3], s[4:5]
	s_cbranch_execnz .LBB105_18
.LBB105_14:                             ;   in Loop: Header=BB105_4 Depth=1
	s_or_b64 exec, exec, s[2:3]
	s_and_saveexec_b64 s[2:3], s[6:7]
	s_cbranch_execz .LBB105_3
	s_branch .LBB105_19
.LBB105_15:                             ;   in Loop: Header=BB105_4 Depth=1
	v_lshl_add_u64 v[30:31], v[6:7], 0, s[12:13]
	global_load_ushort v29, v[30:31], off
	s_waitcnt vmcnt(0)
	v_cvt_f32_f16_e32 v29, v29
	s_or_b64 exec, exec, s[24:25]
	s_and_saveexec_b64 s[24:25], vcc
	s_cbranch_execz .LBB105_12
.LBB105_16:                             ;   in Loop: Header=BB105_4 Depth=1
	v_subrev_f32_e32 v27, s26, v27
	v_cvt_f16_f32_e32 v27, v27
	v_lshl_add_u64 v[30:31], v[4:5], 0, s[12:13]
	global_store_short v[30:31], v27, off
	s_or_b64 exec, exec, s[24:25]
	s_and_saveexec_b64 s[24:25], s[2:3]
	s_cbranch_execz .LBB105_13
.LBB105_17:                             ;   in Loop: Header=BB105_4 Depth=1
	v_subrev_f32_e32 v27, s26, v28
	v_cvt_f16_f32_e32 v27, v27
	v_lshl_add_u64 v[30:31], v[22:23], 0, s[12:13]
	global_store_short v[30:31], v27, off
	s_or_b64 exec, exec, s[24:25]
	s_and_saveexec_b64 s[2:3], s[4:5]
	s_cbranch_execz .LBB105_14
.LBB105_18:                             ;   in Loop: Header=BB105_4 Depth=1
	v_subrev_f32_e32 v26, s26, v26
	v_cvt_f16_f32_e32 v28, v26
	v_lshl_add_u64 v[26:27], v[14:15], 0, s[12:13]
	global_store_short v[26:27], v28, off
	s_or_b64 exec, exec, s[2:3]
	s_and_saveexec_b64 s[2:3], s[6:7]
	s_cbranch_execz .LBB105_3
.LBB105_19:                             ;   in Loop: Header=BB105_4 Depth=1
	v_subrev_f32_e32 v26, s26, v29
	v_cvt_f16_f32_e32 v28, v26
	v_lshl_add_u64 v[26:27], v[8:9], 0, s[12:13]
	global_store_short v[26:27], v28, off
	s_branch .LBB105_3
.LBB105_20:
	s_mov_b64 s[2:3], 0
.LBB105_21:
	s_andn2_b64 vcc, exec, s[2:3]
	s_cbranch_vccnz .LBB105_25
; %bb.22:
	v_mov_b64_e32 v[4:5], 0x10000
	v_cmp_lt_i64_e32 vcc, s[14:15], v[4:5]
	s_and_b64 s[4:5], vcc, exec
	v_mov_b32_e32 v3, 0
	s_cselect_b32 s5, s15, 0
	s_cselect_b32 s4, s14, 0x10000
	v_lshlrev_b32_e32 v2, 2, v0
	s_mov_b32 s3, 0
	v_cmp_gt_i64_e32 vcc, s[4:5], v[2:3]
	s_and_saveexec_b64 s[6:7], vcc
	s_cbranch_execz .LBB105_25
; %bb.23:
	s_load_dword s0, s[0:1], 0xc5c
	v_lshlrev_b32_e32 v2, 3, v0
	v_mov_b32_e32 v1, v3
	s_mov_b32 s14, s26
	s_mov_b32 s15, s26
	s_waitcnt lgkmcnt(0)
	s_and_b32 s2, s0, 0xffff
	s_mov_b32 s16, s26
	v_lshl_add_u64 v[2:3], s[12:13], 0, v[2:3]
	s_lshl_b32 s0, s2, 3
	s_mov_b32 s1, s3
	s_mov_b64 s[6:7], 0
.LBB105_24:                             ; =>This Inner Loop Header: Depth=1
	v_lshl_add_u64 v[4:5], s[8:9], 0, v[2:3]
	global_load_dwordx2 v[4:5], v[4:5], off
	v_lshl_add_u64 v[0:1], v[0:1], 0, s[2:3]
	v_lshlrev_b64 v[8:9], 2, v[0:1]
	v_cmp_le_i64_e32 vcc, s[4:5], v[8:9]
	v_lshl_add_u64 v[6:7], s[10:11], 0, v[2:3]
	v_lshl_add_u64 v[2:3], v[2:3], 0, s[0:1]
	s_or_b64 s[6:7], vcc, s[6:7]
	s_waitcnt vmcnt(0)
	v_cvt_f32_f16_e32 v8, v4
	v_cvt_f32_f16_sdwa v4, v4 dst_sel:DWORD dst_unused:UNUSED_PAD src0_sel:WORD_1
	v_cvt_f32_f16_e32 v9, v5
	v_cvt_f32_f16_sdwa v5, v5 dst_sel:DWORD dst_unused:UNUSED_PAD src0_sel:WORD_1
	v_subrev_f32_e32 v8, s26, v8
	v_subrev_f32_e32 v4, s14, v4
	;; [unrolled: 1-line block ×4, first 2 shown]
	v_cvt_pk_f16_f32 v5, v9, v5
	v_cvt_pk_f16_f32 v4, v8, v4
	global_store_dwordx2 v[6:7], v[4:5], off
	s_andn2_b64 exec, exec, s[6:7]
	s_cbranch_execnz .LBB105_24
.LBB105_25:
	s_endpgm
	.section	.rodata,"a",@progbits
	.p2align	6, 0x0
	.amdhsa_kernel _ZN2at6native12_GLOBAL__N_125multi_tensor_apply_kernelINS1_18TensorListMetadataILi2EEENS1_21BinaryOpScalarFunctorIN3c104HalfELi2ELi1ELi1EEEJSt5minusIfEfEEEvT_T0_DpT1_
		.amdhsa_group_segment_fixed_size 0
		.amdhsa_private_segment_fixed_size 0
		.amdhsa_kernarg_size 3408
		.amdhsa_user_sgpr_count 2
		.amdhsa_user_sgpr_dispatch_ptr 0
		.amdhsa_user_sgpr_queue_ptr 0
		.amdhsa_user_sgpr_kernarg_segment_ptr 1
		.amdhsa_user_sgpr_dispatch_id 0
		.amdhsa_user_sgpr_kernarg_preload_length 0
		.amdhsa_user_sgpr_kernarg_preload_offset 0
		.amdhsa_user_sgpr_private_segment_size 0
		.amdhsa_uses_dynamic_stack 0
		.amdhsa_enable_private_segment 0
		.amdhsa_system_sgpr_workgroup_id_x 1
		.amdhsa_system_sgpr_workgroup_id_y 0
		.amdhsa_system_sgpr_workgroup_id_z 0
		.amdhsa_system_sgpr_workgroup_info 0
		.amdhsa_system_vgpr_workitem_id 0
		.amdhsa_next_free_vgpr 32
		.amdhsa_next_free_sgpr 27
		.amdhsa_accum_offset 32
		.amdhsa_reserve_vcc 1
		.amdhsa_float_round_mode_32 0
		.amdhsa_float_round_mode_16_64 0
		.amdhsa_float_denorm_mode_32 3
		.amdhsa_float_denorm_mode_16_64 3
		.amdhsa_dx10_clamp 1
		.amdhsa_ieee_mode 1
		.amdhsa_fp16_overflow 0
		.amdhsa_tg_split 0
		.amdhsa_exception_fp_ieee_invalid_op 0
		.amdhsa_exception_fp_denorm_src 0
		.amdhsa_exception_fp_ieee_div_zero 0
		.amdhsa_exception_fp_ieee_overflow 0
		.amdhsa_exception_fp_ieee_underflow 0
		.amdhsa_exception_fp_ieee_inexact 0
		.amdhsa_exception_int_div_zero 0
	.end_amdhsa_kernel
	.section	.text._ZN2at6native12_GLOBAL__N_125multi_tensor_apply_kernelINS1_18TensorListMetadataILi2EEENS1_21BinaryOpScalarFunctorIN3c104HalfELi2ELi1ELi1EEEJSt5minusIfEfEEEvT_T0_DpT1_,"axG",@progbits,_ZN2at6native12_GLOBAL__N_125multi_tensor_apply_kernelINS1_18TensorListMetadataILi2EEENS1_21BinaryOpScalarFunctorIN3c104HalfELi2ELi1ELi1EEEJSt5minusIfEfEEEvT_T0_DpT1_,comdat
.Lfunc_end105:
	.size	_ZN2at6native12_GLOBAL__N_125multi_tensor_apply_kernelINS1_18TensorListMetadataILi2EEENS1_21BinaryOpScalarFunctorIN3c104HalfELi2ELi1ELi1EEEJSt5minusIfEfEEEvT_T0_DpT1_, .Lfunc_end105-_ZN2at6native12_GLOBAL__N_125multi_tensor_apply_kernelINS1_18TensorListMetadataILi2EEENS1_21BinaryOpScalarFunctorIN3c104HalfELi2ELi1ELi1EEEJSt5minusIfEfEEEvT_T0_DpT1_
                                        ; -- End function
	.set _ZN2at6native12_GLOBAL__N_125multi_tensor_apply_kernelINS1_18TensorListMetadataILi2EEENS1_21BinaryOpScalarFunctorIN3c104HalfELi2ELi1ELi1EEEJSt5minusIfEfEEEvT_T0_DpT1_.num_vgpr, 32
	.set _ZN2at6native12_GLOBAL__N_125multi_tensor_apply_kernelINS1_18TensorListMetadataILi2EEENS1_21BinaryOpScalarFunctorIN3c104HalfELi2ELi1ELi1EEEJSt5minusIfEfEEEvT_T0_DpT1_.num_agpr, 0
	.set _ZN2at6native12_GLOBAL__N_125multi_tensor_apply_kernelINS1_18TensorListMetadataILi2EEENS1_21BinaryOpScalarFunctorIN3c104HalfELi2ELi1ELi1EEEJSt5minusIfEfEEEvT_T0_DpT1_.numbered_sgpr, 27
	.set _ZN2at6native12_GLOBAL__N_125multi_tensor_apply_kernelINS1_18TensorListMetadataILi2EEENS1_21BinaryOpScalarFunctorIN3c104HalfELi2ELi1ELi1EEEJSt5minusIfEfEEEvT_T0_DpT1_.num_named_barrier, 0
	.set _ZN2at6native12_GLOBAL__N_125multi_tensor_apply_kernelINS1_18TensorListMetadataILi2EEENS1_21BinaryOpScalarFunctorIN3c104HalfELi2ELi1ELi1EEEJSt5minusIfEfEEEvT_T0_DpT1_.private_seg_size, 0
	.set _ZN2at6native12_GLOBAL__N_125multi_tensor_apply_kernelINS1_18TensorListMetadataILi2EEENS1_21BinaryOpScalarFunctorIN3c104HalfELi2ELi1ELi1EEEJSt5minusIfEfEEEvT_T0_DpT1_.uses_vcc, 1
	.set _ZN2at6native12_GLOBAL__N_125multi_tensor_apply_kernelINS1_18TensorListMetadataILi2EEENS1_21BinaryOpScalarFunctorIN3c104HalfELi2ELi1ELi1EEEJSt5minusIfEfEEEvT_T0_DpT1_.uses_flat_scratch, 0
	.set _ZN2at6native12_GLOBAL__N_125multi_tensor_apply_kernelINS1_18TensorListMetadataILi2EEENS1_21BinaryOpScalarFunctorIN3c104HalfELi2ELi1ELi1EEEJSt5minusIfEfEEEvT_T0_DpT1_.has_dyn_sized_stack, 0
	.set _ZN2at6native12_GLOBAL__N_125multi_tensor_apply_kernelINS1_18TensorListMetadataILi2EEENS1_21BinaryOpScalarFunctorIN3c104HalfELi2ELi1ELi1EEEJSt5minusIfEfEEEvT_T0_DpT1_.has_recursion, 0
	.set _ZN2at6native12_GLOBAL__N_125multi_tensor_apply_kernelINS1_18TensorListMetadataILi2EEENS1_21BinaryOpScalarFunctorIN3c104HalfELi2ELi1ELi1EEEJSt5minusIfEfEEEvT_T0_DpT1_.has_indirect_call, 0
	.section	.AMDGPU.csdata,"",@progbits
; Kernel info:
; codeLenInByte = 1180
; TotalNumSgprs: 33
; NumVgprs: 32
; NumAgprs: 0
; TotalNumVgprs: 32
; ScratchSize: 0
; MemoryBound: 0
; FloatMode: 240
; IeeeMode: 1
; LDSByteSize: 0 bytes/workgroup (compile time only)
; SGPRBlocks: 4
; VGPRBlocks: 3
; NumSGPRsForWavesPerEU: 33
; NumVGPRsForWavesPerEU: 32
; AccumOffset: 32
; Occupancy: 8
; WaveLimiterHint : 0
; COMPUTE_PGM_RSRC2:SCRATCH_EN: 0
; COMPUTE_PGM_RSRC2:USER_SGPR: 2
; COMPUTE_PGM_RSRC2:TRAP_HANDLER: 0
; COMPUTE_PGM_RSRC2:TGID_X_EN: 1
; COMPUTE_PGM_RSRC2:TGID_Y_EN: 0
; COMPUTE_PGM_RSRC2:TGID_Z_EN: 0
; COMPUTE_PGM_RSRC2:TIDIG_COMP_CNT: 0
; COMPUTE_PGM_RSRC3_GFX90A:ACCUM_OFFSET: 7
; COMPUTE_PGM_RSRC3_GFX90A:TG_SPLIT: 0
	.section	.text._ZN2at6native12_GLOBAL__N_125multi_tensor_apply_kernelINS1_18TensorListMetadataILi2EEENS1_21BinaryOpScalarFunctorIN3c108BFloat16ELi2ELi1ELi1EEEJSt5minusIfEfEEEvT_T0_DpT1_,"axG",@progbits,_ZN2at6native12_GLOBAL__N_125multi_tensor_apply_kernelINS1_18TensorListMetadataILi2EEENS1_21BinaryOpScalarFunctorIN3c108BFloat16ELi2ELi1ELi1EEEJSt5minusIfEfEEEvT_T0_DpT1_,comdat
	.globl	_ZN2at6native12_GLOBAL__N_125multi_tensor_apply_kernelINS1_18TensorListMetadataILi2EEENS1_21BinaryOpScalarFunctorIN3c108BFloat16ELi2ELi1ELi1EEEJSt5minusIfEfEEEvT_T0_DpT1_ ; -- Begin function _ZN2at6native12_GLOBAL__N_125multi_tensor_apply_kernelINS1_18TensorListMetadataILi2EEENS1_21BinaryOpScalarFunctorIN3c108BFloat16ELi2ELi1ELi1EEEJSt5minusIfEfEEEvT_T0_DpT1_
	.p2align	8
	.type	_ZN2at6native12_GLOBAL__N_125multi_tensor_apply_kernelINS1_18TensorListMetadataILi2EEENS1_21BinaryOpScalarFunctorIN3c108BFloat16ELi2ELi1ELi1EEEJSt5minusIfEfEEEvT_T0_DpT1_,@function
_ZN2at6native12_GLOBAL__N_125multi_tensor_apply_kernelINS1_18TensorListMetadataILi2EEENS1_21BinaryOpScalarFunctorIN3c108BFloat16ELi2ELi1ELi1EEEJSt5minusIfEfEEEvT_T0_DpT1_: ; @_ZN2at6native12_GLOBAL__N_125multi_tensor_apply_kernelINS1_18TensorListMetadataILi2EEENS1_21BinaryOpScalarFunctorIN3c108BFloat16ELi2ELi1ELi1EEEJSt5minusIfEfEEEvT_T0_DpT1_
; %bb.0:
	v_mov_b32_e32 v1, s2
	global_load_ubyte v1, v1, s[0:1] offset:1536
	s_add_u32 s4, s0, s2
	s_mul_hi_u32 s7, s2, 3
	s_mul_i32 s2, s2, 3
	s_addc_u32 s8, s1, 0
	s_add_u32 s6, s4, s2
	s_addc_u32 s7, s8, s7
	s_load_dword s6, s[6:7], 0x740
	s_mov_b32 s3, 0
	s_mov_b32 s5, s3
	s_waitcnt lgkmcnt(0)
	s_ashr_i32 s7, s6, 31
	s_lshl_b64 s[12:13], s[6:7], 17
	s_lshl_b64 s[6:7], s[6:7], 16
	s_waitcnt vmcnt(0)
	v_readfirstlane_b32 s2, v1
	s_lshl_b32 s2, s2, 3
	s_load_dword s26, s[0:1], 0xc4c
	s_load_dwordx2 s[16:17], s[0:1], s2 offset:0x400
	s_load_dwordx2 s[8:9], s[0:1], s2 offset:0x0
	;; [unrolled: 1-line block ×3, first 2 shown]
	s_waitcnt lgkmcnt(0)
	s_add_u32 s2, s8, s12
	s_and_b32 s4, s10, 7
	s_and_b32 s2, s2, 7
	s_sub_u32 s14, s16, s6
	s_subb_u32 s15, s17, s7
	s_and_b32 s6, s16, 3
	s_mov_b32 s7, s3
	s_or_b64 s[4:5], s[4:5], s[6:7]
	s_or_b64 s[2:3], s[4:5], s[2:3]
	s_cmp_eq_u64 s[2:3], 0
	s_mov_b64 s[2:3], -1
	s_cbranch_scc1 .LBB106_21
; %bb.1:
	v_cmp_lt_i64_e64 s[2:3], s[14:15], 1
	s_and_b64 vcc, exec, s[2:3]
	s_cbranch_vccnz .LBB106_20
; %bb.2:
	s_load_dword s2, s[0:1], 0xc5c
	v_mov_b64_e32 v[2:3], 0x10000
	v_cmp_lt_i64_e32 vcc, s[14:15], v[2:3]
	s_and_b64 s[4:5], vcc, exec
	s_cselect_b32 s5, s15, 0
	s_cselect_b32 s4, s14, 0x10000
	s_waitcnt lgkmcnt(0)
	s_and_b32 s2, s2, 0xffff
	v_cmp_lt_u64_e32 vcc, s[14:15], v[2:3]
	s_mov_b32 s3, 0
	v_mov_b32_e32 v1, 0
	s_and_b64 s[6:7], vcc, exec
	s_cselect_b32 s17, s15, 0
	s_cselect_b32 s16, s14, 0x10000
	s_lshl_b32 s18, s2, 2
	s_mov_b32 s19, s3
	v_lshlrev_b32_e32 v12, 1, v0
	v_mov_b32_e32 v13, v1
	v_lshl_add_u64 v[18:19], v[0:1], 0, s[2:3]
	s_lshl_b32 s6, s2, 1
	s_mov_b32 s7, s3
	s_mul_i32 s22, s2, 3
	s_mov_b32 s23, s3
	v_mad_u64_u32 v[8:9], s[24:25], s2, 6, v[12:13]
	v_lshl_add_u64 v[14:15], s[18:19], 0, v[12:13]
	v_lshlrev_b32_e32 v22, 1, v18
	v_mov_b32_e32 v23, v1
	v_lshl_add_u64 v[2:3], s[8:9], 0, v[12:13]
	s_lshl_b32 s20, s2, 3
	s_mov_b32 s21, s3
	v_lshl_add_u64 v[4:5], s[10:11], 0, v[12:13]
	v_lshl_add_u64 v[6:7], s[8:9], 0, v[8:9]
	;; [unrolled: 1-line block ×9, first 2 shown]
	s_mov_b64 s[22:23], 0
	s_movk_i32 s19, 0x7fff
	v_mov_b64_e32 v[24:25], s[4:5]
	v_mov_b32_e32 v26, 0x7fc0
	s_branch .LBB106_4
.LBB106_3:                              ;   in Loop: Header=BB106_4 Depth=1
	s_or_b64 exec, exec, s[2:3]
	s_add_u32 s22, s22, s18
	s_addc_u32 s23, s23, 0
	v_cmp_lt_i64_e32 vcc, s[22:23], v[24:25]
	v_lshl_add_u64 v[2:3], v[2:3], 0, s[20:21]
	v_lshl_add_u64 v[4:5], v[4:5], 0, s[20:21]
	;; [unrolled: 1-line block ×8, first 2 shown]
	s_cbranch_vccz .LBB106_20
.LBB106_4:                              ; =>This Inner Loop Header: Depth=1
	v_lshl_add_u64 v[28:29], v[0:1], 0, s[22:23]
	v_cmp_gt_u64_e32 vcc, s[16:17], v[28:29]
	v_mov_b32_e32 v28, 0
	s_and_saveexec_b64 s[2:3], vcc
	s_cbranch_execz .LBB106_6
; %bb.5:                                ;   in Loop: Header=BB106_4 Depth=1
	v_lshl_add_u64 v[28:29], v[2:3], 0, s[12:13]
	global_load_ushort v27, v[28:29], off
	s_waitcnt vmcnt(0)
	v_lshlrev_b32_e32 v28, 16, v27
.LBB106_6:                              ;   in Loop: Header=BB106_4 Depth=1
	s_or_b64 exec, exec, s[2:3]
	v_lshl_add_u64 v[30:31], v[18:19], 0, s[22:23]
	v_cmp_gt_u64_e64 s[2:3], s[16:17], v[30:31]
	v_mov_b32_e32 v27, 0
	v_mov_b32_e32 v29, 0
	s_and_saveexec_b64 s[4:5], s[2:3]
	s_cbranch_execz .LBB106_8
; %bb.7:                                ;   in Loop: Header=BB106_4 Depth=1
	v_lshl_add_u64 v[30:31], v[20:21], 0, s[12:13]
	global_load_ushort v29, v[30:31], off
	s_waitcnt vmcnt(0)
	v_lshlrev_b32_e32 v29, 16, v29
.LBB106_8:                              ;   in Loop: Header=BB106_4 Depth=1
	s_or_b64 exec, exec, s[4:5]
	v_lshl_add_u64 v[30:31], v[16:17], 0, s[22:23]
	v_cmp_gt_u64_e64 s[4:5], s[16:17], v[30:31]
	s_and_saveexec_b64 s[6:7], s[4:5]
	s_cbranch_execz .LBB106_10
; %bb.9:                                ;   in Loop: Header=BB106_4 Depth=1
	v_lshl_add_u64 v[30:31], v[12:13], 0, s[12:13]
	global_load_ushort v27, v[30:31], off
	s_waitcnt vmcnt(0)
	v_lshlrev_b32_e32 v27, 16, v27
.LBB106_10:                             ;   in Loop: Header=BB106_4 Depth=1
	s_or_b64 exec, exec, s[6:7]
	v_lshl_add_u64 v[30:31], v[10:11], 0, s[22:23]
	v_cmp_gt_u64_e64 s[6:7], s[16:17], v[30:31]
	v_mov_b32_e32 v30, 0
	s_and_saveexec_b64 s[24:25], s[6:7]
	s_cbranch_execnz .LBB106_15
; %bb.11:                               ;   in Loop: Header=BB106_4 Depth=1
	s_or_b64 exec, exec, s[24:25]
	s_and_saveexec_b64 s[24:25], vcc
	s_cbranch_execnz .LBB106_16
.LBB106_12:                             ;   in Loop: Header=BB106_4 Depth=1
	s_or_b64 exec, exec, s[24:25]
	s_and_saveexec_b64 s[24:25], s[2:3]
	s_cbranch_execnz .LBB106_17
.LBB106_13:                             ;   in Loop: Header=BB106_4 Depth=1
	s_or_b64 exec, exec, s[24:25]
	s_and_saveexec_b64 s[2:3], s[4:5]
	s_cbranch_execnz .LBB106_18
.LBB106_14:                             ;   in Loop: Header=BB106_4 Depth=1
	s_or_b64 exec, exec, s[2:3]
	s_and_saveexec_b64 s[2:3], s[6:7]
	s_cbranch_execz .LBB106_3
	s_branch .LBB106_19
.LBB106_15:                             ;   in Loop: Header=BB106_4 Depth=1
	v_lshl_add_u64 v[30:31], v[6:7], 0, s[12:13]
	global_load_ushort v30, v[30:31], off
	s_waitcnt vmcnt(0)
	v_lshlrev_b32_e32 v30, 16, v30
	s_or_b64 exec, exec, s[24:25]
	s_and_saveexec_b64 s[24:25], vcc
	s_cbranch_execz .LBB106_12
.LBB106_16:                             ;   in Loop: Header=BB106_4 Depth=1
	v_subrev_f32_e32 v28, s26, v28
	v_bfe_u32 v31, v28, 16, 1
	v_add3_u32 v31, v28, v31, s19
	v_cmp_o_f32_e32 vcc, v28, v28
	v_lshl_add_u64 v[32:33], v[4:5], 0, s[12:13]
	s_nop 0
	v_cndmask_b32_sdwa v28, v26, v31, vcc dst_sel:DWORD dst_unused:UNUSED_PAD src0_sel:DWORD src1_sel:WORD_1
	global_store_short v[32:33], v28, off
	s_or_b64 exec, exec, s[24:25]
	s_and_saveexec_b64 s[24:25], s[2:3]
	s_cbranch_execz .LBB106_13
.LBB106_17:                             ;   in Loop: Header=BB106_4 Depth=1
	v_subrev_f32_e32 v28, s26, v29
	v_bfe_u32 v29, v28, 16, 1
	v_add3_u32 v29, v28, v29, s19
	v_cmp_o_f32_e32 vcc, v28, v28
	s_nop 1
	v_cndmask_b32_sdwa v31, v26, v29, vcc dst_sel:DWORD dst_unused:UNUSED_PAD src0_sel:DWORD src1_sel:WORD_1
	v_lshl_add_u64 v[28:29], v[22:23], 0, s[12:13]
	global_store_short v[28:29], v31, off
	s_or_b64 exec, exec, s[24:25]
	s_and_saveexec_b64 s[2:3], s[4:5]
	s_cbranch_execz .LBB106_14
.LBB106_18:                             ;   in Loop: Header=BB106_4 Depth=1
	v_subrev_f32_e32 v27, s26, v27
	v_bfe_u32 v28, v27, 16, 1
	v_add3_u32 v28, v27, v28, s19
	v_cmp_o_f32_e32 vcc, v27, v27
	s_nop 1
	v_cndmask_b32_sdwa v27, v26, v28, vcc dst_sel:DWORD dst_unused:UNUSED_PAD src0_sel:DWORD src1_sel:WORD_1
	v_lshl_add_u64 v[28:29], v[14:15], 0, s[12:13]
	global_store_short v[28:29], v27, off
	s_or_b64 exec, exec, s[2:3]
	s_and_saveexec_b64 s[2:3], s[6:7]
	s_cbranch_execz .LBB106_3
.LBB106_19:                             ;   in Loop: Header=BB106_4 Depth=1
	v_subrev_f32_e32 v27, s26, v30
	v_bfe_u32 v28, v27, 16, 1
	v_add3_u32 v28, v27, v28, s19
	v_cmp_o_f32_e32 vcc, v27, v27
	s_nop 1
	v_cndmask_b32_sdwa v27, v26, v28, vcc dst_sel:DWORD dst_unused:UNUSED_PAD src0_sel:DWORD src1_sel:WORD_1
	v_lshl_add_u64 v[28:29], v[8:9], 0, s[12:13]
	global_store_short v[28:29], v27, off
	s_branch .LBB106_3
.LBB106_20:
	s_mov_b64 s[2:3], 0
.LBB106_21:
	s_andn2_b64 vcc, exec, s[2:3]
	s_cbranch_vccnz .LBB106_25
; %bb.22:
	v_mov_b64_e32 v[4:5], 0x10000
	v_cmp_lt_i64_e32 vcc, s[14:15], v[4:5]
	s_and_b64 s[2:3], vcc, exec
	v_mov_b32_e32 v3, 0
	s_cselect_b32 s7, s15, 0
	s_cselect_b32 s6, s14, 0x10000
	v_lshlrev_b32_e32 v2, 2, v0
	s_mov_b32 s5, 0
	v_cmp_gt_i64_e32 vcc, s[6:7], v[2:3]
	s_and_saveexec_b64 s[2:3], vcc
	s_cbranch_execz .LBB106_25
; %bb.23:
	s_load_dword s0, s[0:1], 0xc5c
	v_lshlrev_b32_e32 v2, 3, v0
	v_mov_b32_e32 v1, v3
	s_mov_b32 s15, s5
	v_lshl_add_u64 v[2:3], s[12:13], 0, v[2:3]
	s_waitcnt lgkmcnt(0)
	s_and_b32 s4, s0, 0xffff
	s_lshl_b32 s14, s4, 3
	s_mov_b64 s[12:13], 0
	s_movk_i32 s16, 0x7fff
	v_mov_b32_e32 v4, 0x7fc00000
	v_mov_b32_e32 v5, 0x7fc0
.LBB106_24:                             ; =>This Inner Loop Header: Depth=1
	v_lshl_add_u64 v[6:7], s[8:9], 0, v[2:3]
	global_load_dwordx2 v[6:7], v[6:7], off
	v_lshl_add_u64 v[0:1], v[0:1], 0, s[4:5]
	v_lshlrev_b64 v[10:11], 2, v[0:1]
	v_cmp_le_i64_e32 vcc, s[6:7], v[10:11]
	s_or_b64 s[12:13], vcc, s[12:13]
	v_lshl_add_u64 v[8:9], s[10:11], 0, v[2:3]
	v_lshl_add_u64 v[2:3], v[2:3], 0, s[14:15]
	s_waitcnt vmcnt(0)
	v_lshlrev_b32_e32 v10, 16, v6
	v_and_b32_e32 v11, 0xffff0000, v6
	v_alignbit_b32 v6, v7, v6, 16
	v_and_b32_e32 v7, 0xffff0000, v7
	v_subrev_f32_e32 v10, s26, v10
	v_subrev_f32_e32 v11, s26, v11
	v_and_b32_e32 v6, 0xffff0000, v6
	v_subrev_f32_e32 v7, s26, v7
	v_bfe_u32 v12, v10, 16, 1
	v_bfe_u32 v13, v11, 16, 1
	v_subrev_f32_e32 v6, s26, v6
	v_bfe_u32 v14, v7, 16, 1
	v_add3_u32 v12, v10, v12, s16
	v_add3_u32 v13, v11, v13, s16
	v_bfe_u32 v15, v6, 16, 1
	v_add3_u32 v14, v7, v14, s16
	v_lshrrev_b32_e32 v12, 16, v12
	v_and_b32_e32 v13, 0xffff0000, v13
	v_add3_u32 v15, v6, v15, s16
	v_and_b32_e32 v14, 0xffff0000, v14
	v_cmp_o_f32_e32 vcc, v7, v7
	v_cmp_o_f32_e64 s[0:1], v11, v11
	v_cmp_o_f32_e64 s[2:3], v10, v10
	v_lshrrev_b32_e32 v7, 16, v15
	v_cndmask_b32_e32 v10, v4, v14, vcc
	v_cndmask_b32_e64 v11, v4, v13, s[0:1]
	v_cndmask_b32_e64 v12, v5, v12, s[2:3]
	v_cmp_o_f32_e32 vcc, v6, v6
	v_or_b32_e32 v11, v12, v11
	s_nop 0
	v_cndmask_b32_e32 v6, v5, v7, vcc
	v_or3_b32 v7, 0, v6, v10
	v_or3_b32 v6, v11, 0, 0
	global_store_dwordx2 v[8:9], v[6:7], off
	s_andn2_b64 exec, exec, s[12:13]
	s_cbranch_execnz .LBB106_24
.LBB106_25:
	s_endpgm
	.section	.rodata,"a",@progbits
	.p2align	6, 0x0
	.amdhsa_kernel _ZN2at6native12_GLOBAL__N_125multi_tensor_apply_kernelINS1_18TensorListMetadataILi2EEENS1_21BinaryOpScalarFunctorIN3c108BFloat16ELi2ELi1ELi1EEEJSt5minusIfEfEEEvT_T0_DpT1_
		.amdhsa_group_segment_fixed_size 0
		.amdhsa_private_segment_fixed_size 0
		.amdhsa_kernarg_size 3408
		.amdhsa_user_sgpr_count 2
		.amdhsa_user_sgpr_dispatch_ptr 0
		.amdhsa_user_sgpr_queue_ptr 0
		.amdhsa_user_sgpr_kernarg_segment_ptr 1
		.amdhsa_user_sgpr_dispatch_id 0
		.amdhsa_user_sgpr_kernarg_preload_length 0
		.amdhsa_user_sgpr_kernarg_preload_offset 0
		.amdhsa_user_sgpr_private_segment_size 0
		.amdhsa_uses_dynamic_stack 0
		.amdhsa_enable_private_segment 0
		.amdhsa_system_sgpr_workgroup_id_x 1
		.amdhsa_system_sgpr_workgroup_id_y 0
		.amdhsa_system_sgpr_workgroup_id_z 0
		.amdhsa_system_sgpr_workgroup_info 0
		.amdhsa_system_vgpr_workitem_id 0
		.amdhsa_next_free_vgpr 34
		.amdhsa_next_free_sgpr 27
		.amdhsa_accum_offset 36
		.amdhsa_reserve_vcc 1
		.amdhsa_float_round_mode_32 0
		.amdhsa_float_round_mode_16_64 0
		.amdhsa_float_denorm_mode_32 3
		.amdhsa_float_denorm_mode_16_64 3
		.amdhsa_dx10_clamp 1
		.amdhsa_ieee_mode 1
		.amdhsa_fp16_overflow 0
		.amdhsa_tg_split 0
		.amdhsa_exception_fp_ieee_invalid_op 0
		.amdhsa_exception_fp_denorm_src 0
		.amdhsa_exception_fp_ieee_div_zero 0
		.amdhsa_exception_fp_ieee_overflow 0
		.amdhsa_exception_fp_ieee_underflow 0
		.amdhsa_exception_fp_ieee_inexact 0
		.amdhsa_exception_int_div_zero 0
	.end_amdhsa_kernel
	.section	.text._ZN2at6native12_GLOBAL__N_125multi_tensor_apply_kernelINS1_18TensorListMetadataILi2EEENS1_21BinaryOpScalarFunctorIN3c108BFloat16ELi2ELi1ELi1EEEJSt5minusIfEfEEEvT_T0_DpT1_,"axG",@progbits,_ZN2at6native12_GLOBAL__N_125multi_tensor_apply_kernelINS1_18TensorListMetadataILi2EEENS1_21BinaryOpScalarFunctorIN3c108BFloat16ELi2ELi1ELi1EEEJSt5minusIfEfEEEvT_T0_DpT1_,comdat
.Lfunc_end106:
	.size	_ZN2at6native12_GLOBAL__N_125multi_tensor_apply_kernelINS1_18TensorListMetadataILi2EEENS1_21BinaryOpScalarFunctorIN3c108BFloat16ELi2ELi1ELi1EEEJSt5minusIfEfEEEvT_T0_DpT1_, .Lfunc_end106-_ZN2at6native12_GLOBAL__N_125multi_tensor_apply_kernelINS1_18TensorListMetadataILi2EEENS1_21BinaryOpScalarFunctorIN3c108BFloat16ELi2ELi1ELi1EEEJSt5minusIfEfEEEvT_T0_DpT1_
                                        ; -- End function
	.set _ZN2at6native12_GLOBAL__N_125multi_tensor_apply_kernelINS1_18TensorListMetadataILi2EEENS1_21BinaryOpScalarFunctorIN3c108BFloat16ELi2ELi1ELi1EEEJSt5minusIfEfEEEvT_T0_DpT1_.num_vgpr, 34
	.set _ZN2at6native12_GLOBAL__N_125multi_tensor_apply_kernelINS1_18TensorListMetadataILi2EEENS1_21BinaryOpScalarFunctorIN3c108BFloat16ELi2ELi1ELi1EEEJSt5minusIfEfEEEvT_T0_DpT1_.num_agpr, 0
	.set _ZN2at6native12_GLOBAL__N_125multi_tensor_apply_kernelINS1_18TensorListMetadataILi2EEENS1_21BinaryOpScalarFunctorIN3c108BFloat16ELi2ELi1ELi1EEEJSt5minusIfEfEEEvT_T0_DpT1_.numbered_sgpr, 27
	.set _ZN2at6native12_GLOBAL__N_125multi_tensor_apply_kernelINS1_18TensorListMetadataILi2EEENS1_21BinaryOpScalarFunctorIN3c108BFloat16ELi2ELi1ELi1EEEJSt5minusIfEfEEEvT_T0_DpT1_.num_named_barrier, 0
	.set _ZN2at6native12_GLOBAL__N_125multi_tensor_apply_kernelINS1_18TensorListMetadataILi2EEENS1_21BinaryOpScalarFunctorIN3c108BFloat16ELi2ELi1ELi1EEEJSt5minusIfEfEEEvT_T0_DpT1_.private_seg_size, 0
	.set _ZN2at6native12_GLOBAL__N_125multi_tensor_apply_kernelINS1_18TensorListMetadataILi2EEENS1_21BinaryOpScalarFunctorIN3c108BFloat16ELi2ELi1ELi1EEEJSt5minusIfEfEEEvT_T0_DpT1_.uses_vcc, 1
	.set _ZN2at6native12_GLOBAL__N_125multi_tensor_apply_kernelINS1_18TensorListMetadataILi2EEENS1_21BinaryOpScalarFunctorIN3c108BFloat16ELi2ELi1ELi1EEEJSt5minusIfEfEEEvT_T0_DpT1_.uses_flat_scratch, 0
	.set _ZN2at6native12_GLOBAL__N_125multi_tensor_apply_kernelINS1_18TensorListMetadataILi2EEENS1_21BinaryOpScalarFunctorIN3c108BFloat16ELi2ELi1ELi1EEEJSt5minusIfEfEEEvT_T0_DpT1_.has_dyn_sized_stack, 0
	.set _ZN2at6native12_GLOBAL__N_125multi_tensor_apply_kernelINS1_18TensorListMetadataILi2EEENS1_21BinaryOpScalarFunctorIN3c108BFloat16ELi2ELi1ELi1EEEJSt5minusIfEfEEEvT_T0_DpT1_.has_recursion, 0
	.set _ZN2at6native12_GLOBAL__N_125multi_tensor_apply_kernelINS1_18TensorListMetadataILi2EEENS1_21BinaryOpScalarFunctorIN3c108BFloat16ELi2ELi1ELi1EEEJSt5minusIfEfEEEvT_T0_DpT1_.has_indirect_call, 0
	.section	.AMDGPU.csdata,"",@progbits
; Kernel info:
; codeLenInByte = 1468
; TotalNumSgprs: 33
; NumVgprs: 34
; NumAgprs: 0
; TotalNumVgprs: 34
; ScratchSize: 0
; MemoryBound: 0
; FloatMode: 240
; IeeeMode: 1
; LDSByteSize: 0 bytes/workgroup (compile time only)
; SGPRBlocks: 4
; VGPRBlocks: 4
; NumSGPRsForWavesPerEU: 33
; NumVGPRsForWavesPerEU: 34
; AccumOffset: 36
; Occupancy: 8
; WaveLimiterHint : 0
; COMPUTE_PGM_RSRC2:SCRATCH_EN: 0
; COMPUTE_PGM_RSRC2:USER_SGPR: 2
; COMPUTE_PGM_RSRC2:TRAP_HANDLER: 0
; COMPUTE_PGM_RSRC2:TGID_X_EN: 1
; COMPUTE_PGM_RSRC2:TGID_Y_EN: 0
; COMPUTE_PGM_RSRC2:TGID_Z_EN: 0
; COMPUTE_PGM_RSRC2:TIDIG_COMP_CNT: 0
; COMPUTE_PGM_RSRC3_GFX90A:ACCUM_OFFSET: 8
; COMPUTE_PGM_RSRC3_GFX90A:TG_SPLIT: 0
	.section	.text._ZN2at6native12_GLOBAL__N_125multi_tensor_apply_kernelINS1_18TensorListMetadataILi1EEENS1_21BinaryOpScalarFunctorIhLi1ELi1ELi0EEEJNS0_7minimumIhEEhEEEvT_T0_DpT1_,"axG",@progbits,_ZN2at6native12_GLOBAL__N_125multi_tensor_apply_kernelINS1_18TensorListMetadataILi1EEENS1_21BinaryOpScalarFunctorIhLi1ELi1ELi0EEEJNS0_7minimumIhEEhEEEvT_T0_DpT1_,comdat
	.globl	_ZN2at6native12_GLOBAL__N_125multi_tensor_apply_kernelINS1_18TensorListMetadataILi1EEENS1_21BinaryOpScalarFunctorIhLi1ELi1ELi0EEEJNS0_7minimumIhEEhEEEvT_T0_DpT1_ ; -- Begin function _ZN2at6native12_GLOBAL__N_125multi_tensor_apply_kernelINS1_18TensorListMetadataILi1EEENS1_21BinaryOpScalarFunctorIhLi1ELi1ELi0EEEJNS0_7minimumIhEEhEEEvT_T0_DpT1_
	.p2align	8
	.type	_ZN2at6native12_GLOBAL__N_125multi_tensor_apply_kernelINS1_18TensorListMetadataILi1EEENS1_21BinaryOpScalarFunctorIhLi1ELi1ELi0EEEJNS0_7minimumIhEEhEEEvT_T0_DpT1_,@function
_ZN2at6native12_GLOBAL__N_125multi_tensor_apply_kernelINS1_18TensorListMetadataILi1EEENS1_21BinaryOpScalarFunctorIhLi1ELi1ELi0EEEJNS0_7minimumIhEEhEEEvT_T0_DpT1_: ; @_ZN2at6native12_GLOBAL__N_125multi_tensor_apply_kernelINS1_18TensorListMetadataILi1EEENS1_21BinaryOpScalarFunctorIhLi1ELi1ELi0EEEJNS0_7minimumIhEEhEEEvT_T0_DpT1_
; %bb.0:
	v_mov_b32_e32 v1, s2
	global_load_ubyte v1, v1, s[0:1] offset:1760
	s_load_dword s3, s[0:1], 0xd28
	s_mul_hi_u32 s4, s2, 3
	s_mul_i32 s5, s2, 3
	s_waitcnt lgkmcnt(0)
	s_lshr_b32 s20, s3, 16
	s_add_u32 s2, s0, s2
	s_addc_u32 s3, s1, 0
	s_add_u32 s2, s2, s5
	s_addc_u32 s3, s3, s4
	s_load_dword s2, s[2:3], 0x820
	s_waitcnt vmcnt(0)
	v_readfirstlane_b32 s3, v1
	s_lshl_b32 s3, s3, 3
	s_load_dwordx2 s[4:5], s[0:1], s3 offset:0x370
	s_load_dwordx2 s[8:9], s[0:1], s3 offset:0x0
	s_waitcnt lgkmcnt(0)
	s_ashr_i32 s3, s2, 31
	s_lshl_b64 s[10:11], s[2:3], 16
	s_sub_u32 s12, s4, s10
	s_subb_u32 s13, s5, s11
	s_or_b32 s2, s4, s8
	s_and_b32 s2, s2, 3
	s_cmp_eq_u32 s2, 0
	s_cbranch_scc1 .LBB107_21
; %bb.1:
	v_cmp_lt_i64_e64 s[2:3], s[12:13], 1
	s_and_b64 vcc, exec, s[2:3]
	s_cbranch_vccnz .LBB107_20
; %bb.2:
	s_load_dword s2, s[0:1], 0xd3c
	v_mov_b64_e32 v[2:3], 0x10000
	v_cmp_lt_i64_e32 vcc, s[12:13], v[2:3]
	s_and_b64 s[4:5], vcc, exec
	s_cselect_b32 s5, s13, 0
	s_cselect_b32 s4, s12, 0x10000
	s_waitcnt lgkmcnt(0)
	s_and_b32 s2, s2, 0xffff
	v_cmp_lt_u64_e32 vcc, s[12:13], v[2:3]
	s_and_b64 s[6:7], vcc, exec
	s_cselect_b32 s15, s13, 0
	s_cselect_b32 s14, s12, 0x10000
	s_lshl_b32 s6, s2, 1
	s_mul_i32 s16, s2, 3
	s_lshl_b32 s21, s2, 2
	s_add_u32 s18, s10, s16
	s_addc_u32 s19, s11, 0
	s_mov_b32 s3, 0
	s_add_u32 s18, s8, s18
	v_mov_b32_e32 v1, 0
	s_mov_b32 s17, s3
	s_addc_u32 s19, s9, s19
	v_lshl_add_u64 v[6:7], s[16:17], 0, v[0:1]
	s_add_u32 s16, s10, s6
	s_addc_u32 s17, s11, 0
	s_add_u32 s16, s8, s16
	s_mov_b32 s7, s3
	s_addc_u32 s17, s9, s17
	v_lshl_add_u64 v[10:11], s[6:7], 0, v[0:1]
	s_add_u32 s6, s8, s2
	v_lshl_add_u64 v[12:13], s[10:11], 0, v[0:1]
	s_addc_u32 s7, s9, 0
	v_lshl_add_u64 v[2:3], s[8:9], 0, v[12:13]
	v_lshl_add_u64 v[4:5], s[18:19], 0, v[0:1]
	;; [unrolled: 1-line block ×5, first 2 shown]
	s_mov_b64 s[16:17], 0
	v_mov_b64_e32 v[16:17], s[4:5]
	s_and_b32 s22, s20, 0xff
	s_branch .LBB107_4
.LBB107_3:                              ;   in Loop: Header=BB107_4 Depth=1
	s_or_b64 exec, exec, s[2:3]
	s_add_u32 s16, s16, s21
	s_addc_u32 s17, s17, 0
	v_cmp_lt_i64_e32 vcc, s[16:17], v[16:17]
	s_cbranch_vccz .LBB107_20
.LBB107_4:                              ; =>This Inner Loop Header: Depth=1
	v_lshl_add_u64 v[18:19], v[0:1], 0, s[16:17]
	v_cmp_gt_u64_e32 vcc, s[14:15], v[18:19]
	v_lshl_add_u64 v[18:19], v[2:3], 0, s[16:17]
	v_mov_b32_e32 v27, 0
	s_and_saveexec_b64 s[2:3], vcc
	s_cbranch_execz .LBB107_6
; %bb.5:                                ;   in Loop: Header=BB107_4 Depth=1
	global_load_ubyte v20, v[18:19], off
	s_waitcnt vmcnt(0)
	v_min_u16_e32 v27, s22, v20
.LBB107_6:                              ;   in Loop: Header=BB107_4 Depth=1
	s_or_b64 exec, exec, s[2:3]
	v_lshl_add_u64 v[20:21], v[14:15], 0, s[16:17]
	v_cmp_gt_u64_e64 s[2:3], s[14:15], v[20:21]
	v_mov_b32_e32 v26, 0
	v_lshl_add_u64 v[20:21], v[12:13], 0, s[16:17]
	v_mov_b32_e32 v28, 0
	s_and_saveexec_b64 s[4:5], s[2:3]
	s_cbranch_execz .LBB107_8
; %bb.7:                                ;   in Loop: Header=BB107_4 Depth=1
	global_load_ubyte v22, v[20:21], off
	s_waitcnt vmcnt(0)
	v_min_u16_e32 v28, s22, v22
.LBB107_8:                              ;   in Loop: Header=BB107_4 Depth=1
	s_or_b64 exec, exec, s[4:5]
	v_lshl_add_u64 v[22:23], v[10:11], 0, s[16:17]
	v_cmp_gt_u64_e64 s[4:5], s[14:15], v[22:23]
	v_lshl_add_u64 v[22:23], v[8:9], 0, s[16:17]
	s_and_saveexec_b64 s[6:7], s[4:5]
	s_cbranch_execz .LBB107_10
; %bb.9:                                ;   in Loop: Header=BB107_4 Depth=1
	global_load_ubyte v24, v[22:23], off
	s_waitcnt vmcnt(0)
	v_min_u16_e32 v26, s22, v24
.LBB107_10:                             ;   in Loop: Header=BB107_4 Depth=1
	s_or_b64 exec, exec, s[6:7]
	v_lshl_add_u64 v[24:25], v[6:7], 0, s[16:17]
	v_cmp_gt_u64_e64 s[6:7], s[14:15], v[24:25]
	v_mov_b32_e32 v29, 0
	v_lshl_add_u64 v[24:25], v[4:5], 0, s[16:17]
	s_and_saveexec_b64 s[18:19], s[6:7]
	s_cbranch_execnz .LBB107_15
; %bb.11:                               ;   in Loop: Header=BB107_4 Depth=1
	s_or_b64 exec, exec, s[18:19]
	s_and_saveexec_b64 s[18:19], vcc
	s_cbranch_execnz .LBB107_16
.LBB107_12:                             ;   in Loop: Header=BB107_4 Depth=1
	s_or_b64 exec, exec, s[18:19]
	s_and_saveexec_b64 s[18:19], s[2:3]
	s_cbranch_execnz .LBB107_17
.LBB107_13:                             ;   in Loop: Header=BB107_4 Depth=1
	s_or_b64 exec, exec, s[18:19]
	s_and_saveexec_b64 s[2:3], s[4:5]
	s_cbranch_execnz .LBB107_18
.LBB107_14:                             ;   in Loop: Header=BB107_4 Depth=1
	s_or_b64 exec, exec, s[2:3]
	s_and_saveexec_b64 s[2:3], s[6:7]
	s_cbranch_execz .LBB107_3
	s_branch .LBB107_19
.LBB107_15:                             ;   in Loop: Header=BB107_4 Depth=1
	global_load_ubyte v29, v[24:25], off
	s_waitcnt vmcnt(0)
	v_min_u16_e32 v29, s22, v29
	s_or_b64 exec, exec, s[18:19]
	s_and_saveexec_b64 s[18:19], vcc
	s_cbranch_execz .LBB107_12
.LBB107_16:                             ;   in Loop: Header=BB107_4 Depth=1
	global_store_byte v[18:19], v27, off
	s_or_b64 exec, exec, s[18:19]
	s_and_saveexec_b64 s[18:19], s[2:3]
	s_cbranch_execz .LBB107_13
.LBB107_17:                             ;   in Loop: Header=BB107_4 Depth=1
	global_store_byte v[20:21], v28, off
	s_or_b64 exec, exec, s[18:19]
	s_and_saveexec_b64 s[2:3], s[4:5]
	s_cbranch_execz .LBB107_14
.LBB107_18:                             ;   in Loop: Header=BB107_4 Depth=1
	global_store_byte v[22:23], v26, off
	s_or_b64 exec, exec, s[2:3]
	s_and_saveexec_b64 s[2:3], s[6:7]
	s_cbranch_execz .LBB107_3
.LBB107_19:                             ;   in Loop: Header=BB107_4 Depth=1
	global_store_byte v[24:25], v29, off
	s_branch .LBB107_3
.LBB107_20:
	s_cbranch_execz .LBB107_22
	s_branch .LBB107_25
.LBB107_21:
.LBB107_22:
	v_mov_b64_e32 v[4:5], 0x10000
	v_cmp_lt_i64_e32 vcc, s[12:13], v[4:5]
	s_and_b64 s[4:5], vcc, exec
	v_mov_b32_e32 v3, 0
	s_cselect_b32 s5, s13, 0
	s_cselect_b32 s4, s12, 0x10000
	v_lshlrev_b32_e32 v2, 2, v0
	s_mov_b32 s3, 0
	v_cmp_gt_i64_e32 vcc, s[4:5], v[2:3]
	s_and_saveexec_b64 s[6:7], vcc
	s_cbranch_execz .LBB107_25
; %bb.23:
	s_load_dword s0, s[0:1], 0xd3c
	v_mov_b32_e32 v1, v3
	s_mov_b32 s1, s3
	s_mov_b64 s[6:7], 0
	s_waitcnt lgkmcnt(0)
	s_and_b32 s2, s0, 0xffff
	s_add_u32 s8, s8, s10
	s_addc_u32 s9, s9, s11
	s_lshl_b32 s0, s2, 2
	v_lshl_add_u64 v[2:3], s[8:9], 0, v[2:3]
	s_movk_i32 s8, 0xff
	s_and_b32 s9, s20, 0xff
.LBB107_24:                             ; =>This Inner Loop Header: Depth=1
	global_load_dword v6, v[2:3], off
	v_lshl_add_u64 v[0:1], v[0:1], 0, s[2:3]
	v_lshlrev_b64 v[4:5], 2, v[0:1]
	v_cmp_le_i64_e32 vcc, s[4:5], v[4:5]
	s_or_b64 s[6:7], vcc, s[6:7]
	s_waitcnt vmcnt(0)
	v_lshrrev_b32_e32 v5, 8, v6
	v_and_b32_sdwa v7, v6, s8 dst_sel:DWORD dst_unused:UNUSED_PAD src0_sel:WORD_1 src1_sel:DWORD
	v_min_u16_sdwa v4, v6, s9 dst_sel:DWORD dst_unused:UNUSED_PAD src0_sel:BYTE_0 src1_sel:DWORD
	v_min_u16_sdwa v6, v6, s9 dst_sel:BYTE_1 dst_unused:UNUSED_PAD src0_sel:BYTE_3 src1_sel:DWORD
	v_min_u16_sdwa v5, v5, s9 dst_sel:BYTE_1 dst_unused:UNUSED_PAD src0_sel:BYTE_0 src1_sel:DWORD
	v_min_u16_e32 v7, s9, v7
	v_or_b32_e32 v4, v4, v5
	v_or_b32_sdwa v5, v7, v6 dst_sel:WORD_1 dst_unused:UNUSED_PAD src0_sel:DWORD src1_sel:DWORD
	s_nop 0
	v_or_b32_sdwa v4, v4, v5 dst_sel:DWORD dst_unused:UNUSED_PAD src0_sel:WORD_0 src1_sel:DWORD
	global_store_dword v[2:3], v4, off
	v_lshl_add_u64 v[2:3], v[2:3], 0, s[0:1]
	s_andn2_b64 exec, exec, s[6:7]
	s_cbranch_execnz .LBB107_24
.LBB107_25:
	s_endpgm
	.section	.rodata,"a",@progbits
	.p2align	6, 0x0
	.amdhsa_kernel _ZN2at6native12_GLOBAL__N_125multi_tensor_apply_kernelINS1_18TensorListMetadataILi1EEENS1_21BinaryOpScalarFunctorIhLi1ELi1ELi0EEEJNS0_7minimumIhEEhEEEvT_T0_DpT1_
		.amdhsa_group_segment_fixed_size 0
		.amdhsa_private_segment_fixed_size 0
		.amdhsa_kernarg_size 3632
		.amdhsa_user_sgpr_count 2
		.amdhsa_user_sgpr_dispatch_ptr 0
		.amdhsa_user_sgpr_queue_ptr 0
		.amdhsa_user_sgpr_kernarg_segment_ptr 1
		.amdhsa_user_sgpr_dispatch_id 0
		.amdhsa_user_sgpr_kernarg_preload_length 0
		.amdhsa_user_sgpr_kernarg_preload_offset 0
		.amdhsa_user_sgpr_private_segment_size 0
		.amdhsa_uses_dynamic_stack 0
		.amdhsa_enable_private_segment 0
		.amdhsa_system_sgpr_workgroup_id_x 1
		.amdhsa_system_sgpr_workgroup_id_y 0
		.amdhsa_system_sgpr_workgroup_id_z 0
		.amdhsa_system_sgpr_workgroup_info 0
		.amdhsa_system_vgpr_workitem_id 0
		.amdhsa_next_free_vgpr 30
		.amdhsa_next_free_sgpr 23
		.amdhsa_accum_offset 32
		.amdhsa_reserve_vcc 1
		.amdhsa_float_round_mode_32 0
		.amdhsa_float_round_mode_16_64 0
		.amdhsa_float_denorm_mode_32 3
		.amdhsa_float_denorm_mode_16_64 3
		.amdhsa_dx10_clamp 1
		.amdhsa_ieee_mode 1
		.amdhsa_fp16_overflow 0
		.amdhsa_tg_split 0
		.amdhsa_exception_fp_ieee_invalid_op 0
		.amdhsa_exception_fp_denorm_src 0
		.amdhsa_exception_fp_ieee_div_zero 0
		.amdhsa_exception_fp_ieee_overflow 0
		.amdhsa_exception_fp_ieee_underflow 0
		.amdhsa_exception_fp_ieee_inexact 0
		.amdhsa_exception_int_div_zero 0
	.end_amdhsa_kernel
	.section	.text._ZN2at6native12_GLOBAL__N_125multi_tensor_apply_kernelINS1_18TensorListMetadataILi1EEENS1_21BinaryOpScalarFunctorIhLi1ELi1ELi0EEEJNS0_7minimumIhEEhEEEvT_T0_DpT1_,"axG",@progbits,_ZN2at6native12_GLOBAL__N_125multi_tensor_apply_kernelINS1_18TensorListMetadataILi1EEENS1_21BinaryOpScalarFunctorIhLi1ELi1ELi0EEEJNS0_7minimumIhEEhEEEvT_T0_DpT1_,comdat
.Lfunc_end107:
	.size	_ZN2at6native12_GLOBAL__N_125multi_tensor_apply_kernelINS1_18TensorListMetadataILi1EEENS1_21BinaryOpScalarFunctorIhLi1ELi1ELi0EEEJNS0_7minimumIhEEhEEEvT_T0_DpT1_, .Lfunc_end107-_ZN2at6native12_GLOBAL__N_125multi_tensor_apply_kernelINS1_18TensorListMetadataILi1EEENS1_21BinaryOpScalarFunctorIhLi1ELi1ELi0EEEJNS0_7minimumIhEEhEEEvT_T0_DpT1_
                                        ; -- End function
	.set _ZN2at6native12_GLOBAL__N_125multi_tensor_apply_kernelINS1_18TensorListMetadataILi1EEENS1_21BinaryOpScalarFunctorIhLi1ELi1ELi0EEEJNS0_7minimumIhEEhEEEvT_T0_DpT1_.num_vgpr, 30
	.set _ZN2at6native12_GLOBAL__N_125multi_tensor_apply_kernelINS1_18TensorListMetadataILi1EEENS1_21BinaryOpScalarFunctorIhLi1ELi1ELi0EEEJNS0_7minimumIhEEhEEEvT_T0_DpT1_.num_agpr, 0
	.set _ZN2at6native12_GLOBAL__N_125multi_tensor_apply_kernelINS1_18TensorListMetadataILi1EEENS1_21BinaryOpScalarFunctorIhLi1ELi1ELi0EEEJNS0_7minimumIhEEhEEEvT_T0_DpT1_.numbered_sgpr, 23
	.set _ZN2at6native12_GLOBAL__N_125multi_tensor_apply_kernelINS1_18TensorListMetadataILi1EEENS1_21BinaryOpScalarFunctorIhLi1ELi1ELi0EEEJNS0_7minimumIhEEhEEEvT_T0_DpT1_.num_named_barrier, 0
	.set _ZN2at6native12_GLOBAL__N_125multi_tensor_apply_kernelINS1_18TensorListMetadataILi1EEENS1_21BinaryOpScalarFunctorIhLi1ELi1ELi0EEEJNS0_7minimumIhEEhEEEvT_T0_DpT1_.private_seg_size, 0
	.set _ZN2at6native12_GLOBAL__N_125multi_tensor_apply_kernelINS1_18TensorListMetadataILi1EEENS1_21BinaryOpScalarFunctorIhLi1ELi1ELi0EEEJNS0_7minimumIhEEhEEEvT_T0_DpT1_.uses_vcc, 1
	.set _ZN2at6native12_GLOBAL__N_125multi_tensor_apply_kernelINS1_18TensorListMetadataILi1EEENS1_21BinaryOpScalarFunctorIhLi1ELi1ELi0EEEJNS0_7minimumIhEEhEEEvT_T0_DpT1_.uses_flat_scratch, 0
	.set _ZN2at6native12_GLOBAL__N_125multi_tensor_apply_kernelINS1_18TensorListMetadataILi1EEENS1_21BinaryOpScalarFunctorIhLi1ELi1ELi0EEEJNS0_7minimumIhEEhEEEvT_T0_DpT1_.has_dyn_sized_stack, 0
	.set _ZN2at6native12_GLOBAL__N_125multi_tensor_apply_kernelINS1_18TensorListMetadataILi1EEENS1_21BinaryOpScalarFunctorIhLi1ELi1ELi0EEEJNS0_7minimumIhEEhEEEvT_T0_DpT1_.has_recursion, 0
	.set _ZN2at6native12_GLOBAL__N_125multi_tensor_apply_kernelINS1_18TensorListMetadataILi1EEENS1_21BinaryOpScalarFunctorIhLi1ELi1ELi0EEEJNS0_7minimumIhEEhEEEvT_T0_DpT1_.has_indirect_call, 0
	.section	.AMDGPU.csdata,"",@progbits
; Kernel info:
; codeLenInByte = 984
; TotalNumSgprs: 29
; NumVgprs: 30
; NumAgprs: 0
; TotalNumVgprs: 30
; ScratchSize: 0
; MemoryBound: 0
; FloatMode: 240
; IeeeMode: 1
; LDSByteSize: 0 bytes/workgroup (compile time only)
; SGPRBlocks: 3
; VGPRBlocks: 3
; NumSGPRsForWavesPerEU: 29
; NumVGPRsForWavesPerEU: 30
; AccumOffset: 32
; Occupancy: 8
; WaveLimiterHint : 0
; COMPUTE_PGM_RSRC2:SCRATCH_EN: 0
; COMPUTE_PGM_RSRC2:USER_SGPR: 2
; COMPUTE_PGM_RSRC2:TRAP_HANDLER: 0
; COMPUTE_PGM_RSRC2:TGID_X_EN: 1
; COMPUTE_PGM_RSRC2:TGID_Y_EN: 0
; COMPUTE_PGM_RSRC2:TGID_Z_EN: 0
; COMPUTE_PGM_RSRC2:TIDIG_COMP_CNT: 0
; COMPUTE_PGM_RSRC3_GFX90A:ACCUM_OFFSET: 7
; COMPUTE_PGM_RSRC3_GFX90A:TG_SPLIT: 0
	.section	.text._ZN2at6native12_GLOBAL__N_125multi_tensor_apply_kernelINS1_18TensorListMetadataILi1EEENS1_21BinaryOpScalarFunctorIaLi1ELi1ELi0EEEJNS0_7minimumIaEEaEEEvT_T0_DpT1_,"axG",@progbits,_ZN2at6native12_GLOBAL__N_125multi_tensor_apply_kernelINS1_18TensorListMetadataILi1EEENS1_21BinaryOpScalarFunctorIaLi1ELi1ELi0EEEJNS0_7minimumIaEEaEEEvT_T0_DpT1_,comdat
	.globl	_ZN2at6native12_GLOBAL__N_125multi_tensor_apply_kernelINS1_18TensorListMetadataILi1EEENS1_21BinaryOpScalarFunctorIaLi1ELi1ELi0EEEJNS0_7minimumIaEEaEEEvT_T0_DpT1_ ; -- Begin function _ZN2at6native12_GLOBAL__N_125multi_tensor_apply_kernelINS1_18TensorListMetadataILi1EEENS1_21BinaryOpScalarFunctorIaLi1ELi1ELi0EEEJNS0_7minimumIaEEaEEEvT_T0_DpT1_
	.p2align	8
	.type	_ZN2at6native12_GLOBAL__N_125multi_tensor_apply_kernelINS1_18TensorListMetadataILi1EEENS1_21BinaryOpScalarFunctorIaLi1ELi1ELi0EEEJNS0_7minimumIaEEaEEEvT_T0_DpT1_,@function
_ZN2at6native12_GLOBAL__N_125multi_tensor_apply_kernelINS1_18TensorListMetadataILi1EEENS1_21BinaryOpScalarFunctorIaLi1ELi1ELi0EEEJNS0_7minimumIaEEaEEEvT_T0_DpT1_: ; @_ZN2at6native12_GLOBAL__N_125multi_tensor_apply_kernelINS1_18TensorListMetadataILi1EEENS1_21BinaryOpScalarFunctorIaLi1ELi1ELi0EEEJNS0_7minimumIaEEaEEEvT_T0_DpT1_
; %bb.0:
	v_mov_b32_e32 v1, s2
	global_load_ubyte v1, v1, s[0:1] offset:1760
	s_load_dword s3, s[0:1], 0xd28
	s_mul_hi_u32 s4, s2, 3
	s_mul_i32 s5, s2, 3
	s_waitcnt lgkmcnt(0)
	s_lshr_b32 s20, s3, 16
	s_add_u32 s2, s0, s2
	s_addc_u32 s3, s1, 0
	s_add_u32 s2, s2, s5
	s_addc_u32 s3, s3, s4
	s_load_dword s2, s[2:3], 0x820
	s_waitcnt vmcnt(0)
	v_readfirstlane_b32 s3, v1
	s_lshl_b32 s3, s3, 3
	s_load_dwordx2 s[4:5], s[0:1], s3 offset:0x370
	s_load_dwordx2 s[8:9], s[0:1], s3 offset:0x0
	s_waitcnt lgkmcnt(0)
	s_ashr_i32 s3, s2, 31
	s_lshl_b64 s[10:11], s[2:3], 16
	s_sub_u32 s12, s4, s10
	s_subb_u32 s13, s5, s11
	s_or_b32 s2, s4, s8
	s_and_b32 s2, s2, 3
	s_cmp_eq_u32 s2, 0
	s_cbranch_scc1 .LBB108_21
; %bb.1:
	v_cmp_lt_i64_e64 s[2:3], s[12:13], 1
	s_and_b64 vcc, exec, s[2:3]
	s_cbranch_vccnz .LBB108_20
; %bb.2:
	s_load_dword s2, s[0:1], 0xd3c
	v_mov_b64_e32 v[2:3], 0x10000
	v_cmp_lt_i64_e32 vcc, s[12:13], v[2:3]
	s_and_b64 s[4:5], vcc, exec
	s_cselect_b32 s5, s13, 0
	s_cselect_b32 s4, s12, 0x10000
	s_waitcnt lgkmcnt(0)
	s_and_b32 s2, s2, 0xffff
	v_cmp_lt_u64_e32 vcc, s[12:13], v[2:3]
	s_and_b64 s[6:7], vcc, exec
	s_cselect_b32 s15, s13, 0
	s_cselect_b32 s14, s12, 0x10000
	s_lshl_b32 s6, s2, 1
	s_mul_i32 s16, s2, 3
	s_lshl_b32 s21, s2, 2
	s_add_u32 s18, s10, s16
	s_addc_u32 s19, s11, 0
	s_mov_b32 s3, 0
	s_add_u32 s18, s8, s18
	v_mov_b32_e32 v1, 0
	s_mov_b32 s17, s3
	s_addc_u32 s19, s9, s19
	v_lshl_add_u64 v[6:7], s[16:17], 0, v[0:1]
	s_add_u32 s16, s10, s6
	s_addc_u32 s17, s11, 0
	s_add_u32 s16, s8, s16
	s_mov_b32 s7, s3
	s_addc_u32 s17, s9, s17
	v_lshl_add_u64 v[10:11], s[6:7], 0, v[0:1]
	s_add_u32 s6, s8, s2
	v_lshl_add_u64 v[12:13], s[10:11], 0, v[0:1]
	s_addc_u32 s7, s9, 0
	v_lshl_add_u64 v[2:3], s[8:9], 0, v[12:13]
	v_lshl_add_u64 v[4:5], s[18:19], 0, v[0:1]
	;; [unrolled: 1-line block ×5, first 2 shown]
	s_mov_b64 s[16:17], 0
	s_bfe_i32 s22, s20, 0x80000
	v_mov_b64_e32 v[16:17], s[4:5]
	s_branch .LBB108_4
.LBB108_3:                              ;   in Loop: Header=BB108_4 Depth=1
	s_or_b64 exec, exec, s[2:3]
	s_add_u32 s16, s16, s21
	s_addc_u32 s17, s17, 0
	v_cmp_lt_i64_e32 vcc, s[16:17], v[16:17]
	s_cbranch_vccz .LBB108_20
.LBB108_4:                              ; =>This Inner Loop Header: Depth=1
	v_lshl_add_u64 v[18:19], v[0:1], 0, s[16:17]
	v_cmp_gt_u64_e32 vcc, s[14:15], v[18:19]
	v_lshl_add_u64 v[18:19], v[2:3], 0, s[16:17]
	s_waitcnt vmcnt(0)
	v_mov_b32_e32 v27, 0
	s_and_saveexec_b64 s[2:3], vcc
	s_cbranch_execz .LBB108_6
; %bb.5:                                ;   in Loop: Header=BB108_4 Depth=1
	global_load_ubyte v27, v[18:19], off
.LBB108_6:                              ;   in Loop: Header=BB108_4 Depth=1
	s_or_b64 exec, exec, s[2:3]
	v_lshl_add_u64 v[20:21], v[14:15], 0, s[16:17]
	v_cmp_gt_u64_e64 s[2:3], s[14:15], v[20:21]
	v_mov_b32_e32 v26, 0
	v_lshl_add_u64 v[20:21], v[12:13], 0, s[16:17]
	v_mov_b32_e32 v28, 0
	s_and_saveexec_b64 s[4:5], s[2:3]
	s_cbranch_execz .LBB108_8
; %bb.7:                                ;   in Loop: Header=BB108_4 Depth=1
	global_load_ubyte v28, v[20:21], off
.LBB108_8:                              ;   in Loop: Header=BB108_4 Depth=1
	s_or_b64 exec, exec, s[4:5]
	v_lshl_add_u64 v[22:23], v[10:11], 0, s[16:17]
	v_cmp_gt_u64_e64 s[4:5], s[14:15], v[22:23]
	v_lshl_add_u64 v[22:23], v[8:9], 0, s[16:17]
	s_and_saveexec_b64 s[6:7], s[4:5]
	s_cbranch_execz .LBB108_10
; %bb.9:                                ;   in Loop: Header=BB108_4 Depth=1
	global_load_ubyte v26, v[22:23], off
.LBB108_10:                             ;   in Loop: Header=BB108_4 Depth=1
	s_or_b64 exec, exec, s[6:7]
	v_lshl_add_u64 v[24:25], v[6:7], 0, s[16:17]
	v_cmp_gt_u64_e64 s[6:7], s[14:15], v[24:25]
	v_mov_b32_e32 v29, 0
	v_lshl_add_u64 v[24:25], v[4:5], 0, s[16:17]
	s_and_saveexec_b64 s[18:19], s[6:7]
	s_cbranch_execnz .LBB108_15
; %bb.11:                               ;   in Loop: Header=BB108_4 Depth=1
	s_or_b64 exec, exec, s[18:19]
	s_and_saveexec_b64 s[18:19], vcc
	s_cbranch_execnz .LBB108_16
.LBB108_12:                             ;   in Loop: Header=BB108_4 Depth=1
	s_or_b64 exec, exec, s[18:19]
	s_and_saveexec_b64 s[18:19], s[2:3]
	s_cbranch_execnz .LBB108_17
.LBB108_13:                             ;   in Loop: Header=BB108_4 Depth=1
	s_or_b64 exec, exec, s[18:19]
	s_and_saveexec_b64 s[2:3], s[4:5]
	s_cbranch_execnz .LBB108_18
.LBB108_14:                             ;   in Loop: Header=BB108_4 Depth=1
	s_or_b64 exec, exec, s[2:3]
	s_and_saveexec_b64 s[2:3], s[6:7]
	s_cbranch_execz .LBB108_3
	s_branch .LBB108_19
.LBB108_15:                             ;   in Loop: Header=BB108_4 Depth=1
	global_load_ubyte v29, v[24:25], off
	s_or_b64 exec, exec, s[18:19]
	s_and_saveexec_b64 s[18:19], vcc
	s_cbranch_execz .LBB108_12
.LBB108_16:                             ;   in Loop: Header=BB108_4 Depth=1
	s_waitcnt vmcnt(0)
	v_min_i16_sdwa v27, sext(v27), s22 dst_sel:DWORD dst_unused:UNUSED_PAD src0_sel:BYTE_0 src1_sel:DWORD
	global_store_byte v[18:19], v27, off
	s_or_b64 exec, exec, s[18:19]
	s_and_saveexec_b64 s[18:19], s[2:3]
	s_cbranch_execz .LBB108_13
.LBB108_17:                             ;   in Loop: Header=BB108_4 Depth=1
	s_waitcnt vmcnt(0)
	v_min_i16_sdwa v18, sext(v28), s22 dst_sel:DWORD dst_unused:UNUSED_PAD src0_sel:BYTE_0 src1_sel:DWORD
	global_store_byte v[20:21], v18, off
	s_or_b64 exec, exec, s[18:19]
	s_and_saveexec_b64 s[2:3], s[4:5]
	s_cbranch_execz .LBB108_14
.LBB108_18:                             ;   in Loop: Header=BB108_4 Depth=1
	s_waitcnt vmcnt(0)
	v_min_i16_sdwa v18, sext(v26), s22 dst_sel:DWORD dst_unused:UNUSED_PAD src0_sel:BYTE_0 src1_sel:DWORD
	global_store_byte v[22:23], v18, off
	s_or_b64 exec, exec, s[2:3]
	s_and_saveexec_b64 s[2:3], s[6:7]
	s_cbranch_execz .LBB108_3
.LBB108_19:                             ;   in Loop: Header=BB108_4 Depth=1
	s_waitcnt vmcnt(0)
	v_min_i16_sdwa v18, sext(v29), s22 dst_sel:DWORD dst_unused:UNUSED_PAD src0_sel:BYTE_0 src1_sel:DWORD
	global_store_byte v[24:25], v18, off
	s_branch .LBB108_3
.LBB108_20:
	s_cbranch_execz .LBB108_22
	s_branch .LBB108_25
.LBB108_21:
.LBB108_22:
	v_mov_b64_e32 v[4:5], 0x10000
	v_cmp_lt_i64_e32 vcc, s[12:13], v[4:5]
	s_and_b64 s[4:5], vcc, exec
	v_mov_b32_e32 v3, 0
	s_cselect_b32 s5, s13, 0
	s_cselect_b32 s4, s12, 0x10000
	v_lshlrev_b32_e32 v2, 2, v0
	s_mov_b32 s3, 0
	v_cmp_gt_i64_e32 vcc, s[4:5], v[2:3]
	s_and_saveexec_b64 s[6:7], vcc
	s_cbranch_execz .LBB108_25
; %bb.23:
	s_load_dword s0, s[0:1], 0xd3c
	v_mov_b32_e32 v1, v3
	s_mov_b32 s1, s3
	s_mov_b64 s[6:7], 0
	s_waitcnt lgkmcnt(0)
	s_and_b32 s2, s0, 0xffff
	s_add_u32 s8, s8, s10
	s_addc_u32 s9, s9, s11
	s_lshl_b32 s0, s2, 2
	v_lshl_add_u64 v[2:3], s[8:9], 0, v[2:3]
	s_bfe_i32 s8, s20, 0x80000
	s_movk_i32 s9, 0xff
.LBB108_24:                             ; =>This Inner Loop Header: Depth=1
	global_load_dword v6, v[2:3], off
	v_lshl_add_u64 v[0:1], v[0:1], 0, s[2:3]
	v_lshlrev_b64 v[4:5], 2, v[0:1]
	v_cmp_le_i64_e32 vcc, s[4:5], v[4:5]
	s_or_b64 s[6:7], vcc, s[6:7]
	s_waitcnt vmcnt(0)
	v_min_i16_sdwa v4, sext(v6), s8 dst_sel:DWORD dst_unused:UNUSED_PAD src0_sel:BYTE_0 src1_sel:DWORD
	v_lshrrev_b32_e32 v5, 8, v6
	v_lshrrev_b32_e32 v7, 16, v6
	;; [unrolled: 1-line block ×3, first 2 shown]
	v_min_i16_sdwa v5, sext(v5), s8 dst_sel:BYTE_1 dst_unused:UNUSED_PAD src0_sel:BYTE_0 src1_sel:DWORD
	v_min_i16_sdwa v7, sext(v7), s8 dst_sel:DWORD dst_unused:UNUSED_PAD src0_sel:BYTE_0 src1_sel:DWORD
	v_min_i16_sdwa v6, sext(v6), s8 dst_sel:BYTE_1 dst_unused:UNUSED_PAD src0_sel:BYTE_0 src1_sel:DWORD
	v_bitop3_b16 v4, v4, v5, s9 bitop3:0xec
	v_bitop3_b16 v5, v7, v6, s9 bitop3:0xec
	v_lshlrev_b32_e32 v5, 16, v5
	v_or_b32_sdwa v4, v4, v5 dst_sel:DWORD dst_unused:UNUSED_PAD src0_sel:WORD_0 src1_sel:DWORD
	global_store_dword v[2:3], v4, off
	v_lshl_add_u64 v[2:3], v[2:3], 0, s[0:1]
	s_andn2_b64 exec, exec, s[6:7]
	s_cbranch_execnz .LBB108_24
.LBB108_25:
	s_endpgm
	.section	.rodata,"a",@progbits
	.p2align	6, 0x0
	.amdhsa_kernel _ZN2at6native12_GLOBAL__N_125multi_tensor_apply_kernelINS1_18TensorListMetadataILi1EEENS1_21BinaryOpScalarFunctorIaLi1ELi1ELi0EEEJNS0_7minimumIaEEaEEEvT_T0_DpT1_
		.amdhsa_group_segment_fixed_size 0
		.amdhsa_private_segment_fixed_size 0
		.amdhsa_kernarg_size 3632
		.amdhsa_user_sgpr_count 2
		.amdhsa_user_sgpr_dispatch_ptr 0
		.amdhsa_user_sgpr_queue_ptr 0
		.amdhsa_user_sgpr_kernarg_segment_ptr 1
		.amdhsa_user_sgpr_dispatch_id 0
		.amdhsa_user_sgpr_kernarg_preload_length 0
		.amdhsa_user_sgpr_kernarg_preload_offset 0
		.amdhsa_user_sgpr_private_segment_size 0
		.amdhsa_uses_dynamic_stack 0
		.amdhsa_enable_private_segment 0
		.amdhsa_system_sgpr_workgroup_id_x 1
		.amdhsa_system_sgpr_workgroup_id_y 0
		.amdhsa_system_sgpr_workgroup_id_z 0
		.amdhsa_system_sgpr_workgroup_info 0
		.amdhsa_system_vgpr_workitem_id 0
		.amdhsa_next_free_vgpr 30
		.amdhsa_next_free_sgpr 23
		.amdhsa_accum_offset 32
		.amdhsa_reserve_vcc 1
		.amdhsa_float_round_mode_32 0
		.amdhsa_float_round_mode_16_64 0
		.amdhsa_float_denorm_mode_32 3
		.amdhsa_float_denorm_mode_16_64 3
		.amdhsa_dx10_clamp 1
		.amdhsa_ieee_mode 1
		.amdhsa_fp16_overflow 0
		.amdhsa_tg_split 0
		.amdhsa_exception_fp_ieee_invalid_op 0
		.amdhsa_exception_fp_denorm_src 0
		.amdhsa_exception_fp_ieee_div_zero 0
		.amdhsa_exception_fp_ieee_overflow 0
		.amdhsa_exception_fp_ieee_underflow 0
		.amdhsa_exception_fp_ieee_inexact 0
		.amdhsa_exception_int_div_zero 0
	.end_amdhsa_kernel
	.section	.text._ZN2at6native12_GLOBAL__N_125multi_tensor_apply_kernelINS1_18TensorListMetadataILi1EEENS1_21BinaryOpScalarFunctorIaLi1ELi1ELi0EEEJNS0_7minimumIaEEaEEEvT_T0_DpT1_,"axG",@progbits,_ZN2at6native12_GLOBAL__N_125multi_tensor_apply_kernelINS1_18TensorListMetadataILi1EEENS1_21BinaryOpScalarFunctorIaLi1ELi1ELi0EEEJNS0_7minimumIaEEaEEEvT_T0_DpT1_,comdat
.Lfunc_end108:
	.size	_ZN2at6native12_GLOBAL__N_125multi_tensor_apply_kernelINS1_18TensorListMetadataILi1EEENS1_21BinaryOpScalarFunctorIaLi1ELi1ELi0EEEJNS0_7minimumIaEEaEEEvT_T0_DpT1_, .Lfunc_end108-_ZN2at6native12_GLOBAL__N_125multi_tensor_apply_kernelINS1_18TensorListMetadataILi1EEENS1_21BinaryOpScalarFunctorIaLi1ELi1ELi0EEEJNS0_7minimumIaEEaEEEvT_T0_DpT1_
                                        ; -- End function
	.set _ZN2at6native12_GLOBAL__N_125multi_tensor_apply_kernelINS1_18TensorListMetadataILi1EEENS1_21BinaryOpScalarFunctorIaLi1ELi1ELi0EEEJNS0_7minimumIaEEaEEEvT_T0_DpT1_.num_vgpr, 30
	.set _ZN2at6native12_GLOBAL__N_125multi_tensor_apply_kernelINS1_18TensorListMetadataILi1EEENS1_21BinaryOpScalarFunctorIaLi1ELi1ELi0EEEJNS0_7minimumIaEEaEEEvT_T0_DpT1_.num_agpr, 0
	.set _ZN2at6native12_GLOBAL__N_125multi_tensor_apply_kernelINS1_18TensorListMetadataILi1EEENS1_21BinaryOpScalarFunctorIaLi1ELi1ELi0EEEJNS0_7minimumIaEEaEEEvT_T0_DpT1_.numbered_sgpr, 23
	.set _ZN2at6native12_GLOBAL__N_125multi_tensor_apply_kernelINS1_18TensorListMetadataILi1EEENS1_21BinaryOpScalarFunctorIaLi1ELi1ELi0EEEJNS0_7minimumIaEEaEEEvT_T0_DpT1_.num_named_barrier, 0
	.set _ZN2at6native12_GLOBAL__N_125multi_tensor_apply_kernelINS1_18TensorListMetadataILi1EEENS1_21BinaryOpScalarFunctorIaLi1ELi1ELi0EEEJNS0_7minimumIaEEaEEEvT_T0_DpT1_.private_seg_size, 0
	.set _ZN2at6native12_GLOBAL__N_125multi_tensor_apply_kernelINS1_18TensorListMetadataILi1EEENS1_21BinaryOpScalarFunctorIaLi1ELi1ELi0EEEJNS0_7minimumIaEEaEEEvT_T0_DpT1_.uses_vcc, 1
	.set _ZN2at6native12_GLOBAL__N_125multi_tensor_apply_kernelINS1_18TensorListMetadataILi1EEENS1_21BinaryOpScalarFunctorIaLi1ELi1ELi0EEEJNS0_7minimumIaEEaEEEvT_T0_DpT1_.uses_flat_scratch, 0
	.set _ZN2at6native12_GLOBAL__N_125multi_tensor_apply_kernelINS1_18TensorListMetadataILi1EEENS1_21BinaryOpScalarFunctorIaLi1ELi1ELi0EEEJNS0_7minimumIaEEaEEEvT_T0_DpT1_.has_dyn_sized_stack, 0
	.set _ZN2at6native12_GLOBAL__N_125multi_tensor_apply_kernelINS1_18TensorListMetadataILi1EEENS1_21BinaryOpScalarFunctorIaLi1ELi1ELi0EEEJNS0_7minimumIaEEaEEEvT_T0_DpT1_.has_recursion, 0
	.set _ZN2at6native12_GLOBAL__N_125multi_tensor_apply_kernelINS1_18TensorListMetadataILi1EEENS1_21BinaryOpScalarFunctorIaLi1ELi1ELi0EEEJNS0_7minimumIaEEaEEEvT_T0_DpT1_.has_indirect_call, 0
	.section	.AMDGPU.csdata,"",@progbits
; Kernel info:
; codeLenInByte = 1012
; TotalNumSgprs: 29
; NumVgprs: 30
; NumAgprs: 0
; TotalNumVgprs: 30
; ScratchSize: 0
; MemoryBound: 0
; FloatMode: 240
; IeeeMode: 1
; LDSByteSize: 0 bytes/workgroup (compile time only)
; SGPRBlocks: 3
; VGPRBlocks: 3
; NumSGPRsForWavesPerEU: 29
; NumVGPRsForWavesPerEU: 30
; AccumOffset: 32
; Occupancy: 8
; WaveLimiterHint : 0
; COMPUTE_PGM_RSRC2:SCRATCH_EN: 0
; COMPUTE_PGM_RSRC2:USER_SGPR: 2
; COMPUTE_PGM_RSRC2:TRAP_HANDLER: 0
; COMPUTE_PGM_RSRC2:TGID_X_EN: 1
; COMPUTE_PGM_RSRC2:TGID_Y_EN: 0
; COMPUTE_PGM_RSRC2:TGID_Z_EN: 0
; COMPUTE_PGM_RSRC2:TIDIG_COMP_CNT: 0
; COMPUTE_PGM_RSRC3_GFX90A:ACCUM_OFFSET: 7
; COMPUTE_PGM_RSRC3_GFX90A:TG_SPLIT: 0
	.section	.text._ZN2at6native12_GLOBAL__N_125multi_tensor_apply_kernelINS1_18TensorListMetadataILi1EEENS1_21BinaryOpScalarFunctorIiLi1ELi1ELi0EEEJNS0_7minimumIiEEiEEEvT_T0_DpT1_,"axG",@progbits,_ZN2at6native12_GLOBAL__N_125multi_tensor_apply_kernelINS1_18TensorListMetadataILi1EEENS1_21BinaryOpScalarFunctorIiLi1ELi1ELi0EEEJNS0_7minimumIiEEiEEEvT_T0_DpT1_,comdat
	.globl	_ZN2at6native12_GLOBAL__N_125multi_tensor_apply_kernelINS1_18TensorListMetadataILi1EEENS1_21BinaryOpScalarFunctorIiLi1ELi1ELi0EEEJNS0_7minimumIiEEiEEEvT_T0_DpT1_ ; -- Begin function _ZN2at6native12_GLOBAL__N_125multi_tensor_apply_kernelINS1_18TensorListMetadataILi1EEENS1_21BinaryOpScalarFunctorIiLi1ELi1ELi0EEEJNS0_7minimumIiEEiEEEvT_T0_DpT1_
	.p2align	8
	.type	_ZN2at6native12_GLOBAL__N_125multi_tensor_apply_kernelINS1_18TensorListMetadataILi1EEENS1_21BinaryOpScalarFunctorIiLi1ELi1ELi0EEEJNS0_7minimumIiEEiEEEvT_T0_DpT1_,@function
_ZN2at6native12_GLOBAL__N_125multi_tensor_apply_kernelINS1_18TensorListMetadataILi1EEENS1_21BinaryOpScalarFunctorIiLi1ELi1ELi0EEEJNS0_7minimumIiEEiEEEvT_T0_DpT1_: ; @_ZN2at6native12_GLOBAL__N_125multi_tensor_apply_kernelINS1_18TensorListMetadataILi1EEENS1_21BinaryOpScalarFunctorIiLi1ELi1ELi0EEEJNS0_7minimumIiEEiEEEvT_T0_DpT1_
; %bb.0:
	v_mov_b32_e32 v1, s2
	global_load_ubyte v1, v1, s[0:1] offset:1760
	s_add_u32 s3, s0, s2
	s_mul_hi_u32 s4, s2, 3
	s_mul_i32 s2, s2, 3
	s_addc_u32 s5, s1, 0
	s_add_u32 s2, s3, s2
	s_addc_u32 s3, s5, s4
	s_load_dword s2, s[2:3], 0x820
	s_mov_b32 s7, 0
	s_waitcnt vmcnt(0)
	v_readfirstlane_b32 s3, v1
	s_lshl_b32 s3, s3, 3
	s_load_dword s26, s[0:1], 0xd2c
	s_load_dwordx2 s[4:5], s[0:1], s3 offset:0x370
	s_load_dwordx2 s[8:9], s[0:1], s3 offset:0x0
	s_waitcnt lgkmcnt(0)
	s_ashr_i32 s3, s2, 31
	s_lshl_b64 s[10:11], s[2:3], 18
	s_lshl_b64 s[2:3], s[2:3], 16
	s_and_b32 s6, s8, 15
	s_sub_u32 s12, s4, s2
	s_subb_u32 s13, s5, s3
	s_and_b32 s2, s4, 3
	s_mov_b32 s3, s7
	s_or_b64 s[2:3], s[6:7], s[2:3]
	s_cmp_eq_u64 s[2:3], 0
	s_cbranch_scc1 .LBB109_21
; %bb.1:
	v_cmp_lt_i64_e64 s[2:3], s[12:13], 1
	s_and_b64 vcc, exec, s[2:3]
	s_cbranch_vccnz .LBB109_20
; %bb.2:
	s_load_dword s2, s[0:1], 0xd3c
	v_mov_b64_e32 v[2:3], 0x10000
	v_cmp_lt_i64_e32 vcc, s[12:13], v[2:3]
	s_and_b64 s[4:5], vcc, exec
	s_cselect_b32 s5, s13, 0
	s_cselect_b32 s4, s12, 0x10000
	s_waitcnt lgkmcnt(0)
	s_and_b32 s2, s2, 0xffff
	v_cmp_lt_u64_e32 vcc, s[12:13], v[2:3]
	s_and_b64 s[6:7], vcc, exec
	s_mov_b32 s3, 0
	v_mov_b32_e32 v1, 0
	s_cselect_b32 s15, s13, 0
	s_cselect_b32 s14, s12, 0x10000
	s_lshl_b32 s6, s2, 1
	s_lshl_b32 s27, s2, 2
	s_add_u32 s22, s8, s10
	v_lshl_add_u64 v[8:9], v[0:1], 0, s[2:3]
	s_mov_b32 s7, s3
	s_mul_i32 s20, s2, 3
	s_mov_b32 s21, s3
	v_lshlrev_b32_e32 v2, 2, v0
	v_mov_b32_e32 v3, v1
	s_addc_u32 s23, s9, s11
	v_lshlrev_b32_e32 v10, 2, v8
	v_mov_b32_e32 v11, v1
	v_lshl_add_u64 v[2:3], s[22:23], 0, v[2:3]
	s_lshl_b32 s16, s2, 4
	s_mov_b32 s17, s3
	s_mul_i32 s18, s2, 12
	s_mov_b32 s19, s3
	v_lshl_add_u64 v[4:5], s[20:21], 0, v[0:1]
	s_lshl_b32 s20, s2, 3
	v_lshl_add_u64 v[6:7], s[6:7], 0, v[0:1]
	v_lshl_add_u64 v[10:11], s[22:23], 0, v[10:11]
	s_mov_b64 s[22:23], 0
	v_mov_b64_e32 v[12:13], s[4:5]
	s_branch .LBB109_4
.LBB109_3:                              ;   in Loop: Header=BB109_4 Depth=1
	s_or_b64 exec, exec, s[2:3]
	s_add_u32 s22, s22, s27
	s_addc_u32 s23, s23, 0
	v_cmp_lt_i64_e32 vcc, s[22:23], v[12:13]
	v_lshl_add_u64 v[2:3], v[2:3], 0, s[16:17]
	v_lshl_add_u64 v[10:11], v[10:11], 0, s[16:17]
	s_cbranch_vccz .LBB109_20
.LBB109_4:                              ; =>This Inner Loop Header: Depth=1
	v_lshl_add_u64 v[14:15], v[0:1], 0, s[22:23]
	v_cmp_gt_u64_e32 vcc, s[14:15], v[14:15]
	s_waitcnt vmcnt(0)
	v_mov_b32_e32 v19, 0
	s_and_saveexec_b64 s[2:3], vcc
	s_cbranch_execz .LBB109_6
; %bb.5:                                ;   in Loop: Header=BB109_4 Depth=1
	global_load_dword v19, v[2:3], off
.LBB109_6:                              ;   in Loop: Header=BB109_4 Depth=1
	s_or_b64 exec, exec, s[2:3]
	v_lshl_add_u64 v[14:15], v[8:9], 0, s[22:23]
	v_cmp_gt_u64_e64 s[2:3], s[14:15], v[14:15]
	v_mov_b32_e32 v18, 0
	v_mov_b32_e32 v20, 0
	s_and_saveexec_b64 s[4:5], s[2:3]
	s_cbranch_execz .LBB109_8
; %bb.7:                                ;   in Loop: Header=BB109_4 Depth=1
	global_load_dword v20, v[10:11], off
.LBB109_8:                              ;   in Loop: Header=BB109_4 Depth=1
	s_or_b64 exec, exec, s[4:5]
	v_lshl_add_u64 v[14:15], v[6:7], 0, s[22:23]
	v_cmp_gt_u64_e64 s[4:5], s[14:15], v[14:15]
	v_lshl_add_u64 v[14:15], v[2:3], 0, s[20:21]
	s_and_saveexec_b64 s[6:7], s[4:5]
	s_cbranch_execz .LBB109_10
; %bb.9:                                ;   in Loop: Header=BB109_4 Depth=1
	global_load_dword v18, v[14:15], off
.LBB109_10:                             ;   in Loop: Header=BB109_4 Depth=1
	s_or_b64 exec, exec, s[6:7]
	v_lshl_add_u64 v[16:17], v[4:5], 0, s[22:23]
	v_cmp_gt_u64_e64 s[6:7], s[14:15], v[16:17]
	v_mov_b32_e32 v21, 0
	v_lshl_add_u64 v[16:17], v[2:3], 0, s[18:19]
	s_and_saveexec_b64 s[24:25], s[6:7]
	s_cbranch_execnz .LBB109_15
; %bb.11:                               ;   in Loop: Header=BB109_4 Depth=1
	s_or_b64 exec, exec, s[24:25]
	s_and_saveexec_b64 s[24:25], vcc
	s_cbranch_execnz .LBB109_16
.LBB109_12:                             ;   in Loop: Header=BB109_4 Depth=1
	s_or_b64 exec, exec, s[24:25]
	s_and_saveexec_b64 s[24:25], s[2:3]
	s_cbranch_execnz .LBB109_17
.LBB109_13:                             ;   in Loop: Header=BB109_4 Depth=1
	s_or_b64 exec, exec, s[24:25]
	s_and_saveexec_b64 s[2:3], s[4:5]
	s_cbranch_execnz .LBB109_18
.LBB109_14:                             ;   in Loop: Header=BB109_4 Depth=1
	s_or_b64 exec, exec, s[2:3]
	s_and_saveexec_b64 s[2:3], s[6:7]
	s_cbranch_execz .LBB109_3
	s_branch .LBB109_19
.LBB109_15:                             ;   in Loop: Header=BB109_4 Depth=1
	global_load_dword v21, v[16:17], off
	s_or_b64 exec, exec, s[24:25]
	s_and_saveexec_b64 s[24:25], vcc
	s_cbranch_execz .LBB109_12
.LBB109_16:                             ;   in Loop: Header=BB109_4 Depth=1
	s_waitcnt vmcnt(0)
	v_min_i32_e32 v19, s26, v19
	global_store_dword v[2:3], v19, off
	s_or_b64 exec, exec, s[24:25]
	s_and_saveexec_b64 s[24:25], s[2:3]
	s_cbranch_execz .LBB109_13
.LBB109_17:                             ;   in Loop: Header=BB109_4 Depth=1
	s_waitcnt vmcnt(0)
	v_min_i32_e32 v19, s26, v20
	global_store_dword v[10:11], v19, off
	s_or_b64 exec, exec, s[24:25]
	s_and_saveexec_b64 s[2:3], s[4:5]
	s_cbranch_execz .LBB109_14
.LBB109_18:                             ;   in Loop: Header=BB109_4 Depth=1
	s_waitcnt vmcnt(0)
	v_min_i32_e32 v18, s26, v18
	global_store_dword v[14:15], v18, off
	s_or_b64 exec, exec, s[2:3]
	s_and_saveexec_b64 s[2:3], s[6:7]
	s_cbranch_execz .LBB109_3
.LBB109_19:                             ;   in Loop: Header=BB109_4 Depth=1
	s_waitcnt vmcnt(0)
	v_min_i32_e32 v14, s26, v21
	global_store_dword v[16:17], v14, off
	s_branch .LBB109_3
.LBB109_20:
	s_cbranch_execz .LBB109_22
	s_branch .LBB109_30
.LBB109_21:
.LBB109_22:
	v_mov_b64_e32 v[4:5], 0x10000
	v_cmp_lt_i64_e32 vcc, s[12:13], v[4:5]
	s_and_b64 s[2:3], vcc, exec
	v_mov_b32_e32 v3, 0
	s_cselect_b32 s3, s13, 0
	s_cselect_b32 s2, s12, 0x10000
	v_lshlrev_b32_e32 v2, 2, v0
	s_mov_b32 s4, 0
	v_cmp_gt_i64_e32 vcc, s[2:3], v[2:3]
	s_and_saveexec_b64 s[6:7], vcc
	s_cbranch_execz .LBB109_30
; %bb.23:
	v_add_u32_e32 v4, 4, v2
	v_mov_b32_e32 v5, v3
	v_mov_b32_e32 v6, s3
	v_cmp_gt_i64_e32 vcc, s[2:3], v[4:5]
	s_load_dword s0, s[0:1], 0xd3c
	v_mov_b32_e32 v1, v3
	v_cndmask_b32_e32 v5, 0, v6, vcc
	v_mov_b32_e32 v6, s2
	v_cndmask_b32_e32 v4, v4, v6, vcc
	v_lshl_add_u64 v[4:5], v[4:5], 0, -4
	v_cmp_ne_u64_e32 vcc, v[4:5], v[2:3]
	s_waitcnt lgkmcnt(0)
	s_and_b32 s0, s0, 0xffff
	v_mov_b32_e32 v7, s4
	v_cndmask_b32_e64 v6, 0, 1, vcc
	v_or_b32_e32 v2, v2, v6
	v_sub_co_u32_e32 v2, vcc, v4, v2
	s_cmp_eq_u32 s0, 1
	s_nop 0
	v_subbrev_co_u32_e32 v3, vcc, 0, v5, vcc
	v_lshrrev_b64 v[2:3], 2, v[2:3]
	v_lshl_add_u64 v[2:3], v[2:3], 0, v[6:7]
	v_cmp_ne_u64_e32 vcc, 0, v[2:3]
	s_cselect_b64 s[4:5], -1, 0
	s_mov_b64 s[6:7], 0
	s_and_b64 s[14:15], vcc, s[4:5]
	s_mov_b64 s[12:13], -1
	s_and_saveexec_b64 s[4:5], s[14:15]
	s_cbranch_execz .LBB109_27
; %bb.24:
	s_add_u32 s12, s8, s10
	v_lshl_add_u64 v[2:3], v[2:3], 0, 1
	v_lshlrev_b32_e32 v6, 4, v0
	v_mov_b32_e32 v7, 0
	s_addc_u32 s13, s9, s11
	v_and_b32_e32 v4, -2, v2
	v_mov_b32_e32 v5, v3
	v_lshl_add_u64 v[6:7], s[12:13], 0, v[6:7]
	s_mov_b32 s1, s26
	v_lshl_add_u64 v[6:7], v[6:7], 0, 28
	v_mov_b64_e32 v[8:9], v[4:5]
.LBB109_25:                             ; =>This Inner Loop Header: Depth=1
	global_load_dwordx4 v[10:13], v[6:7], off offset:-12
	global_load_dwordx4 v[14:17], v[6:7], off offset:-28
	v_lshl_add_u64 v[8:9], v[8:9], 0, -2
	v_cmp_eq_u64_e32 vcc, 0, v[8:9]
	s_or_b64 s[6:7], vcc, s[6:7]
	s_waitcnt vmcnt(1)
	v_min_i32_e32 v10, s1, v10
	s_waitcnt vmcnt(0)
	v_min_i32_e32 v14, s26, v14
	v_min_i32_e32 v15, s26, v15
	v_min_i32_e32 v16, s26, v16
	v_min_i32_e32 v17, s26, v17
	v_min_i32_e32 v11, s1, v11
	v_min_i32_e32 v12, s1, v12
	v_min_i32_e32 v13, s1, v13
	global_store_dwordx4 v[6:7], v[14:17], off offset:-28
	global_store_dwordx4 v[6:7], v[10:13], off offset:-12
	v_lshl_add_u64 v[6:7], v[6:7], 0, 32
	s_andn2_b64 exec, exec, s[6:7]
	s_cbranch_execnz .LBB109_25
; %bb.26:
	s_or_b64 exec, exec, s[6:7]
	v_cmp_ne_u64_e32 vcc, v[2:3], v[4:5]
	v_lshl_add_u64 v[0:1], v[4:5], 0, v[0:1]
	s_orn2_b64 s[12:13], vcc, exec
.LBB109_27:
	s_or_b64 exec, exec, s[4:5]
	s_and_b64 exec, exec, s[12:13]
	s_cbranch_execz .LBB109_30
; %bb.28:
	s_add_u32 s4, s8, s10
	s_mov_b32 s1, 0
	s_addc_u32 s5, s9, s11
	s_mov_b32 s12, s26
	s_mov_b32 s13, s26
	;; [unrolled: 1-line block ×3, first 2 shown]
	v_lshl_add_u64 v[2:3], v[0:1], 4, s[4:5]
	s_lshl_b32 s4, s0, 4
	s_mov_b32 s5, s1
	s_mov_b64 s[6:7], 0
.LBB109_29:                             ; =>This Inner Loop Header: Depth=1
	global_load_dwordx4 v[4:7], v[2:3], off
	v_lshl_add_u64 v[0:1], v[0:1], 0, s[0:1]
	v_lshlrev_b64 v[8:9], 2, v[0:1]
	v_cmp_le_i64_e32 vcc, s[2:3], v[8:9]
	s_or_b64 s[6:7], vcc, s[6:7]
	s_waitcnt vmcnt(0)
	v_min_i32_e32 v7, s14, v7
	v_min_i32_e32 v6, s13, v6
	;; [unrolled: 1-line block ×4, first 2 shown]
	global_store_dwordx4 v[2:3], v[4:7], off
	v_lshl_add_u64 v[2:3], v[2:3], 0, s[4:5]
	s_andn2_b64 exec, exec, s[6:7]
	s_cbranch_execnz .LBB109_29
.LBB109_30:
	s_endpgm
	.section	.rodata,"a",@progbits
	.p2align	6, 0x0
	.amdhsa_kernel _ZN2at6native12_GLOBAL__N_125multi_tensor_apply_kernelINS1_18TensorListMetadataILi1EEENS1_21BinaryOpScalarFunctorIiLi1ELi1ELi0EEEJNS0_7minimumIiEEiEEEvT_T0_DpT1_
		.amdhsa_group_segment_fixed_size 0
		.amdhsa_private_segment_fixed_size 0
		.amdhsa_kernarg_size 3632
		.amdhsa_user_sgpr_count 2
		.amdhsa_user_sgpr_dispatch_ptr 0
		.amdhsa_user_sgpr_queue_ptr 0
		.amdhsa_user_sgpr_kernarg_segment_ptr 1
		.amdhsa_user_sgpr_dispatch_id 0
		.amdhsa_user_sgpr_kernarg_preload_length 0
		.amdhsa_user_sgpr_kernarg_preload_offset 0
		.amdhsa_user_sgpr_private_segment_size 0
		.amdhsa_uses_dynamic_stack 0
		.amdhsa_enable_private_segment 0
		.amdhsa_system_sgpr_workgroup_id_x 1
		.amdhsa_system_sgpr_workgroup_id_y 0
		.amdhsa_system_sgpr_workgroup_id_z 0
		.amdhsa_system_sgpr_workgroup_info 0
		.amdhsa_system_vgpr_workitem_id 0
		.amdhsa_next_free_vgpr 22
		.amdhsa_next_free_sgpr 28
		.amdhsa_accum_offset 24
		.amdhsa_reserve_vcc 1
		.amdhsa_float_round_mode_32 0
		.amdhsa_float_round_mode_16_64 0
		.amdhsa_float_denorm_mode_32 3
		.amdhsa_float_denorm_mode_16_64 3
		.amdhsa_dx10_clamp 1
		.amdhsa_ieee_mode 1
		.amdhsa_fp16_overflow 0
		.amdhsa_tg_split 0
		.amdhsa_exception_fp_ieee_invalid_op 0
		.amdhsa_exception_fp_denorm_src 0
		.amdhsa_exception_fp_ieee_div_zero 0
		.amdhsa_exception_fp_ieee_overflow 0
		.amdhsa_exception_fp_ieee_underflow 0
		.amdhsa_exception_fp_ieee_inexact 0
		.amdhsa_exception_int_div_zero 0
	.end_amdhsa_kernel
	.section	.text._ZN2at6native12_GLOBAL__N_125multi_tensor_apply_kernelINS1_18TensorListMetadataILi1EEENS1_21BinaryOpScalarFunctorIiLi1ELi1ELi0EEEJNS0_7minimumIiEEiEEEvT_T0_DpT1_,"axG",@progbits,_ZN2at6native12_GLOBAL__N_125multi_tensor_apply_kernelINS1_18TensorListMetadataILi1EEENS1_21BinaryOpScalarFunctorIiLi1ELi1ELi0EEEJNS0_7minimumIiEEiEEEvT_T0_DpT1_,comdat
.Lfunc_end109:
	.size	_ZN2at6native12_GLOBAL__N_125multi_tensor_apply_kernelINS1_18TensorListMetadataILi1EEENS1_21BinaryOpScalarFunctorIiLi1ELi1ELi0EEEJNS0_7minimumIiEEiEEEvT_T0_DpT1_, .Lfunc_end109-_ZN2at6native12_GLOBAL__N_125multi_tensor_apply_kernelINS1_18TensorListMetadataILi1EEENS1_21BinaryOpScalarFunctorIiLi1ELi1ELi0EEEJNS0_7minimumIiEEiEEEvT_T0_DpT1_
                                        ; -- End function
	.set _ZN2at6native12_GLOBAL__N_125multi_tensor_apply_kernelINS1_18TensorListMetadataILi1EEENS1_21BinaryOpScalarFunctorIiLi1ELi1ELi0EEEJNS0_7minimumIiEEiEEEvT_T0_DpT1_.num_vgpr, 22
	.set _ZN2at6native12_GLOBAL__N_125multi_tensor_apply_kernelINS1_18TensorListMetadataILi1EEENS1_21BinaryOpScalarFunctorIiLi1ELi1ELi0EEEJNS0_7minimumIiEEiEEEvT_T0_DpT1_.num_agpr, 0
	.set _ZN2at6native12_GLOBAL__N_125multi_tensor_apply_kernelINS1_18TensorListMetadataILi1EEENS1_21BinaryOpScalarFunctorIiLi1ELi1ELi0EEEJNS0_7minimumIiEEiEEEvT_T0_DpT1_.numbered_sgpr, 28
	.set _ZN2at6native12_GLOBAL__N_125multi_tensor_apply_kernelINS1_18TensorListMetadataILi1EEENS1_21BinaryOpScalarFunctorIiLi1ELi1ELi0EEEJNS0_7minimumIiEEiEEEvT_T0_DpT1_.num_named_barrier, 0
	.set _ZN2at6native12_GLOBAL__N_125multi_tensor_apply_kernelINS1_18TensorListMetadataILi1EEENS1_21BinaryOpScalarFunctorIiLi1ELi1ELi0EEEJNS0_7minimumIiEEiEEEvT_T0_DpT1_.private_seg_size, 0
	.set _ZN2at6native12_GLOBAL__N_125multi_tensor_apply_kernelINS1_18TensorListMetadataILi1EEENS1_21BinaryOpScalarFunctorIiLi1ELi1ELi0EEEJNS0_7minimumIiEEiEEEvT_T0_DpT1_.uses_vcc, 1
	.set _ZN2at6native12_GLOBAL__N_125multi_tensor_apply_kernelINS1_18TensorListMetadataILi1EEENS1_21BinaryOpScalarFunctorIiLi1ELi1ELi0EEEJNS0_7minimumIiEEiEEEvT_T0_DpT1_.uses_flat_scratch, 0
	.set _ZN2at6native12_GLOBAL__N_125multi_tensor_apply_kernelINS1_18TensorListMetadataILi1EEENS1_21BinaryOpScalarFunctorIiLi1ELi1ELi0EEEJNS0_7minimumIiEEiEEEvT_T0_DpT1_.has_dyn_sized_stack, 0
	.set _ZN2at6native12_GLOBAL__N_125multi_tensor_apply_kernelINS1_18TensorListMetadataILi1EEENS1_21BinaryOpScalarFunctorIiLi1ELi1ELi0EEEJNS0_7minimumIiEEiEEEvT_T0_DpT1_.has_recursion, 0
	.set _ZN2at6native12_GLOBAL__N_125multi_tensor_apply_kernelINS1_18TensorListMetadataILi1EEENS1_21BinaryOpScalarFunctorIiLi1ELi1ELi0EEEJNS0_7minimumIiEEiEEEvT_T0_DpT1_.has_indirect_call, 0
	.section	.AMDGPU.csdata,"",@progbits
; Kernel info:
; codeLenInByte = 1232
; TotalNumSgprs: 34
; NumVgprs: 22
; NumAgprs: 0
; TotalNumVgprs: 22
; ScratchSize: 0
; MemoryBound: 0
; FloatMode: 240
; IeeeMode: 1
; LDSByteSize: 0 bytes/workgroup (compile time only)
; SGPRBlocks: 4
; VGPRBlocks: 2
; NumSGPRsForWavesPerEU: 34
; NumVGPRsForWavesPerEU: 22
; AccumOffset: 24
; Occupancy: 8
; WaveLimiterHint : 0
; COMPUTE_PGM_RSRC2:SCRATCH_EN: 0
; COMPUTE_PGM_RSRC2:USER_SGPR: 2
; COMPUTE_PGM_RSRC2:TRAP_HANDLER: 0
; COMPUTE_PGM_RSRC2:TGID_X_EN: 1
; COMPUTE_PGM_RSRC2:TGID_Y_EN: 0
; COMPUTE_PGM_RSRC2:TGID_Z_EN: 0
; COMPUTE_PGM_RSRC2:TIDIG_COMP_CNT: 0
; COMPUTE_PGM_RSRC3_GFX90A:ACCUM_OFFSET: 5
; COMPUTE_PGM_RSRC3_GFX90A:TG_SPLIT: 0
	.section	.text._ZN2at6native12_GLOBAL__N_125multi_tensor_apply_kernelINS1_18TensorListMetadataILi1EEENS1_21BinaryOpScalarFunctorIlLi1ELi1ELi0EEEJNS0_7minimumIlEElEEEvT_T0_DpT1_,"axG",@progbits,_ZN2at6native12_GLOBAL__N_125multi_tensor_apply_kernelINS1_18TensorListMetadataILi1EEENS1_21BinaryOpScalarFunctorIlLi1ELi1ELi0EEEJNS0_7minimumIlEElEEEvT_T0_DpT1_,comdat
	.globl	_ZN2at6native12_GLOBAL__N_125multi_tensor_apply_kernelINS1_18TensorListMetadataILi1EEENS1_21BinaryOpScalarFunctorIlLi1ELi1ELi0EEEJNS0_7minimumIlEElEEEvT_T0_DpT1_ ; -- Begin function _ZN2at6native12_GLOBAL__N_125multi_tensor_apply_kernelINS1_18TensorListMetadataILi1EEENS1_21BinaryOpScalarFunctorIlLi1ELi1ELi0EEEJNS0_7minimumIlEElEEEvT_T0_DpT1_
	.p2align	8
	.type	_ZN2at6native12_GLOBAL__N_125multi_tensor_apply_kernelINS1_18TensorListMetadataILi1EEENS1_21BinaryOpScalarFunctorIlLi1ELi1ELi0EEEJNS0_7minimumIlEElEEEvT_T0_DpT1_,@function
_ZN2at6native12_GLOBAL__N_125multi_tensor_apply_kernelINS1_18TensorListMetadataILi1EEENS1_21BinaryOpScalarFunctorIlLi1ELi1ELi0EEEJNS0_7minimumIlEElEEEvT_T0_DpT1_: ; @_ZN2at6native12_GLOBAL__N_125multi_tensor_apply_kernelINS1_18TensorListMetadataILi1EEENS1_21BinaryOpScalarFunctorIlLi1ELi1ELi0EEEJNS0_7minimumIlEElEEEvT_T0_DpT1_
; %bb.0:
	v_mov_b32_e32 v1, s2
	global_load_ubyte v1, v1, s[0:1] offset:1760
	s_add_u32 s3, s0, s2
	s_mul_hi_u32 s4, s2, 3
	s_mul_i32 s2, s2, 3
	s_addc_u32 s5, s1, 0
	s_add_u32 s2, s3, s2
	s_addc_u32 s3, s5, s4
	s_load_dword s2, s[2:3], 0x820
	s_mov_b32 s7, 0
	s_waitcnt vmcnt(0)
	v_readfirstlane_b32 s3, v1
	s_lshl_b32 s3, s3, 3
	s_load_dwordx2 s[8:9], s[0:1], 0xd30
	s_load_dwordx2 s[4:5], s[0:1], s3 offset:0x370
	s_load_dwordx2 s[10:11], s[0:1], s3 offset:0x0
	s_waitcnt lgkmcnt(0)
	s_ashr_i32 s3, s2, 31
	s_lshl_b64 s[12:13], s[2:3], 19
	s_lshl_b64 s[2:3], s[2:3], 16
	s_and_b32 s6, s10, 31
	s_sub_u32 s14, s4, s2
	s_subb_u32 s15, s5, s3
	s_and_b32 s2, s4, 3
	s_mov_b32 s3, s7
	s_or_b64 s[2:3], s[6:7], s[2:3]
	s_cmp_eq_u64 s[2:3], 0
	s_cbranch_scc1 .LBB110_21
; %bb.1:
	v_cmp_lt_i64_e64 s[2:3], s[14:15], 1
	s_and_b64 vcc, exec, s[2:3]
	s_cbranch_vccnz .LBB110_20
; %bb.2:
	s_load_dword s2, s[0:1], 0xd44
	v_mov_b64_e32 v[2:3], 0x10000
	v_cmp_lt_i64_e32 vcc, s[14:15], v[2:3]
	s_and_b64 s[4:5], vcc, exec
	s_cselect_b32 s5, s15, 0
	s_cselect_b32 s4, s14, 0x10000
	s_waitcnt lgkmcnt(0)
	s_and_b32 s2, s2, 0xffff
	v_cmp_lt_u64_e32 vcc, s[14:15], v[2:3]
	s_and_b64 s[6:7], vcc, exec
	s_mov_b32 s3, 0
	v_mov_b32_e32 v1, 0
	s_cselect_b32 s17, s15, 0
	s_cselect_b32 s16, s14, 0x10000
	s_lshl_b32 s6, s2, 1
	s_lshl_b32 s28, s2, 2
	s_add_u32 s24, s10, s12
	v_lshl_add_u64 v[8:9], v[0:1], 0, s[2:3]
	s_mov_b32 s7, s3
	s_mul_i32 s22, s2, 3
	s_mov_b32 s23, s3
	v_lshlrev_b32_e32 v2, 3, v0
	v_mov_b32_e32 v3, v1
	s_addc_u32 s25, s11, s13
	v_lshlrev_b32_e32 v10, 3, v8
	v_mov_b32_e32 v11, v1
	v_lshl_add_u64 v[2:3], s[24:25], 0, v[2:3]
	s_lshl_b32 s18, s2, 5
	s_mov_b32 s19, s3
	s_mul_i32 s20, s2, 24
	s_mov_b32 s21, s3
	v_lshl_add_u64 v[4:5], s[22:23], 0, v[0:1]
	s_lshl_b32 s22, s2, 4
	v_lshl_add_u64 v[6:7], s[6:7], 0, v[0:1]
	v_lshl_add_u64 v[10:11], s[24:25], 0, v[10:11]
	s_mov_b64 s[24:25], 0
	v_mov_b64_e32 v[12:13], s[4:5]
	s_branch .LBB110_4
.LBB110_3:                              ;   in Loop: Header=BB110_4 Depth=1
	s_or_b64 exec, exec, s[2:3]
	s_add_u32 s24, s24, s28
	s_addc_u32 s25, s25, 0
	v_cmp_lt_i64_e32 vcc, s[24:25], v[12:13]
	v_lshl_add_u64 v[2:3], v[2:3], 0, s[18:19]
	v_lshl_add_u64 v[10:11], v[10:11], 0, s[18:19]
	s_cbranch_vccz .LBB110_20
.LBB110_4:                              ; =>This Inner Loop Header: Depth=1
	s_waitcnt vmcnt(0)
	v_lshl_add_u64 v[14:15], v[0:1], 0, s[24:25]
	v_cmp_gt_u64_e64 s[6:7], s[16:17], v[14:15]
	v_mov_b64_e32 v[16:17], 0
	v_mov_b64_e32 v[24:25], 0
	s_and_saveexec_b64 s[2:3], s[6:7]
	s_cbranch_execz .LBB110_6
; %bb.5:                                ;   in Loop: Header=BB110_4 Depth=1
	global_load_dwordx2 v[24:25], v[2:3], off
.LBB110_6:                              ;   in Loop: Header=BB110_4 Depth=1
	s_or_b64 exec, exec, s[2:3]
	v_lshl_add_u64 v[14:15], v[8:9], 0, s[24:25]
	v_cmp_gt_u64_e64 s[4:5], s[16:17], v[14:15]
	s_and_saveexec_b64 s[2:3], s[4:5]
	s_cbranch_execz .LBB110_8
; %bb.7:                                ;   in Loop: Header=BB110_4 Depth=1
	global_load_dwordx2 v[16:17], v[10:11], off
.LBB110_8:                              ;   in Loop: Header=BB110_4 Depth=1
	s_or_b64 exec, exec, s[2:3]
	v_lshl_add_u64 v[14:15], v[6:7], 0, s[24:25]
	v_cmp_gt_u64_e64 s[2:3], s[16:17], v[14:15]
	v_mov_b64_e32 v[14:15], 0
	v_lshl_add_u64 v[20:21], v[2:3], 0, s[22:23]
	v_mov_b64_e32 v[22:23], 0
	s_and_saveexec_b64 s[26:27], s[2:3]
	s_cbranch_execz .LBB110_10
; %bb.9:                                ;   in Loop: Header=BB110_4 Depth=1
	global_load_dwordx2 v[22:23], v[20:21], off
.LBB110_10:                             ;   in Loop: Header=BB110_4 Depth=1
	s_or_b64 exec, exec, s[26:27]
	v_lshl_add_u64 v[18:19], v[4:5], 0, s[24:25]
	v_cmp_gt_u64_e32 vcc, s[16:17], v[18:19]
	v_lshl_add_u64 v[18:19], v[2:3], 0, s[20:21]
	s_and_saveexec_b64 s[26:27], vcc
	s_cbranch_execnz .LBB110_15
; %bb.11:                               ;   in Loop: Header=BB110_4 Depth=1
	s_or_b64 exec, exec, s[26:27]
	s_and_saveexec_b64 s[26:27], s[6:7]
	s_cbranch_execnz .LBB110_16
.LBB110_12:                             ;   in Loop: Header=BB110_4 Depth=1
	s_or_b64 exec, exec, s[26:27]
	s_and_saveexec_b64 s[6:7], s[4:5]
	s_cbranch_execnz .LBB110_17
.LBB110_13:                             ;   in Loop: Header=BB110_4 Depth=1
	s_or_b64 exec, exec, s[6:7]
	s_and_saveexec_b64 s[4:5], s[2:3]
	s_cbranch_execnz .LBB110_18
.LBB110_14:                             ;   in Loop: Header=BB110_4 Depth=1
	s_or_b64 exec, exec, s[4:5]
	s_and_saveexec_b64 s[2:3], vcc
	s_cbranch_execz .LBB110_3
	s_branch .LBB110_19
.LBB110_15:                             ;   in Loop: Header=BB110_4 Depth=1
	global_load_dwordx2 v[14:15], v[18:19], off
	s_or_b64 exec, exec, s[26:27]
	s_and_saveexec_b64 s[26:27], s[6:7]
	s_cbranch_execz .LBB110_12
.LBB110_16:                             ;   in Loop: Header=BB110_4 Depth=1
	v_mov_b32_e32 v26, s9
	s_waitcnt vmcnt(0)
	v_cmp_gt_i64_e64 s[6:7], s[8:9], v[24:25]
	s_nop 1
	v_cndmask_b32_e64 v25, v26, v25, s[6:7]
	v_mov_b32_e32 v26, s8
	v_cndmask_b32_e64 v24, v26, v24, s[6:7]
	global_store_dwordx2 v[2:3], v[24:25], off
	s_or_b64 exec, exec, s[26:27]
	s_and_saveexec_b64 s[6:7], s[4:5]
	s_cbranch_execz .LBB110_13
.LBB110_17:                             ;   in Loop: Header=BB110_4 Depth=1
	s_waitcnt vmcnt(0)
	v_mov_b32_e32 v24, s9
	v_cmp_gt_i64_e64 s[4:5], s[8:9], v[16:17]
	s_nop 1
	v_cndmask_b32_e64 v17, v24, v17, s[4:5]
	v_mov_b32_e32 v24, s8
	v_cndmask_b32_e64 v16, v24, v16, s[4:5]
	global_store_dwordx2 v[10:11], v[16:17], off
	s_or_b64 exec, exec, s[6:7]
	s_and_saveexec_b64 s[4:5], s[2:3]
	s_cbranch_execz .LBB110_14
.LBB110_18:                             ;   in Loop: Header=BB110_4 Depth=1
	s_waitcnt vmcnt(0)
	v_mov_b32_e32 v16, s9
	v_cmp_gt_i64_e64 s[2:3], s[8:9], v[22:23]
	s_nop 1
	v_cndmask_b32_e64 v17, v16, v23, s[2:3]
	v_mov_b32_e32 v16, s8
	v_cndmask_b32_e64 v16, v16, v22, s[2:3]
	global_store_dwordx2 v[20:21], v[16:17], off
	s_or_b64 exec, exec, s[4:5]
	s_and_saveexec_b64 s[2:3], vcc
	s_cbranch_execz .LBB110_3
.LBB110_19:                             ;   in Loop: Header=BB110_4 Depth=1
	s_waitcnt vmcnt(0)
	v_mov_b32_e32 v16, s9
	v_cmp_gt_i64_e32 vcc, s[8:9], v[14:15]
	s_nop 1
	v_cndmask_b32_e32 v15, v16, v15, vcc
	v_mov_b32_e32 v16, s8
	v_cndmask_b32_e32 v14, v16, v14, vcc
	global_store_dwordx2 v[18:19], v[14:15], off
	s_branch .LBB110_3
.LBB110_20:
	s_cbranch_execz .LBB110_22
	s_branch .LBB110_25
.LBB110_21:
.LBB110_22:
	v_mov_b64_e32 v[4:5], 0x10000
	v_cmp_lt_i64_e32 vcc, s[14:15], v[4:5]
	s_and_b64 s[2:3], vcc, exec
	v_mov_b32_e32 v3, 0
	s_cselect_b32 s15, s15, 0
	s_cselect_b32 s14, s14, 0x10000
	v_lshlrev_b32_e32 v2, 2, v0
	s_mov_b32 s7, 0
	v_cmp_gt_i64_e32 vcc, s[14:15], v[2:3]
	s_and_saveexec_b64 s[2:3], vcc
	s_cbranch_execz .LBB110_25
; %bb.23:
	s_load_dword s0, s[0:1], 0xd44
	v_lshlrev_b32_e32 v2, 5, v0
	v_mov_b32_e32 v1, v3
	s_mov_b32 s17, s7
	v_mov_b32_e32 v4, s9
	s_waitcnt lgkmcnt(0)
	s_and_b32 s6, s0, 0xffff
	s_add_u32 s0, s10, s12
	s_addc_u32 s1, s11, s13
	v_lshl_add_u64 v[2:3], s[0:1], 0, v[2:3]
	s_lshl_b32 s16, s6, 5
	v_lshl_add_u64 v[2:3], v[2:3], 0, 16
	s_mov_b64 s[10:11], 0
	v_mov_b32_e32 v5, s8
.LBB110_24:                             ; =>This Inner Loop Header: Depth=1
	global_load_dwordx4 v[6:9], v[2:3], off offset:-16
	global_load_dwordx4 v[10:13], v[2:3], off
	v_lshl_add_u64 v[0:1], v[0:1], 0, s[6:7]
	s_waitcnt vmcnt(2)
	v_lshlrev_b64 v[14:15], 2, v[0:1]
	v_cmp_le_i64_e32 vcc, s[14:15], v[14:15]
	s_or_b64 s[10:11], vcc, s[10:11]
	s_waitcnt vmcnt(1)
	v_cmp_gt_i64_e32 vcc, s[8:9], v[6:7]
	v_cmp_gt_i64_e64 s[0:1], s[8:9], v[8:9]
	s_nop 0
	v_cndmask_b32_e32 v7, v4, v7, vcc
	s_waitcnt vmcnt(0)
	v_cmp_gt_i64_e64 s[2:3], s[8:9], v[10:11]
	v_cndmask_b32_e64 v9, v4, v9, s[0:1]
	v_cmp_gt_i64_e64 s[4:5], s[8:9], v[12:13]
	v_cndmask_b32_e32 v6, v5, v6, vcc
	v_cndmask_b32_e64 v8, v5, v8, s[0:1]
	v_cndmask_b32_e64 v11, v4, v11, s[2:3]
	;; [unrolled: 1-line block ×5, first 2 shown]
	global_store_dwordx4 v[2:3], v[6:9], off offset:-16
	global_store_dwordx4 v[2:3], v[10:13], off
	v_lshl_add_u64 v[2:3], v[2:3], 0, s[16:17]
	s_andn2_b64 exec, exec, s[10:11]
	s_cbranch_execnz .LBB110_24
.LBB110_25:
	s_endpgm
	.section	.rodata,"a",@progbits
	.p2align	6, 0x0
	.amdhsa_kernel _ZN2at6native12_GLOBAL__N_125multi_tensor_apply_kernelINS1_18TensorListMetadataILi1EEENS1_21BinaryOpScalarFunctorIlLi1ELi1ELi0EEEJNS0_7minimumIlEElEEEvT_T0_DpT1_
		.amdhsa_group_segment_fixed_size 0
		.amdhsa_private_segment_fixed_size 0
		.amdhsa_kernarg_size 3640
		.amdhsa_user_sgpr_count 2
		.amdhsa_user_sgpr_dispatch_ptr 0
		.amdhsa_user_sgpr_queue_ptr 0
		.amdhsa_user_sgpr_kernarg_segment_ptr 1
		.amdhsa_user_sgpr_dispatch_id 0
		.amdhsa_user_sgpr_kernarg_preload_length 0
		.amdhsa_user_sgpr_kernarg_preload_offset 0
		.amdhsa_user_sgpr_private_segment_size 0
		.amdhsa_uses_dynamic_stack 0
		.amdhsa_enable_private_segment 0
		.amdhsa_system_sgpr_workgroup_id_x 1
		.amdhsa_system_sgpr_workgroup_id_y 0
		.amdhsa_system_sgpr_workgroup_id_z 0
		.amdhsa_system_sgpr_workgroup_info 0
		.amdhsa_system_vgpr_workitem_id 0
		.amdhsa_next_free_vgpr 27
		.amdhsa_next_free_sgpr 29
		.amdhsa_accum_offset 28
		.amdhsa_reserve_vcc 1
		.amdhsa_float_round_mode_32 0
		.amdhsa_float_round_mode_16_64 0
		.amdhsa_float_denorm_mode_32 3
		.amdhsa_float_denorm_mode_16_64 3
		.amdhsa_dx10_clamp 1
		.amdhsa_ieee_mode 1
		.amdhsa_fp16_overflow 0
		.amdhsa_tg_split 0
		.amdhsa_exception_fp_ieee_invalid_op 0
		.amdhsa_exception_fp_denorm_src 0
		.amdhsa_exception_fp_ieee_div_zero 0
		.amdhsa_exception_fp_ieee_overflow 0
		.amdhsa_exception_fp_ieee_underflow 0
		.amdhsa_exception_fp_ieee_inexact 0
		.amdhsa_exception_int_div_zero 0
	.end_amdhsa_kernel
	.section	.text._ZN2at6native12_GLOBAL__N_125multi_tensor_apply_kernelINS1_18TensorListMetadataILi1EEENS1_21BinaryOpScalarFunctorIlLi1ELi1ELi0EEEJNS0_7minimumIlEElEEEvT_T0_DpT1_,"axG",@progbits,_ZN2at6native12_GLOBAL__N_125multi_tensor_apply_kernelINS1_18TensorListMetadataILi1EEENS1_21BinaryOpScalarFunctorIlLi1ELi1ELi0EEEJNS0_7minimumIlEElEEEvT_T0_DpT1_,comdat
.Lfunc_end110:
	.size	_ZN2at6native12_GLOBAL__N_125multi_tensor_apply_kernelINS1_18TensorListMetadataILi1EEENS1_21BinaryOpScalarFunctorIlLi1ELi1ELi0EEEJNS0_7minimumIlEElEEEvT_T0_DpT1_, .Lfunc_end110-_ZN2at6native12_GLOBAL__N_125multi_tensor_apply_kernelINS1_18TensorListMetadataILi1EEENS1_21BinaryOpScalarFunctorIlLi1ELi1ELi0EEEJNS0_7minimumIlEElEEEvT_T0_DpT1_
                                        ; -- End function
	.set _ZN2at6native12_GLOBAL__N_125multi_tensor_apply_kernelINS1_18TensorListMetadataILi1EEENS1_21BinaryOpScalarFunctorIlLi1ELi1ELi0EEEJNS0_7minimumIlEElEEEvT_T0_DpT1_.num_vgpr, 27
	.set _ZN2at6native12_GLOBAL__N_125multi_tensor_apply_kernelINS1_18TensorListMetadataILi1EEENS1_21BinaryOpScalarFunctorIlLi1ELi1ELi0EEEJNS0_7minimumIlEElEEEvT_T0_DpT1_.num_agpr, 0
	.set _ZN2at6native12_GLOBAL__N_125multi_tensor_apply_kernelINS1_18TensorListMetadataILi1EEENS1_21BinaryOpScalarFunctorIlLi1ELi1ELi0EEEJNS0_7minimumIlEElEEEvT_T0_DpT1_.numbered_sgpr, 29
	.set _ZN2at6native12_GLOBAL__N_125multi_tensor_apply_kernelINS1_18TensorListMetadataILi1EEENS1_21BinaryOpScalarFunctorIlLi1ELi1ELi0EEEJNS0_7minimumIlEElEEEvT_T0_DpT1_.num_named_barrier, 0
	.set _ZN2at6native12_GLOBAL__N_125multi_tensor_apply_kernelINS1_18TensorListMetadataILi1EEENS1_21BinaryOpScalarFunctorIlLi1ELi1ELi0EEEJNS0_7minimumIlEElEEEvT_T0_DpT1_.private_seg_size, 0
	.set _ZN2at6native12_GLOBAL__N_125multi_tensor_apply_kernelINS1_18TensorListMetadataILi1EEENS1_21BinaryOpScalarFunctorIlLi1ELi1ELi0EEEJNS0_7minimumIlEElEEEvT_T0_DpT1_.uses_vcc, 1
	.set _ZN2at6native12_GLOBAL__N_125multi_tensor_apply_kernelINS1_18TensorListMetadataILi1EEENS1_21BinaryOpScalarFunctorIlLi1ELi1ELi0EEEJNS0_7minimumIlEElEEEvT_T0_DpT1_.uses_flat_scratch, 0
	.set _ZN2at6native12_GLOBAL__N_125multi_tensor_apply_kernelINS1_18TensorListMetadataILi1EEENS1_21BinaryOpScalarFunctorIlLi1ELi1ELi0EEEJNS0_7minimumIlEElEEEvT_T0_DpT1_.has_dyn_sized_stack, 0
	.set _ZN2at6native12_GLOBAL__N_125multi_tensor_apply_kernelINS1_18TensorListMetadataILi1EEENS1_21BinaryOpScalarFunctorIlLi1ELi1ELi0EEEJNS0_7minimumIlEElEEEvT_T0_DpT1_.has_recursion, 0
	.set _ZN2at6native12_GLOBAL__N_125multi_tensor_apply_kernelINS1_18TensorListMetadataILi1EEENS1_21BinaryOpScalarFunctorIlLi1ELi1ELi0EEEJNS0_7minimumIlEElEEEvT_T0_DpT1_.has_indirect_call, 0
	.section	.AMDGPU.csdata,"",@progbits
; Kernel info:
; codeLenInByte = 1140
; TotalNumSgprs: 35
; NumVgprs: 27
; NumAgprs: 0
; TotalNumVgprs: 27
; ScratchSize: 0
; MemoryBound: 0
; FloatMode: 240
; IeeeMode: 1
; LDSByteSize: 0 bytes/workgroup (compile time only)
; SGPRBlocks: 4
; VGPRBlocks: 3
; NumSGPRsForWavesPerEU: 35
; NumVGPRsForWavesPerEU: 27
; AccumOffset: 28
; Occupancy: 8
; WaveLimiterHint : 0
; COMPUTE_PGM_RSRC2:SCRATCH_EN: 0
; COMPUTE_PGM_RSRC2:USER_SGPR: 2
; COMPUTE_PGM_RSRC2:TRAP_HANDLER: 0
; COMPUTE_PGM_RSRC2:TGID_X_EN: 1
; COMPUTE_PGM_RSRC2:TGID_Y_EN: 0
; COMPUTE_PGM_RSRC2:TGID_Z_EN: 0
; COMPUTE_PGM_RSRC2:TIDIG_COMP_CNT: 0
; COMPUTE_PGM_RSRC3_GFX90A:ACCUM_OFFSET: 6
; COMPUTE_PGM_RSRC3_GFX90A:TG_SPLIT: 0
	.section	.text._ZN2at6native12_GLOBAL__N_125multi_tensor_apply_kernelINS1_18TensorListMetadataILi1EEENS1_21BinaryOpScalarFunctorIsLi1ELi1ELi0EEEJNS0_7minimumIsEEsEEEvT_T0_DpT1_,"axG",@progbits,_ZN2at6native12_GLOBAL__N_125multi_tensor_apply_kernelINS1_18TensorListMetadataILi1EEENS1_21BinaryOpScalarFunctorIsLi1ELi1ELi0EEEJNS0_7minimumIsEEsEEEvT_T0_DpT1_,comdat
	.globl	_ZN2at6native12_GLOBAL__N_125multi_tensor_apply_kernelINS1_18TensorListMetadataILi1EEENS1_21BinaryOpScalarFunctorIsLi1ELi1ELi0EEEJNS0_7minimumIsEEsEEEvT_T0_DpT1_ ; -- Begin function _ZN2at6native12_GLOBAL__N_125multi_tensor_apply_kernelINS1_18TensorListMetadataILi1EEENS1_21BinaryOpScalarFunctorIsLi1ELi1ELi0EEEJNS0_7minimumIsEEsEEEvT_T0_DpT1_
	.p2align	8
	.type	_ZN2at6native12_GLOBAL__N_125multi_tensor_apply_kernelINS1_18TensorListMetadataILi1EEENS1_21BinaryOpScalarFunctorIsLi1ELi1ELi0EEEJNS0_7minimumIsEEsEEEvT_T0_DpT1_,@function
_ZN2at6native12_GLOBAL__N_125multi_tensor_apply_kernelINS1_18TensorListMetadataILi1EEENS1_21BinaryOpScalarFunctorIsLi1ELi1ELi0EEEJNS0_7minimumIsEEsEEEvT_T0_DpT1_: ; @_ZN2at6native12_GLOBAL__N_125multi_tensor_apply_kernelINS1_18TensorListMetadataILi1EEENS1_21BinaryOpScalarFunctorIsLi1ELi1ELi0EEEJNS0_7minimumIsEEsEEEvT_T0_DpT1_
; %bb.0:
	v_mov_b32_e32 v1, s2
	global_load_ubyte v1, v1, s[0:1] offset:1760
	s_load_dword s3, s[0:1], 0xd28
	s_mul_hi_u32 s4, s2, 3
	s_mul_i32 s5, s2, 3
	s_mov_b32 s7, 0
	s_waitcnt lgkmcnt(0)
	s_lshr_b32 s26, s3, 16
	s_add_u32 s2, s0, s2
	s_addc_u32 s3, s1, 0
	s_add_u32 s2, s2, s5
	s_addc_u32 s3, s3, s4
	s_load_dword s2, s[2:3], 0x820
	s_waitcnt vmcnt(0)
	v_readfirstlane_b32 s3, v1
	s_lshl_b32 s3, s3, 3
	s_load_dwordx2 s[4:5], s[0:1], s3 offset:0x370
	s_load_dwordx2 s[8:9], s[0:1], s3 offset:0x0
	s_waitcnt lgkmcnt(0)
	s_ashr_i32 s3, s2, 31
	s_lshl_b64 s[10:11], s[2:3], 17
	s_lshl_b64 s[2:3], s[2:3], 16
	s_and_b32 s6, s8, 7
	s_sub_u32 s12, s4, s2
	s_subb_u32 s13, s5, s3
	s_and_b32 s2, s4, 3
	s_mov_b32 s3, s7
	s_or_b64 s[2:3], s[6:7], s[2:3]
	s_cmp_eq_u64 s[2:3], 0
	s_cbranch_scc1 .LBB111_21
; %bb.1:
	v_cmp_lt_i64_e64 s[2:3], s[12:13], 1
	s_and_b64 vcc, exec, s[2:3]
	s_cbranch_vccnz .LBB111_20
; %bb.2:
	s_load_dword s2, s[0:1], 0xd3c
	v_mov_b64_e32 v[2:3], 0x10000
	v_cmp_lt_i64_e32 vcc, s[12:13], v[2:3]
	s_and_b64 s[4:5], vcc, exec
	s_cselect_b32 s5, s13, 0
	s_cselect_b32 s4, s12, 0x10000
	s_waitcnt lgkmcnt(0)
	s_and_b32 s2, s2, 0xffff
	v_cmp_lt_u64_e32 vcc, s[12:13], v[2:3]
	s_and_b64 s[6:7], vcc, exec
	s_mov_b32 s3, 0
	v_mov_b32_e32 v1, 0
	s_cselect_b32 s15, s13, 0
	s_cselect_b32 s14, s12, 0x10000
	s_lshl_b32 s6, s2, 1
	s_lshl_b32 s16, s2, 2
	s_add_u32 s24, s8, s10
	v_lshl_add_u64 v[8:9], v[0:1], 0, s[2:3]
	s_mov_b32 s7, s3
	s_mul_i32 s22, s2, 3
	s_mov_b32 s23, s3
	v_lshlrev_b32_e32 v2, 1, v0
	v_mov_b32_e32 v3, v1
	s_addc_u32 s25, s9, s11
	v_lshlrev_b32_e32 v10, 1, v8
	v_mov_b32_e32 v11, v1
	s_mov_b32 s17, s3
	v_lshl_add_u64 v[2:3], s[24:25], 0, v[2:3]
	s_lshl_b32 s18, s2, 3
	s_mov_b32 s19, s3
	s_mul_i32 s20, s2, 6
	s_mov_b32 s21, s3
	v_lshl_add_u64 v[4:5], s[22:23], 0, v[0:1]
	v_lshl_add_u64 v[6:7], s[6:7], 0, v[0:1]
	;; [unrolled: 1-line block ×3, first 2 shown]
	s_mov_b64 s[22:23], 0
	v_mov_b64_e32 v[12:13], s[4:5]
	s_branch .LBB111_4
.LBB111_3:                              ;   in Loop: Header=BB111_4 Depth=1
	s_or_b64 exec, exec, s[2:3]
	s_add_u32 s22, s22, s16
	s_addc_u32 s23, s23, 0
	v_cmp_lt_i64_e32 vcc, s[22:23], v[12:13]
	v_lshl_add_u64 v[2:3], v[2:3], 0, s[18:19]
	v_lshl_add_u64 v[10:11], v[10:11], 0, s[18:19]
	s_cbranch_vccz .LBB111_20
.LBB111_4:                              ; =>This Inner Loop Header: Depth=1
	v_lshl_add_u64 v[14:15], v[0:1], 0, s[22:23]
	v_cmp_gt_u64_e32 vcc, s[14:15], v[14:15]
	s_waitcnt vmcnt(0)
	v_mov_b32_e32 v19, 0
	s_and_saveexec_b64 s[2:3], vcc
	s_cbranch_execz .LBB111_6
; %bb.5:                                ;   in Loop: Header=BB111_4 Depth=1
	global_load_ushort v19, v[2:3], off
.LBB111_6:                              ;   in Loop: Header=BB111_4 Depth=1
	s_or_b64 exec, exec, s[2:3]
	v_lshl_add_u64 v[14:15], v[8:9], 0, s[22:23]
	v_cmp_gt_u64_e64 s[2:3], s[14:15], v[14:15]
	v_mov_b32_e32 v18, 0
	v_mov_b32_e32 v20, 0
	s_and_saveexec_b64 s[4:5], s[2:3]
	s_cbranch_execz .LBB111_8
; %bb.7:                                ;   in Loop: Header=BB111_4 Depth=1
	global_load_ushort v20, v[10:11], off
.LBB111_8:                              ;   in Loop: Header=BB111_4 Depth=1
	s_or_b64 exec, exec, s[4:5]
	v_lshl_add_u64 v[14:15], v[6:7], 0, s[22:23]
	v_cmp_gt_u64_e64 s[4:5], s[14:15], v[14:15]
	v_lshl_add_u64 v[14:15], v[2:3], 0, s[16:17]
	s_and_saveexec_b64 s[6:7], s[4:5]
	s_cbranch_execz .LBB111_10
; %bb.9:                                ;   in Loop: Header=BB111_4 Depth=1
	global_load_ushort v18, v[14:15], off
.LBB111_10:                             ;   in Loop: Header=BB111_4 Depth=1
	s_or_b64 exec, exec, s[6:7]
	v_lshl_add_u64 v[16:17], v[4:5], 0, s[22:23]
	v_cmp_gt_u64_e64 s[6:7], s[14:15], v[16:17]
	v_mov_b32_e32 v21, 0
	v_lshl_add_u64 v[16:17], v[2:3], 0, s[20:21]
	s_and_saveexec_b64 s[24:25], s[6:7]
	s_cbranch_execnz .LBB111_15
; %bb.11:                               ;   in Loop: Header=BB111_4 Depth=1
	s_or_b64 exec, exec, s[24:25]
	s_and_saveexec_b64 s[24:25], vcc
	s_cbranch_execnz .LBB111_16
.LBB111_12:                             ;   in Loop: Header=BB111_4 Depth=1
	s_or_b64 exec, exec, s[24:25]
	s_and_saveexec_b64 s[24:25], s[2:3]
	s_cbranch_execnz .LBB111_17
.LBB111_13:                             ;   in Loop: Header=BB111_4 Depth=1
	s_or_b64 exec, exec, s[24:25]
	s_and_saveexec_b64 s[2:3], s[4:5]
	s_cbranch_execnz .LBB111_18
.LBB111_14:                             ;   in Loop: Header=BB111_4 Depth=1
	s_or_b64 exec, exec, s[2:3]
	s_and_saveexec_b64 s[2:3], s[6:7]
	s_cbranch_execz .LBB111_3
	s_branch .LBB111_19
.LBB111_15:                             ;   in Loop: Header=BB111_4 Depth=1
	global_load_ushort v21, v[16:17], off
	s_or_b64 exec, exec, s[24:25]
	s_and_saveexec_b64 s[24:25], vcc
	s_cbranch_execz .LBB111_12
.LBB111_16:                             ;   in Loop: Header=BB111_4 Depth=1
	s_waitcnt vmcnt(0)
	v_min_i16_e32 v19, s26, v19
	global_store_short v[2:3], v19, off
	s_or_b64 exec, exec, s[24:25]
	s_and_saveexec_b64 s[24:25], s[2:3]
	s_cbranch_execz .LBB111_13
.LBB111_17:                             ;   in Loop: Header=BB111_4 Depth=1
	s_waitcnt vmcnt(0)
	v_min_i16_e32 v19, s26, v20
	global_store_short v[10:11], v19, off
	s_or_b64 exec, exec, s[24:25]
	s_and_saveexec_b64 s[2:3], s[4:5]
	s_cbranch_execz .LBB111_14
.LBB111_18:                             ;   in Loop: Header=BB111_4 Depth=1
	s_waitcnt vmcnt(0)
	v_min_i16_e32 v18, s26, v18
	global_store_short v[14:15], v18, off
	s_or_b64 exec, exec, s[2:3]
	s_and_saveexec_b64 s[2:3], s[6:7]
	s_cbranch_execz .LBB111_3
.LBB111_19:                             ;   in Loop: Header=BB111_4 Depth=1
	s_waitcnt vmcnt(0)
	v_min_i16_e32 v14, s26, v21
	global_store_short v[16:17], v14, off
	s_branch .LBB111_3
.LBB111_20:
	s_cbranch_execz .LBB111_22
	s_branch .LBB111_25
.LBB111_21:
.LBB111_22:
	v_mov_b64_e32 v[4:5], 0x10000
	v_cmp_lt_i64_e32 vcc, s[12:13], v[4:5]
	s_and_b64 s[4:5], vcc, exec
	v_mov_b32_e32 v3, 0
	s_cselect_b32 s5, s13, 0
	s_cselect_b32 s4, s12, 0x10000
	v_lshlrev_b32_e32 v2, 2, v0
	s_mov_b32 s3, 0
	v_cmp_gt_i64_e32 vcc, s[4:5], v[2:3]
	s_and_saveexec_b64 s[6:7], vcc
	s_cbranch_execz .LBB111_25
; %bb.23:
	s_load_dword s0, s[0:1], 0xd3c
	v_lshlrev_b32_e32 v2, 3, v0
	v_mov_b32_e32 v1, v3
	s_mov_b32 s12, 0xffff
	s_pack_ll_b32_b16 s13, s26, s26
	s_waitcnt lgkmcnt(0)
	s_and_b32 s2, s0, 0xffff
	s_add_u32 s0, s8, s10
	s_addc_u32 s1, s9, s11
	v_lshl_add_u64 v[2:3], s[0:1], 0, v[2:3]
	s_lshl_b32 s0, s2, 3
	s_mov_b32 s1, s3
	s_mov_b64 s[6:7], 0
.LBB111_24:                             ; =>This Inner Loop Header: Depth=1
	global_load_dwordx2 v[4:5], v[2:3], off
	v_lshl_add_u64 v[0:1], v[0:1], 0, s[2:3]
	v_lshlrev_b64 v[6:7], 2, v[0:1]
	v_cmp_le_i64_e32 vcc, s[4:5], v[6:7]
	s_or_b64 s[6:7], vcc, s[6:7]
	s_waitcnt vmcnt(0)
	v_bfi_b32 v4, s12, v4, v4
	v_pk_min_i16 v5, v5, s13
	v_pk_min_i16 v4, v4, s13
	global_store_dwordx2 v[2:3], v[4:5], off
	v_lshl_add_u64 v[2:3], v[2:3], 0, s[0:1]
	s_andn2_b64 exec, exec, s[6:7]
	s_cbranch_execnz .LBB111_24
.LBB111_25:
	s_endpgm
	.section	.rodata,"a",@progbits
	.p2align	6, 0x0
	.amdhsa_kernel _ZN2at6native12_GLOBAL__N_125multi_tensor_apply_kernelINS1_18TensorListMetadataILi1EEENS1_21BinaryOpScalarFunctorIsLi1ELi1ELi0EEEJNS0_7minimumIsEEsEEEvT_T0_DpT1_
		.amdhsa_group_segment_fixed_size 0
		.amdhsa_private_segment_fixed_size 0
		.amdhsa_kernarg_size 3632
		.amdhsa_user_sgpr_count 2
		.amdhsa_user_sgpr_dispatch_ptr 0
		.amdhsa_user_sgpr_queue_ptr 0
		.amdhsa_user_sgpr_kernarg_segment_ptr 1
		.amdhsa_user_sgpr_dispatch_id 0
		.amdhsa_user_sgpr_kernarg_preload_length 0
		.amdhsa_user_sgpr_kernarg_preload_offset 0
		.amdhsa_user_sgpr_private_segment_size 0
		.amdhsa_uses_dynamic_stack 0
		.amdhsa_enable_private_segment 0
		.amdhsa_system_sgpr_workgroup_id_x 1
		.amdhsa_system_sgpr_workgroup_id_y 0
		.amdhsa_system_sgpr_workgroup_id_z 0
		.amdhsa_system_sgpr_workgroup_info 0
		.amdhsa_system_vgpr_workitem_id 0
		.amdhsa_next_free_vgpr 22
		.amdhsa_next_free_sgpr 27
		.amdhsa_accum_offset 24
		.amdhsa_reserve_vcc 1
		.amdhsa_float_round_mode_32 0
		.amdhsa_float_round_mode_16_64 0
		.amdhsa_float_denorm_mode_32 3
		.amdhsa_float_denorm_mode_16_64 3
		.amdhsa_dx10_clamp 1
		.amdhsa_ieee_mode 1
		.amdhsa_fp16_overflow 0
		.amdhsa_tg_split 0
		.amdhsa_exception_fp_ieee_invalid_op 0
		.amdhsa_exception_fp_denorm_src 0
		.amdhsa_exception_fp_ieee_div_zero 0
		.amdhsa_exception_fp_ieee_overflow 0
		.amdhsa_exception_fp_ieee_underflow 0
		.amdhsa_exception_fp_ieee_inexact 0
		.amdhsa_exception_int_div_zero 0
	.end_amdhsa_kernel
	.section	.text._ZN2at6native12_GLOBAL__N_125multi_tensor_apply_kernelINS1_18TensorListMetadataILi1EEENS1_21BinaryOpScalarFunctorIsLi1ELi1ELi0EEEJNS0_7minimumIsEEsEEEvT_T0_DpT1_,"axG",@progbits,_ZN2at6native12_GLOBAL__N_125multi_tensor_apply_kernelINS1_18TensorListMetadataILi1EEENS1_21BinaryOpScalarFunctorIsLi1ELi1ELi0EEEJNS0_7minimumIsEEsEEEvT_T0_DpT1_,comdat
.Lfunc_end111:
	.size	_ZN2at6native12_GLOBAL__N_125multi_tensor_apply_kernelINS1_18TensorListMetadataILi1EEENS1_21BinaryOpScalarFunctorIsLi1ELi1ELi0EEEJNS0_7minimumIsEEsEEEvT_T0_DpT1_, .Lfunc_end111-_ZN2at6native12_GLOBAL__N_125multi_tensor_apply_kernelINS1_18TensorListMetadataILi1EEENS1_21BinaryOpScalarFunctorIsLi1ELi1ELi0EEEJNS0_7minimumIsEEsEEEvT_T0_DpT1_
                                        ; -- End function
	.set _ZN2at6native12_GLOBAL__N_125multi_tensor_apply_kernelINS1_18TensorListMetadataILi1EEENS1_21BinaryOpScalarFunctorIsLi1ELi1ELi0EEEJNS0_7minimumIsEEsEEEvT_T0_DpT1_.num_vgpr, 22
	.set _ZN2at6native12_GLOBAL__N_125multi_tensor_apply_kernelINS1_18TensorListMetadataILi1EEENS1_21BinaryOpScalarFunctorIsLi1ELi1ELi0EEEJNS0_7minimumIsEEsEEEvT_T0_DpT1_.num_agpr, 0
	.set _ZN2at6native12_GLOBAL__N_125multi_tensor_apply_kernelINS1_18TensorListMetadataILi1EEENS1_21BinaryOpScalarFunctorIsLi1ELi1ELi0EEEJNS0_7minimumIsEEsEEEvT_T0_DpT1_.numbered_sgpr, 27
	.set _ZN2at6native12_GLOBAL__N_125multi_tensor_apply_kernelINS1_18TensorListMetadataILi1EEENS1_21BinaryOpScalarFunctorIsLi1ELi1ELi0EEEJNS0_7minimumIsEEsEEEvT_T0_DpT1_.num_named_barrier, 0
	.set _ZN2at6native12_GLOBAL__N_125multi_tensor_apply_kernelINS1_18TensorListMetadataILi1EEENS1_21BinaryOpScalarFunctorIsLi1ELi1ELi0EEEJNS0_7minimumIsEEsEEEvT_T0_DpT1_.private_seg_size, 0
	.set _ZN2at6native12_GLOBAL__N_125multi_tensor_apply_kernelINS1_18TensorListMetadataILi1EEENS1_21BinaryOpScalarFunctorIsLi1ELi1ELi0EEEJNS0_7minimumIsEEsEEEvT_T0_DpT1_.uses_vcc, 1
	.set _ZN2at6native12_GLOBAL__N_125multi_tensor_apply_kernelINS1_18TensorListMetadataILi1EEENS1_21BinaryOpScalarFunctorIsLi1ELi1ELi0EEEJNS0_7minimumIsEEsEEEvT_T0_DpT1_.uses_flat_scratch, 0
	.set _ZN2at6native12_GLOBAL__N_125multi_tensor_apply_kernelINS1_18TensorListMetadataILi1EEENS1_21BinaryOpScalarFunctorIsLi1ELi1ELi0EEEJNS0_7minimumIsEEsEEEvT_T0_DpT1_.has_dyn_sized_stack, 0
	.set _ZN2at6native12_GLOBAL__N_125multi_tensor_apply_kernelINS1_18TensorListMetadataILi1EEENS1_21BinaryOpScalarFunctorIsLi1ELi1ELi0EEEJNS0_7minimumIsEEsEEEvT_T0_DpT1_.has_recursion, 0
	.set _ZN2at6native12_GLOBAL__N_125multi_tensor_apply_kernelINS1_18TensorListMetadataILi1EEENS1_21BinaryOpScalarFunctorIsLi1ELi1ELi0EEEJNS0_7minimumIsEEsEEEvT_T0_DpT1_.has_indirect_call, 0
	.section	.AMDGPU.csdata,"",@progbits
; Kernel info:
; codeLenInByte = 940
; TotalNumSgprs: 33
; NumVgprs: 22
; NumAgprs: 0
; TotalNumVgprs: 22
; ScratchSize: 0
; MemoryBound: 0
; FloatMode: 240
; IeeeMode: 1
; LDSByteSize: 0 bytes/workgroup (compile time only)
; SGPRBlocks: 4
; VGPRBlocks: 2
; NumSGPRsForWavesPerEU: 33
; NumVGPRsForWavesPerEU: 22
; AccumOffset: 24
; Occupancy: 8
; WaveLimiterHint : 0
; COMPUTE_PGM_RSRC2:SCRATCH_EN: 0
; COMPUTE_PGM_RSRC2:USER_SGPR: 2
; COMPUTE_PGM_RSRC2:TRAP_HANDLER: 0
; COMPUTE_PGM_RSRC2:TGID_X_EN: 1
; COMPUTE_PGM_RSRC2:TGID_Y_EN: 0
; COMPUTE_PGM_RSRC2:TGID_Z_EN: 0
; COMPUTE_PGM_RSRC2:TIDIG_COMP_CNT: 0
; COMPUTE_PGM_RSRC3_GFX90A:ACCUM_OFFSET: 5
; COMPUTE_PGM_RSRC3_GFX90A:TG_SPLIT: 0
	.section	.text._ZN2at6native12_GLOBAL__N_125multi_tensor_apply_kernelINS1_18TensorListMetadataILi1EEENS1_21BinaryOpScalarFunctorIdLi1ELi1ELi0EEEJNS0_7minimumIdEEdEEEvT_T0_DpT1_,"axG",@progbits,_ZN2at6native12_GLOBAL__N_125multi_tensor_apply_kernelINS1_18TensorListMetadataILi1EEENS1_21BinaryOpScalarFunctorIdLi1ELi1ELi0EEEJNS0_7minimumIdEEdEEEvT_T0_DpT1_,comdat
	.globl	_ZN2at6native12_GLOBAL__N_125multi_tensor_apply_kernelINS1_18TensorListMetadataILi1EEENS1_21BinaryOpScalarFunctorIdLi1ELi1ELi0EEEJNS0_7minimumIdEEdEEEvT_T0_DpT1_ ; -- Begin function _ZN2at6native12_GLOBAL__N_125multi_tensor_apply_kernelINS1_18TensorListMetadataILi1EEENS1_21BinaryOpScalarFunctorIdLi1ELi1ELi0EEEJNS0_7minimumIdEEdEEEvT_T0_DpT1_
	.p2align	8
	.type	_ZN2at6native12_GLOBAL__N_125multi_tensor_apply_kernelINS1_18TensorListMetadataILi1EEENS1_21BinaryOpScalarFunctorIdLi1ELi1ELi0EEEJNS0_7minimumIdEEdEEEvT_T0_DpT1_,@function
_ZN2at6native12_GLOBAL__N_125multi_tensor_apply_kernelINS1_18TensorListMetadataILi1EEENS1_21BinaryOpScalarFunctorIdLi1ELi1ELi0EEEJNS0_7minimumIdEEdEEEvT_T0_DpT1_: ; @_ZN2at6native12_GLOBAL__N_125multi_tensor_apply_kernelINS1_18TensorListMetadataILi1EEENS1_21BinaryOpScalarFunctorIdLi1ELi1ELi0EEEJNS0_7minimumIdEEdEEEvT_T0_DpT1_
; %bb.0:
	v_mov_b32_e32 v1, s2
	global_load_ubyte v1, v1, s[0:1] offset:1760
	s_add_u32 s3, s0, s2
	s_mul_hi_u32 s4, s2, 3
	s_mul_i32 s2, s2, 3
	s_addc_u32 s5, s1, 0
	s_add_u32 s2, s3, s2
	s_addc_u32 s3, s5, s4
	s_load_dword s2, s[2:3], 0x820
	s_mov_b32 s7, 0
	s_waitcnt vmcnt(0)
	v_readfirstlane_b32 s3, v1
	s_lshl_b32 s3, s3, 3
	s_load_dwordx2 s[16:17], s[0:1], 0xd30
	s_load_dwordx2 s[4:5], s[0:1], s3 offset:0x370
	s_load_dwordx2 s[10:11], s[0:1], s3 offset:0x0
	s_waitcnt lgkmcnt(0)
	s_ashr_i32 s3, s2, 31
	s_lshl_b64 s[12:13], s[2:3], 19
	s_lshl_b64 s[2:3], s[2:3], 16
	s_and_b32 s6, s10, 31
	s_sub_u32 s14, s4, s2
	s_subb_u32 s15, s5, s3
	s_and_b32 s2, s4, 3
	s_mov_b32 s3, s7
	s_or_b64 s[2:3], s[6:7], s[2:3]
	s_cmp_eq_u64 s[2:3], 0
	s_cbranch_scc1 .LBB112_21
; %bb.1:
	v_cmp_lt_i64_e64 s[2:3], s[14:15], 1
	s_and_b64 vcc, exec, s[2:3]
	s_cbranch_vccnz .LBB112_20
; %bb.2:
	s_load_dword s2, s[0:1], 0xd44
	v_mov_b64_e32 v[2:3], 0x10000
	v_cmp_lt_i64_e32 vcc, s[14:15], v[2:3]
	s_and_b64 s[4:5], vcc, exec
	s_cselect_b32 s5, s15, 0
	s_cselect_b32 s4, s14, 0x10000
	s_waitcnt lgkmcnt(0)
	s_and_b32 s2, s2, 0xffff
	v_cmp_lt_u64_e32 vcc, s[14:15], v[2:3]
	s_and_b64 s[6:7], vcc, exec
	s_mov_b32 s3, 0
	v_mov_b32_e32 v1, 0
	s_cselect_b32 s19, s15, 0
	s_cselect_b32 s18, s14, 0x10000
	s_lshl_b32 s6, s2, 1
	s_lshl_b32 s30, s2, 2
	s_add_u32 s26, s10, s12
	v_lshl_add_u64 v[8:9], v[0:1], 0, s[2:3]
	s_mov_b32 s7, s3
	s_mul_i32 s8, s2, 3
	s_mov_b32 s9, s3
	v_lshlrev_b32_e32 v2, 3, v0
	v_mov_b32_e32 v3, v1
	s_addc_u32 s27, s11, s13
	v_lshlrev_b32_e32 v10, 3, v8
	v_mov_b32_e32 v11, v1
	v_lshl_add_u64 v[2:3], s[26:27], 0, v[2:3]
	s_lshl_b32 s20, s2, 5
	s_mov_b32 s21, s3
	s_mul_i32 s22, s2, 24
	s_mov_b32 s23, s3
	v_lshl_add_u64 v[4:5], s[8:9], 0, v[0:1]
	s_lshl_b32 s24, s2, 4
	s_mov_b32 s25, s3
	v_lshl_add_u64 v[6:7], s[6:7], 0, v[0:1]
	v_lshl_add_u64 v[10:11], s[26:27], 0, v[10:11]
	s_mov_b64 s[26:27], 0
	v_mov_b64_e32 v[12:13], s[4:5]
	s_branch .LBB112_4
.LBB112_3:                              ;   in Loop: Header=BB112_4 Depth=1
	s_or_b64 exec, exec, s[4:5]
	s_add_u32 s26, s26, s30
	s_addc_u32 s27, s27, 0
	v_cmp_lt_i64_e32 vcc, s[26:27], v[12:13]
	v_lshl_add_u64 v[2:3], v[2:3], 0, s[20:21]
	v_lshl_add_u64 v[10:11], v[10:11], 0, s[20:21]
	s_cbranch_vccz .LBB112_20
.LBB112_4:                              ; =>This Inner Loop Header: Depth=1
	s_waitcnt vmcnt(0)
	v_lshl_add_u64 v[14:15], v[0:1], 0, s[26:27]
	v_cmp_gt_u64_e64 s[6:7], s[18:19], v[14:15]
	v_mov_b64_e32 v[16:17], 0
	v_mov_b64_e32 v[24:25], 0
	s_and_saveexec_b64 s[2:3], s[6:7]
	s_cbranch_execz .LBB112_6
; %bb.5:                                ;   in Loop: Header=BB112_4 Depth=1
	global_load_dwordx2 v[24:25], v[2:3], off
.LBB112_6:                              ;   in Loop: Header=BB112_4 Depth=1
	s_or_b64 exec, exec, s[2:3]
	v_lshl_add_u64 v[14:15], v[8:9], 0, s[26:27]
	v_cmp_gt_u64_e64 s[4:5], s[18:19], v[14:15]
	s_and_saveexec_b64 s[2:3], s[4:5]
	s_cbranch_execz .LBB112_8
; %bb.7:                                ;   in Loop: Header=BB112_4 Depth=1
	global_load_dwordx2 v[16:17], v[10:11], off
.LBB112_8:                              ;   in Loop: Header=BB112_4 Depth=1
	s_or_b64 exec, exec, s[2:3]
	v_lshl_add_u64 v[14:15], v[6:7], 0, s[26:27]
	v_cmp_gt_u64_e64 s[2:3], s[18:19], v[14:15]
	v_mov_b64_e32 v[14:15], 0
	v_lshl_add_u64 v[20:21], v[2:3], 0, s[24:25]
	v_mov_b64_e32 v[22:23], 0
	s_and_saveexec_b64 s[8:9], s[2:3]
	s_cbranch_execz .LBB112_10
; %bb.9:                                ;   in Loop: Header=BB112_4 Depth=1
	global_load_dwordx2 v[22:23], v[20:21], off
.LBB112_10:                             ;   in Loop: Header=BB112_4 Depth=1
	s_or_b64 exec, exec, s[8:9]
	v_lshl_add_u64 v[18:19], v[4:5], 0, s[26:27]
	v_cmp_gt_u64_e32 vcc, s[18:19], v[18:19]
	v_lshl_add_u64 v[18:19], v[2:3], 0, s[22:23]
	s_and_saveexec_b64 s[8:9], vcc
	s_cbranch_execnz .LBB112_15
; %bb.11:                               ;   in Loop: Header=BB112_4 Depth=1
	s_or_b64 exec, exec, s[8:9]
	s_and_saveexec_b64 s[28:29], s[6:7]
	s_cbranch_execnz .LBB112_16
.LBB112_12:                             ;   in Loop: Header=BB112_4 Depth=1
	s_or_b64 exec, exec, s[28:29]
	s_and_saveexec_b64 s[8:9], s[4:5]
	s_cbranch_execnz .LBB112_17
.LBB112_13:                             ;   in Loop: Header=BB112_4 Depth=1
	s_or_b64 exec, exec, s[8:9]
	s_and_saveexec_b64 s[6:7], s[2:3]
	s_cbranch_execnz .LBB112_18
.LBB112_14:                             ;   in Loop: Header=BB112_4 Depth=1
	s_or_b64 exec, exec, s[6:7]
	s_and_saveexec_b64 s[4:5], vcc
	s_cbranch_execz .LBB112_3
	s_branch .LBB112_19
.LBB112_15:                             ;   in Loop: Header=BB112_4 Depth=1
	global_load_dwordx2 v[14:15], v[18:19], off
	s_or_b64 exec, exec, s[8:9]
	s_and_saveexec_b64 s[28:29], s[6:7]
	s_cbranch_execz .LBB112_12
.LBB112_16:                             ;   in Loop: Header=BB112_4 Depth=1
	s_waitcnt vmcnt(0)
	v_cmp_u_f64_e64 s[6:7], v[24:25], v[24:25]
	v_cmp_gt_f64_e64 s[8:9], s[16:17], v[24:25]
	v_mov_b32_e32 v26, s17
	s_or_b64 s[6:7], s[6:7], s[8:9]
	v_cndmask_b32_e64 v25, v26, v25, s[6:7]
	v_mov_b32_e32 v26, s16
	v_cndmask_b32_e64 v24, v26, v24, s[6:7]
	global_store_dwordx2 v[2:3], v[24:25], off
	s_or_b64 exec, exec, s[28:29]
	s_and_saveexec_b64 s[8:9], s[4:5]
	s_cbranch_execz .LBB112_13
.LBB112_17:                             ;   in Loop: Header=BB112_4 Depth=1
	s_waitcnt vmcnt(0)
	v_cmp_u_f64_e64 s[4:5], v[16:17], v[16:17]
	v_cmp_gt_f64_e64 s[6:7], s[16:17], v[16:17]
	v_mov_b32_e32 v24, s17
	s_or_b64 s[4:5], s[4:5], s[6:7]
	v_cndmask_b32_e64 v17, v24, v17, s[4:5]
	v_mov_b32_e32 v24, s16
	v_cndmask_b32_e64 v16, v24, v16, s[4:5]
	global_store_dwordx2 v[10:11], v[16:17], off
	s_or_b64 exec, exec, s[8:9]
	s_and_saveexec_b64 s[6:7], s[2:3]
	s_cbranch_execz .LBB112_14
.LBB112_18:                             ;   in Loop: Header=BB112_4 Depth=1
	s_waitcnt vmcnt(0)
	v_cmp_u_f64_e64 s[2:3], v[22:23], v[22:23]
	v_cmp_gt_f64_e64 s[4:5], s[16:17], v[22:23]
	v_mov_b32_e32 v16, s17
	s_or_b64 s[2:3], s[2:3], s[4:5]
	v_cndmask_b32_e64 v17, v16, v23, s[2:3]
	v_mov_b32_e32 v16, s16
	v_cndmask_b32_e64 v16, v16, v22, s[2:3]
	global_store_dwordx2 v[20:21], v[16:17], off
	s_or_b64 exec, exec, s[6:7]
	s_and_saveexec_b64 s[4:5], vcc
	s_cbranch_execz .LBB112_3
.LBB112_19:                             ;   in Loop: Header=BB112_4 Depth=1
	s_waitcnt vmcnt(0)
	v_cmp_u_f64_e32 vcc, v[14:15], v[14:15]
	v_cmp_gt_f64_e64 s[2:3], s[16:17], v[14:15]
	v_mov_b32_e32 v16, s17
	s_or_b64 vcc, vcc, s[2:3]
	v_cndmask_b32_e32 v15, v16, v15, vcc
	v_mov_b32_e32 v16, s16
	v_cndmask_b32_e32 v14, v16, v14, vcc
	global_store_dwordx2 v[18:19], v[14:15], off
	s_branch .LBB112_3
.LBB112_20:
	s_cbranch_execz .LBB112_22
	s_branch .LBB112_25
.LBB112_21:
.LBB112_22:
	v_mov_b64_e32 v[4:5], 0x10000
	v_cmp_lt_i64_e32 vcc, s[14:15], v[4:5]
	s_and_b64 s[2:3], vcc, exec
	v_mov_b32_e32 v3, 0
	s_cselect_b32 s21, s15, 0
	s_cselect_b32 s20, s14, 0x10000
	v_lshlrev_b32_e32 v2, 2, v0
	s_mov_b32 s19, 0
	v_cmp_gt_i64_e32 vcc, s[20:21], v[2:3]
	s_and_saveexec_b64 s[2:3], vcc
	s_cbranch_execz .LBB112_25
; %bb.23:
	s_load_dword s0, s[0:1], 0xd44
	v_lshlrev_b32_e32 v2, 5, v0
	v_mov_b32_e32 v1, v3
	s_mov_b32 s23, s19
	s_mov_b64 s[24:25], 0
	s_waitcnt lgkmcnt(0)
	s_and_b32 s18, s0, 0xffff
	s_add_u32 s0, s10, s12
	s_addc_u32 s1, s11, s13
	v_lshl_add_u64 v[2:3], s[0:1], 0, v[2:3]
	s_lshl_b32 s22, s18, 5
	v_lshl_add_u64 v[2:3], v[2:3], 0, 16
	v_mov_b32_e32 v4, s17
	v_mov_b32_e32 v5, s16
.LBB112_24:                             ; =>This Inner Loop Header: Depth=1
	global_load_dwordx4 v[6:9], v[2:3], off offset:-16
	global_load_dwordx4 v[10:13], v[2:3], off
	v_lshl_add_u64 v[0:1], v[0:1], 0, s[18:19]
	s_waitcnt vmcnt(2)
	v_lshlrev_b64 v[14:15], 2, v[0:1]
	v_cmp_le_i64_e32 vcc, s[20:21], v[14:15]
	s_waitcnt vmcnt(1)
	v_cmp_u_f64_e64 s[0:1], v[6:7], v[6:7]
	v_cmp_gt_f64_e64 s[2:3], s[16:17], v[6:7]
	v_cmp_u_f64_e64 s[4:5], v[8:9], v[8:9]
	v_cmp_gt_f64_e64 s[6:7], s[16:17], v[8:9]
	s_waitcnt vmcnt(0)
	v_cmp_u_f64_e64 s[8:9], v[10:11], v[10:11]
	v_cmp_gt_f64_e64 s[10:11], s[16:17], v[10:11]
	v_cmp_u_f64_e64 s[12:13], v[12:13], v[12:13]
	v_cmp_gt_f64_e64 s[14:15], s[16:17], v[12:13]
	s_or_b64 s[0:1], s[0:1], s[2:3]
	s_or_b64 s[2:3], s[4:5], s[6:7]
	v_cndmask_b32_e64 v7, v4, v7, s[0:1]
	v_cndmask_b32_e64 v9, v4, v9, s[2:3]
	s_or_b64 s[4:5], s[8:9], s[10:11]
	s_or_b64 s[6:7], s[12:13], s[14:15]
	v_cndmask_b32_e64 v6, v5, v6, s[0:1]
	v_cndmask_b32_e64 v8, v5, v8, s[2:3]
	;; [unrolled: 1-line block ×6, first 2 shown]
	s_or_b64 s[24:25], vcc, s[24:25]
	global_store_dwordx4 v[2:3], v[6:9], off offset:-16
	global_store_dwordx4 v[2:3], v[10:13], off
	v_lshl_add_u64 v[2:3], v[2:3], 0, s[22:23]
	s_andn2_b64 exec, exec, s[24:25]
	s_cbranch_execnz .LBB112_24
.LBB112_25:
	s_endpgm
	.section	.rodata,"a",@progbits
	.p2align	6, 0x0
	.amdhsa_kernel _ZN2at6native12_GLOBAL__N_125multi_tensor_apply_kernelINS1_18TensorListMetadataILi1EEENS1_21BinaryOpScalarFunctorIdLi1ELi1ELi0EEEJNS0_7minimumIdEEdEEEvT_T0_DpT1_
		.amdhsa_group_segment_fixed_size 0
		.amdhsa_private_segment_fixed_size 0
		.amdhsa_kernarg_size 3640
		.amdhsa_user_sgpr_count 2
		.amdhsa_user_sgpr_dispatch_ptr 0
		.amdhsa_user_sgpr_queue_ptr 0
		.amdhsa_user_sgpr_kernarg_segment_ptr 1
		.amdhsa_user_sgpr_dispatch_id 0
		.amdhsa_user_sgpr_kernarg_preload_length 0
		.amdhsa_user_sgpr_kernarg_preload_offset 0
		.amdhsa_user_sgpr_private_segment_size 0
		.amdhsa_uses_dynamic_stack 0
		.amdhsa_enable_private_segment 0
		.amdhsa_system_sgpr_workgroup_id_x 1
		.amdhsa_system_sgpr_workgroup_id_y 0
		.amdhsa_system_sgpr_workgroup_id_z 0
		.amdhsa_system_sgpr_workgroup_info 0
		.amdhsa_system_vgpr_workitem_id 0
		.amdhsa_next_free_vgpr 27
		.amdhsa_next_free_sgpr 31
		.amdhsa_accum_offset 28
		.amdhsa_reserve_vcc 1
		.amdhsa_float_round_mode_32 0
		.amdhsa_float_round_mode_16_64 0
		.amdhsa_float_denorm_mode_32 3
		.amdhsa_float_denorm_mode_16_64 3
		.amdhsa_dx10_clamp 1
		.amdhsa_ieee_mode 1
		.amdhsa_fp16_overflow 0
		.amdhsa_tg_split 0
		.amdhsa_exception_fp_ieee_invalid_op 0
		.amdhsa_exception_fp_denorm_src 0
		.amdhsa_exception_fp_ieee_div_zero 0
		.amdhsa_exception_fp_ieee_overflow 0
		.amdhsa_exception_fp_ieee_underflow 0
		.amdhsa_exception_fp_ieee_inexact 0
		.amdhsa_exception_int_div_zero 0
	.end_amdhsa_kernel
	.section	.text._ZN2at6native12_GLOBAL__N_125multi_tensor_apply_kernelINS1_18TensorListMetadataILi1EEENS1_21BinaryOpScalarFunctorIdLi1ELi1ELi0EEEJNS0_7minimumIdEEdEEEvT_T0_DpT1_,"axG",@progbits,_ZN2at6native12_GLOBAL__N_125multi_tensor_apply_kernelINS1_18TensorListMetadataILi1EEENS1_21BinaryOpScalarFunctorIdLi1ELi1ELi0EEEJNS0_7minimumIdEEdEEEvT_T0_DpT1_,comdat
.Lfunc_end112:
	.size	_ZN2at6native12_GLOBAL__N_125multi_tensor_apply_kernelINS1_18TensorListMetadataILi1EEENS1_21BinaryOpScalarFunctorIdLi1ELi1ELi0EEEJNS0_7minimumIdEEdEEEvT_T0_DpT1_, .Lfunc_end112-_ZN2at6native12_GLOBAL__N_125multi_tensor_apply_kernelINS1_18TensorListMetadataILi1EEENS1_21BinaryOpScalarFunctorIdLi1ELi1ELi0EEEJNS0_7minimumIdEEdEEEvT_T0_DpT1_
                                        ; -- End function
	.set _ZN2at6native12_GLOBAL__N_125multi_tensor_apply_kernelINS1_18TensorListMetadataILi1EEENS1_21BinaryOpScalarFunctorIdLi1ELi1ELi0EEEJNS0_7minimumIdEEdEEEvT_T0_DpT1_.num_vgpr, 27
	.set _ZN2at6native12_GLOBAL__N_125multi_tensor_apply_kernelINS1_18TensorListMetadataILi1EEENS1_21BinaryOpScalarFunctorIdLi1ELi1ELi0EEEJNS0_7minimumIdEEdEEEvT_T0_DpT1_.num_agpr, 0
	.set _ZN2at6native12_GLOBAL__N_125multi_tensor_apply_kernelINS1_18TensorListMetadataILi1EEENS1_21BinaryOpScalarFunctorIdLi1ELi1ELi0EEEJNS0_7minimumIdEEdEEEvT_T0_DpT1_.numbered_sgpr, 31
	.set _ZN2at6native12_GLOBAL__N_125multi_tensor_apply_kernelINS1_18TensorListMetadataILi1EEENS1_21BinaryOpScalarFunctorIdLi1ELi1ELi0EEEJNS0_7minimumIdEEdEEEvT_T0_DpT1_.num_named_barrier, 0
	.set _ZN2at6native12_GLOBAL__N_125multi_tensor_apply_kernelINS1_18TensorListMetadataILi1EEENS1_21BinaryOpScalarFunctorIdLi1ELi1ELi0EEEJNS0_7minimumIdEEdEEEvT_T0_DpT1_.private_seg_size, 0
	.set _ZN2at6native12_GLOBAL__N_125multi_tensor_apply_kernelINS1_18TensorListMetadataILi1EEENS1_21BinaryOpScalarFunctorIdLi1ELi1ELi0EEEJNS0_7minimumIdEEdEEEvT_T0_DpT1_.uses_vcc, 1
	.set _ZN2at6native12_GLOBAL__N_125multi_tensor_apply_kernelINS1_18TensorListMetadataILi1EEENS1_21BinaryOpScalarFunctorIdLi1ELi1ELi0EEEJNS0_7minimumIdEEdEEEvT_T0_DpT1_.uses_flat_scratch, 0
	.set _ZN2at6native12_GLOBAL__N_125multi_tensor_apply_kernelINS1_18TensorListMetadataILi1EEENS1_21BinaryOpScalarFunctorIdLi1ELi1ELi0EEEJNS0_7minimumIdEEdEEEvT_T0_DpT1_.has_dyn_sized_stack, 0
	.set _ZN2at6native12_GLOBAL__N_125multi_tensor_apply_kernelINS1_18TensorListMetadataILi1EEENS1_21BinaryOpScalarFunctorIdLi1ELi1ELi0EEEJNS0_7minimumIdEEdEEEvT_T0_DpT1_.has_recursion, 0
	.set _ZN2at6native12_GLOBAL__N_125multi_tensor_apply_kernelINS1_18TensorListMetadataILi1EEENS1_21BinaryOpScalarFunctorIdLi1ELi1ELi0EEEJNS0_7minimumIdEEdEEEvT_T0_DpT1_.has_indirect_call, 0
	.section	.AMDGPU.csdata,"",@progbits
; Kernel info:
; codeLenInByte = 1232
; TotalNumSgprs: 37
; NumVgprs: 27
; NumAgprs: 0
; TotalNumVgprs: 27
; ScratchSize: 0
; MemoryBound: 0
; FloatMode: 240
; IeeeMode: 1
; LDSByteSize: 0 bytes/workgroup (compile time only)
; SGPRBlocks: 4
; VGPRBlocks: 3
; NumSGPRsForWavesPerEU: 37
; NumVGPRsForWavesPerEU: 27
; AccumOffset: 28
; Occupancy: 8
; WaveLimiterHint : 0
; COMPUTE_PGM_RSRC2:SCRATCH_EN: 0
; COMPUTE_PGM_RSRC2:USER_SGPR: 2
; COMPUTE_PGM_RSRC2:TRAP_HANDLER: 0
; COMPUTE_PGM_RSRC2:TGID_X_EN: 1
; COMPUTE_PGM_RSRC2:TGID_Y_EN: 0
; COMPUTE_PGM_RSRC2:TGID_Z_EN: 0
; COMPUTE_PGM_RSRC2:TIDIG_COMP_CNT: 0
; COMPUTE_PGM_RSRC3_GFX90A:ACCUM_OFFSET: 6
; COMPUTE_PGM_RSRC3_GFX90A:TG_SPLIT: 0
	.section	.text._ZN2at6native12_GLOBAL__N_125multi_tensor_apply_kernelINS1_18TensorListMetadataILi1EEENS1_21BinaryOpScalarFunctorIfLi1ELi1ELi0EEEJNS0_7minimumIfEEfEEEvT_T0_DpT1_,"axG",@progbits,_ZN2at6native12_GLOBAL__N_125multi_tensor_apply_kernelINS1_18TensorListMetadataILi1EEENS1_21BinaryOpScalarFunctorIfLi1ELi1ELi0EEEJNS0_7minimumIfEEfEEEvT_T0_DpT1_,comdat
	.globl	_ZN2at6native12_GLOBAL__N_125multi_tensor_apply_kernelINS1_18TensorListMetadataILi1EEENS1_21BinaryOpScalarFunctorIfLi1ELi1ELi0EEEJNS0_7minimumIfEEfEEEvT_T0_DpT1_ ; -- Begin function _ZN2at6native12_GLOBAL__N_125multi_tensor_apply_kernelINS1_18TensorListMetadataILi1EEENS1_21BinaryOpScalarFunctorIfLi1ELi1ELi0EEEJNS0_7minimumIfEEfEEEvT_T0_DpT1_
	.p2align	8
	.type	_ZN2at6native12_GLOBAL__N_125multi_tensor_apply_kernelINS1_18TensorListMetadataILi1EEENS1_21BinaryOpScalarFunctorIfLi1ELi1ELi0EEEJNS0_7minimumIfEEfEEEvT_T0_DpT1_,@function
_ZN2at6native12_GLOBAL__N_125multi_tensor_apply_kernelINS1_18TensorListMetadataILi1EEENS1_21BinaryOpScalarFunctorIfLi1ELi1ELi0EEEJNS0_7minimumIfEEfEEEvT_T0_DpT1_: ; @_ZN2at6native12_GLOBAL__N_125multi_tensor_apply_kernelINS1_18TensorListMetadataILi1EEENS1_21BinaryOpScalarFunctorIfLi1ELi1ELi0EEEJNS0_7minimumIfEEfEEEvT_T0_DpT1_
; %bb.0:
	v_mov_b32_e32 v1, s2
	global_load_ubyte v1, v1, s[0:1] offset:1760
	s_add_u32 s3, s0, s2
	s_mul_hi_u32 s4, s2, 3
	s_mul_i32 s2, s2, 3
	s_addc_u32 s5, s1, 0
	s_add_u32 s2, s3, s2
	s_addc_u32 s3, s5, s4
	s_load_dword s2, s[2:3], 0x820
	s_mov_b32 s7, 0
	s_waitcnt vmcnt(0)
	v_readfirstlane_b32 s3, v1
	s_lshl_b32 s3, s3, 3
	s_load_dword s36, s[0:1], 0xd2c
	s_load_dwordx2 s[4:5], s[0:1], s3 offset:0x370
	s_load_dwordx2 s[34:35], s[0:1], s3 offset:0x0
	s_waitcnt lgkmcnt(0)
	s_ashr_i32 s3, s2, 31
	s_lshl_b64 s[38:39], s[2:3], 18
	s_lshl_b64 s[2:3], s[2:3], 16
	s_and_b32 s6, s34, 15
	s_sub_u32 s10, s4, s2
	s_subb_u32 s11, s5, s3
	s_and_b32 s2, s4, 3
	s_mov_b32 s3, s7
	s_or_b64 s[2:3], s[6:7], s[2:3]
	s_cmp_eq_u64 s[2:3], 0
	s_cbranch_scc1 .LBB113_21
; %bb.1:
	v_cmp_lt_i64_e64 s[2:3], s[10:11], 1
	s_and_b64 vcc, exec, s[2:3]
	s_cbranch_vccnz .LBB113_20
; %bb.2:
	s_load_dword s2, s[0:1], 0xd3c
	v_mov_b64_e32 v[2:3], 0x10000
	v_cmp_lt_i64_e32 vcc, s[10:11], v[2:3]
	s_and_b64 s[4:5], vcc, exec
	s_cselect_b32 s5, s11, 0
	s_cselect_b32 s4, s10, 0x10000
	s_waitcnt lgkmcnt(0)
	s_and_b32 s2, s2, 0xffff
	v_cmp_lt_u64_e32 vcc, s[10:11], v[2:3]
	s_and_b64 s[6:7], vcc, exec
	s_mov_b32 s3, 0
	v_mov_b32_e32 v1, 0
	s_cselect_b32 s13, s11, 0
	s_cselect_b32 s12, s10, 0x10000
	s_lshl_b32 s6, s2, 1
	s_lshl_b32 s24, s2, 2
	s_add_u32 s20, s34, s38
	v_lshl_add_u64 v[8:9], v[0:1], 0, s[2:3]
	s_mov_b32 s7, s3
	s_mul_i32 s8, s2, 3
	s_mov_b32 s9, s3
	v_lshlrev_b32_e32 v2, 2, v0
	v_mov_b32_e32 v3, v1
	s_addc_u32 s21, s35, s39
	v_lshlrev_b32_e32 v10, 2, v8
	v_mov_b32_e32 v11, v1
	v_lshl_add_u64 v[2:3], s[20:21], 0, v[2:3]
	s_lshl_b32 s14, s2, 4
	s_mov_b32 s15, s3
	s_mul_i32 s16, s2, 12
	s_mov_b32 s17, s3
	v_lshl_add_u64 v[4:5], s[8:9], 0, v[0:1]
	s_lshl_b32 s18, s2, 3
	s_mov_b32 s19, s3
	v_lshl_add_u64 v[6:7], s[6:7], 0, v[0:1]
	v_lshl_add_u64 v[10:11], s[20:21], 0, v[10:11]
	s_mov_b64 s[20:21], 0
	v_mov_b64_e32 v[12:13], s[4:5]
	s_branch .LBB113_4
.LBB113_3:                              ;   in Loop: Header=BB113_4 Depth=1
	s_or_b64 exec, exec, s[6:7]
	s_add_u32 s20, s20, s24
	s_addc_u32 s21, s21, 0
	v_cmp_lt_i64_e32 vcc, s[20:21], v[12:13]
	v_lshl_add_u64 v[2:3], v[2:3], 0, s[14:15]
	v_lshl_add_u64 v[10:11], v[10:11], 0, s[14:15]
	s_cbranch_vccz .LBB113_20
.LBB113_4:                              ; =>This Inner Loop Header: Depth=1
	v_lshl_add_u64 v[14:15], v[0:1], 0, s[20:21]
	v_cmp_gt_u64_e64 s[6:7], s[12:13], v[14:15]
	s_waitcnt vmcnt(0)
	v_mov_b32_e32 v20, 0
	s_and_saveexec_b64 s[2:3], s[6:7]
	s_cbranch_execz .LBB113_6
; %bb.5:                                ;   in Loop: Header=BB113_4 Depth=1
	global_load_dword v20, v[2:3], off
.LBB113_6:                              ;   in Loop: Header=BB113_4 Depth=1
	s_or_b64 exec, exec, s[2:3]
	v_lshl_add_u64 v[14:15], v[8:9], 0, s[20:21]
	v_cmp_gt_u64_e32 vcc, s[12:13], v[14:15]
	v_mov_b32_e32 v18, 0
	v_mov_b32_e32 v21, 0
	s_and_saveexec_b64 s[2:3], vcc
	s_cbranch_execz .LBB113_8
; %bb.7:                                ;   in Loop: Header=BB113_4 Depth=1
	global_load_dword v21, v[10:11], off
.LBB113_8:                              ;   in Loop: Header=BB113_4 Depth=1
	s_or_b64 exec, exec, s[2:3]
	v_lshl_add_u64 v[14:15], v[6:7], 0, s[20:21]
	v_cmp_gt_u64_e64 s[2:3], s[12:13], v[14:15]
	v_lshl_add_u64 v[14:15], v[2:3], 0, s[18:19]
	s_and_saveexec_b64 s[4:5], s[2:3]
	s_cbranch_execz .LBB113_10
; %bb.9:                                ;   in Loop: Header=BB113_4 Depth=1
	global_load_dword v18, v[14:15], off
.LBB113_10:                             ;   in Loop: Header=BB113_4 Depth=1
	s_or_b64 exec, exec, s[4:5]
	v_lshl_add_u64 v[16:17], v[4:5], 0, s[20:21]
	v_cmp_gt_u64_e64 s[4:5], s[12:13], v[16:17]
	v_mov_b32_e32 v19, 0
	v_lshl_add_u64 v[16:17], v[2:3], 0, s[16:17]
	s_and_saveexec_b64 s[8:9], s[4:5]
	s_cbranch_execnz .LBB113_15
; %bb.11:                               ;   in Loop: Header=BB113_4 Depth=1
	s_or_b64 exec, exec, s[8:9]
	s_and_saveexec_b64 s[22:23], s[6:7]
	s_cbranch_execnz .LBB113_16
.LBB113_12:                             ;   in Loop: Header=BB113_4 Depth=1
	s_or_b64 exec, exec, s[22:23]
	s_and_saveexec_b64 s[8:9], vcc
	s_cbranch_execnz .LBB113_17
.LBB113_13:                             ;   in Loop: Header=BB113_4 Depth=1
	s_or_b64 exec, exec, s[8:9]
	s_and_saveexec_b64 s[6:7], s[2:3]
	s_cbranch_execnz .LBB113_18
.LBB113_14:                             ;   in Loop: Header=BB113_4 Depth=1
	s_or_b64 exec, exec, s[6:7]
	s_and_saveexec_b64 s[6:7], s[4:5]
	s_cbranch_execz .LBB113_3
	s_branch .LBB113_19
.LBB113_15:                             ;   in Loop: Header=BB113_4 Depth=1
	global_load_dword v19, v[16:17], off
	s_or_b64 exec, exec, s[8:9]
	s_and_saveexec_b64 s[22:23], s[6:7]
	s_cbranch_execz .LBB113_12
.LBB113_16:                             ;   in Loop: Header=BB113_4 Depth=1
	s_waitcnt vmcnt(0)
	v_cmp_u_f32_e64 s[6:7], v20, v20
	v_cmp_gt_f32_e64 s[8:9], s36, v20
	v_mov_b32_e32 v22, s36
	s_or_b64 s[6:7], s[6:7], s[8:9]
	v_cndmask_b32_e64 v20, v22, v20, s[6:7]
	global_store_dword v[2:3], v20, off
	s_or_b64 exec, exec, s[22:23]
	s_and_saveexec_b64 s[8:9], vcc
	s_cbranch_execz .LBB113_13
.LBB113_17:                             ;   in Loop: Header=BB113_4 Depth=1
	s_waitcnt vmcnt(0)
	v_cmp_u_f32_e32 vcc, v21, v21
	v_cmp_gt_f32_e64 s[6:7], s36, v21
	v_mov_b32_e32 v20, s36
	s_or_b64 vcc, vcc, s[6:7]
	v_cndmask_b32_e32 v20, v20, v21, vcc
	global_store_dword v[10:11], v20, off
	s_or_b64 exec, exec, s[8:9]
	s_and_saveexec_b64 s[6:7], s[2:3]
	s_cbranch_execz .LBB113_14
.LBB113_18:                             ;   in Loop: Header=BB113_4 Depth=1
	s_waitcnt vmcnt(0)
	v_cmp_u_f32_e32 vcc, v18, v18
	v_cmp_gt_f32_e64 s[2:3], s36, v18
	v_mov_b32_e32 v20, s36
	s_or_b64 vcc, vcc, s[2:3]
	v_cndmask_b32_e32 v18, v20, v18, vcc
	global_store_dword v[14:15], v18, off
	s_or_b64 exec, exec, s[6:7]
	s_and_saveexec_b64 s[6:7], s[4:5]
	s_cbranch_execz .LBB113_3
.LBB113_19:                             ;   in Loop: Header=BB113_4 Depth=1
	s_waitcnt vmcnt(0)
	v_cmp_u_f32_e32 vcc, v19, v19
	v_cmp_gt_f32_e64 s[2:3], s36, v19
	v_mov_b32_e32 v14, s36
	s_or_b64 vcc, vcc, s[2:3]
	v_cndmask_b32_e32 v14, v14, v19, vcc
	global_store_dword v[16:17], v14, off
	s_branch .LBB113_3
.LBB113_20:
	s_cbranch_execz .LBB113_22
	s_branch .LBB113_32
.LBB113_21:
.LBB113_22:
	v_mov_b64_e32 v[4:5], 0x10000
	v_cmp_lt_i64_e32 vcc, s[10:11], v[4:5]
	s_and_b64 s[4:5], vcc, exec
	v_mov_b32_e32 v3, 0
	s_cselect_b32 s41, s11, 0
	s_cselect_b32 s40, s10, 0x10000
	v_lshlrev_b32_e32 v2, 2, v0
	s_mov_b32 s2, 0
	v_cmp_gt_i64_e32 vcc, s[40:41], v[2:3]
	s_and_saveexec_b64 s[4:5], vcc
	s_cbranch_execz .LBB113_32
; %bb.23:
	v_add_u32_e32 v4, 4, v2
	v_mov_b32_e32 v5, v3
	v_mov_b32_e32 v6, s41
	v_cmp_gt_i64_e32 vcc, s[40:41], v[4:5]
	s_load_dword s0, s[0:1], 0xd3c
	v_mov_b32_e32 v1, v3
	v_cndmask_b32_e32 v5, 0, v6, vcc
	v_mov_b32_e32 v6, s40
	v_cndmask_b32_e32 v4, v4, v6, vcc
	v_lshl_add_u64 v[4:5], v[4:5], 0, -4
	v_cmp_ne_u64_e32 vcc, v[4:5], v[2:3]
	s_waitcnt lgkmcnt(0)
	s_and_b32 s42, s0, 0xffff
	v_mov_b32_e32 v7, s2
	v_cndmask_b32_e64 v6, 0, 1, vcc
	v_or_b32_e32 v2, v2, v6
	v_sub_co_u32_e32 v2, vcc, v4, v2
	s_cmp_lg_u32 s42, 1
	s_nop 0
	v_subbrev_co_u32_e32 v3, vcc, 0, v5, vcc
	v_lshrrev_b64 v[2:3], 2, v[2:3]
	v_lshl_add_u64 v[4:5], v[2:3], 0, v[6:7]
	v_cmp_eq_u64_e32 vcc, 0, v[4:5]
	s_cselect_b64 s[0:1], -1, 0
	s_mov_b64 s[44:45], 0
	s_or_b64 s[0:1], vcc, s[0:1]
	s_and_saveexec_b64 s[2:3], s[0:1]
	s_xor_b64 s[0:1], exec, s[2:3]
	s_cbranch_execnz .LBB113_26
; %bb.24:
	s_or_saveexec_b64 s[46:47], s[0:1]
	v_mov_b64_e32 v[2:3], s[36:37]
	s_xor_b64 exec, exec, s[46:47]
	s_cbranch_execnz .LBB113_27
.LBB113_25:
	s_or_b64 exec, exec, s[46:47]
	s_and_b64 exec, exec, s[44:45]
	s_cbranch_execnz .LBB113_30
	s_branch .LBB113_32
.LBB113_26:
	s_mov_b64 s[44:45], exec
                                        ; implicit-def: $vgpr4_vgpr5
	s_or_saveexec_b64 s[46:47], s[0:1]
	v_mov_b64_e32 v[2:3], s[36:37]
	s_xor_b64 exec, exec, s[46:47]
	s_cbranch_execz .LBB113_25
.LBB113_27:
	s_add_u32 s0, s34, s38
	v_lshl_add_u64 v[2:3], v[4:5], 0, 1
	v_lshlrev_b32_e32 v6, 4, v0
	v_mov_b32_e32 v7, 0
	s_addc_u32 s1, s35, s39
	v_and_b32_e32 v4, -2, v2
	v_mov_b32_e32 v5, v3
	v_lshl_add_u64 v[6:7], s[0:1], 0, v[6:7]
	s_mov_b32 s33, s36
	v_lshl_add_u64 v[6:7], v[6:7], 0, 28
	s_mov_b64 s[48:49], 0
	v_mov_b32_e32 v10, s36
	v_mov_b32_e32 v11, s36
	v_mov_b64_e32 v[8:9], v[4:5]
.LBB113_28:                             ; =>This Inner Loop Header: Depth=1
	global_load_dwordx4 v[12:15], v[6:7], off offset:-12
	global_load_dwordx4 v[16:19], v[6:7], off offset:-28
	v_lshl_add_u64 v[8:9], v[8:9], 0, -2
	v_cmp_eq_u64_e32 vcc, 0, v[8:9]
	s_waitcnt vmcnt(1)
	v_cmp_u_f32_e64 s[0:1], v12, v12
	v_cmp_gt_f32_e64 s[4:5], s33, v12
	s_waitcnt vmcnt(0)
	v_cmp_u_f32_e64 s[2:3], v16, v16
	v_cmp_gt_f32_e64 s[6:7], s36, v16
	s_or_b64 s[0:1], s[0:1], s[4:5]
	v_cmp_u_f32_e64 s[8:9], v13, v13
	v_cmp_gt_f32_e64 s[12:13], s33, v13
	v_cndmask_b32_e64 v12, v10, v12, s[0:1]
	s_or_b64 s[0:1], s[2:3], s[6:7]
	v_cmp_u_f32_e64 s[10:11], v17, v17
	v_cmp_gt_f32_e64 s[14:15], s36, v17
	v_cndmask_b32_e64 v16, v11, v16, s[0:1]
	;; [unrolled: 4-line block ×6, first 2 shown]
	s_or_b64 s[0:1], s[24:25], s[28:29]
	v_cndmask_b32_e64 v15, v10, v15, s[0:1]
	s_or_b64 s[0:1], s[26:27], s[30:31]
	v_cndmask_b32_e64 v19, v11, v19, s[0:1]
	global_store_dwordx4 v[6:7], v[16:19], off offset:-28
	global_store_dwordx4 v[6:7], v[12:15], off offset:-12
	s_or_b64 s[48:49], vcc, s[48:49]
	v_lshl_add_u64 v[6:7], v[6:7], 0, 32
	s_andn2_b64 exec, exec, s[48:49]
	s_cbranch_execnz .LBB113_28
; %bb.29:
	s_or_b64 exec, exec, s[48:49]
	v_cmp_ne_u64_e32 vcc, v[2:3], v[4:5]
	s_andn2_b64 s[0:1], s[44:45], exec
	s_and_b64 s[2:3], vcc, exec
	v_lshl_add_u64 v[0:1], v[4:5], 0, v[0:1]
	v_mov_b64_e32 v[2:3], s[36:37]
	s_or_b64 s[44:45], s[0:1], s[2:3]
	s_or_b64 exec, exec, s[46:47]
	s_and_b64 exec, exec, s[44:45]
	s_cbranch_execz .LBB113_32
.LBB113_30:
	s_add_u32 s0, s34, s38
	s_addc_u32 s1, s35, s39
	s_mov_b32 s43, 0
	v_lshl_add_u64 v[4:5], v[0:1], 4, s[0:1]
	v_mov_b32_e32 v3, s36
	v_lshl_add_u64 v[4:5], v[4:5], 0, 8
	s_lshl_b32 s16, s42, 4
	s_mov_b32 s17, s43
	s_mov_b64 s[18:19], 0
.LBB113_31:                             ; =>This Inner Loop Header: Depth=1
	global_load_dwordx4 v[6:9], v[4:5], off offset:-8
	v_lshl_add_u64 v[0:1], v[0:1], 0, s[42:43]
	v_lshlrev_b64 v[10:11], 2, v[0:1]
	v_cmp_le_i64_e32 vcc, s[40:41], v[10:11]
	s_waitcnt vmcnt(0)
	v_cmp_u_f32_e64 s[0:1], v7, v7
	v_cmp_lt_f32_e64 s[4:5], v7, v3
	v_cmp_u_f32_e64 s[2:3], v6, v6
	v_cmp_lt_f32_e64 s[6:7], v6, v2
	s_or_b64 s[0:1], s[0:1], s[4:5]
	v_cmp_u_f32_e64 s[8:9], v9, v9
	v_cmp_lt_f32_e64 s[12:13], v9, v3
	v_cndmask_b32_e64 v7, v3, v7, s[0:1]
	s_or_b64 s[0:1], s[2:3], s[6:7]
	v_cmp_u_f32_e64 s[10:11], v8, v8
	v_cmp_lt_f32_e64 s[14:15], v8, v2
	v_cndmask_b32_e64 v6, v2, v6, s[0:1]
	s_or_b64 s[0:1], s[8:9], s[12:13]
	v_cndmask_b32_e64 v9, v3, v9, s[0:1]
	s_or_b64 s[0:1], s[10:11], s[14:15]
	v_cndmask_b32_e64 v8, v2, v8, s[0:1]
	global_store_dwordx4 v[4:5], v[6:9], off offset:-8
	s_or_b64 s[18:19], vcc, s[18:19]
	v_lshl_add_u64 v[4:5], v[4:5], 0, s[16:17]
	s_andn2_b64 exec, exec, s[18:19]
	s_cbranch_execnz .LBB113_31
.LBB113_32:
	s_endpgm
	.section	.rodata,"a",@progbits
	.p2align	6, 0x0
	.amdhsa_kernel _ZN2at6native12_GLOBAL__N_125multi_tensor_apply_kernelINS1_18TensorListMetadataILi1EEENS1_21BinaryOpScalarFunctorIfLi1ELi1ELi0EEEJNS0_7minimumIfEEfEEEvT_T0_DpT1_
		.amdhsa_group_segment_fixed_size 0
		.amdhsa_private_segment_fixed_size 0
		.amdhsa_kernarg_size 3632
		.amdhsa_user_sgpr_count 2
		.amdhsa_user_sgpr_dispatch_ptr 0
		.amdhsa_user_sgpr_queue_ptr 0
		.amdhsa_user_sgpr_kernarg_segment_ptr 1
		.amdhsa_user_sgpr_dispatch_id 0
		.amdhsa_user_sgpr_kernarg_preload_length 0
		.amdhsa_user_sgpr_kernarg_preload_offset 0
		.amdhsa_user_sgpr_private_segment_size 0
		.amdhsa_uses_dynamic_stack 0
		.amdhsa_enable_private_segment 0
		.amdhsa_system_sgpr_workgroup_id_x 1
		.amdhsa_system_sgpr_workgroup_id_y 0
		.amdhsa_system_sgpr_workgroup_id_z 0
		.amdhsa_system_sgpr_workgroup_info 0
		.amdhsa_system_vgpr_workitem_id 0
		.amdhsa_next_free_vgpr 23
		.amdhsa_next_free_sgpr 50
		.amdhsa_accum_offset 24
		.amdhsa_reserve_vcc 1
		.amdhsa_float_round_mode_32 0
		.amdhsa_float_round_mode_16_64 0
		.amdhsa_float_denorm_mode_32 3
		.amdhsa_float_denorm_mode_16_64 3
		.amdhsa_dx10_clamp 1
		.amdhsa_ieee_mode 1
		.amdhsa_fp16_overflow 0
		.amdhsa_tg_split 0
		.amdhsa_exception_fp_ieee_invalid_op 0
		.amdhsa_exception_fp_denorm_src 0
		.amdhsa_exception_fp_ieee_div_zero 0
		.amdhsa_exception_fp_ieee_overflow 0
		.amdhsa_exception_fp_ieee_underflow 0
		.amdhsa_exception_fp_ieee_inexact 0
		.amdhsa_exception_int_div_zero 0
	.end_amdhsa_kernel
	.section	.text._ZN2at6native12_GLOBAL__N_125multi_tensor_apply_kernelINS1_18TensorListMetadataILi1EEENS1_21BinaryOpScalarFunctorIfLi1ELi1ELi0EEEJNS0_7minimumIfEEfEEEvT_T0_DpT1_,"axG",@progbits,_ZN2at6native12_GLOBAL__N_125multi_tensor_apply_kernelINS1_18TensorListMetadataILi1EEENS1_21BinaryOpScalarFunctorIfLi1ELi1ELi0EEEJNS0_7minimumIfEEfEEEvT_T0_DpT1_,comdat
.Lfunc_end113:
	.size	_ZN2at6native12_GLOBAL__N_125multi_tensor_apply_kernelINS1_18TensorListMetadataILi1EEENS1_21BinaryOpScalarFunctorIfLi1ELi1ELi0EEEJNS0_7minimumIfEEfEEEvT_T0_DpT1_, .Lfunc_end113-_ZN2at6native12_GLOBAL__N_125multi_tensor_apply_kernelINS1_18TensorListMetadataILi1EEENS1_21BinaryOpScalarFunctorIfLi1ELi1ELi0EEEJNS0_7minimumIfEEfEEEvT_T0_DpT1_
                                        ; -- End function
	.set _ZN2at6native12_GLOBAL__N_125multi_tensor_apply_kernelINS1_18TensorListMetadataILi1EEENS1_21BinaryOpScalarFunctorIfLi1ELi1ELi0EEEJNS0_7minimumIfEEfEEEvT_T0_DpT1_.num_vgpr, 23
	.set _ZN2at6native12_GLOBAL__N_125multi_tensor_apply_kernelINS1_18TensorListMetadataILi1EEENS1_21BinaryOpScalarFunctorIfLi1ELi1ELi0EEEJNS0_7minimumIfEEfEEEvT_T0_DpT1_.num_agpr, 0
	.set _ZN2at6native12_GLOBAL__N_125multi_tensor_apply_kernelINS1_18TensorListMetadataILi1EEENS1_21BinaryOpScalarFunctorIfLi1ELi1ELi0EEEJNS0_7minimumIfEEfEEEvT_T0_DpT1_.numbered_sgpr, 50
	.set _ZN2at6native12_GLOBAL__N_125multi_tensor_apply_kernelINS1_18TensorListMetadataILi1EEENS1_21BinaryOpScalarFunctorIfLi1ELi1ELi0EEEJNS0_7minimumIfEEfEEEvT_T0_DpT1_.num_named_barrier, 0
	.set _ZN2at6native12_GLOBAL__N_125multi_tensor_apply_kernelINS1_18TensorListMetadataILi1EEENS1_21BinaryOpScalarFunctorIfLi1ELi1ELi0EEEJNS0_7minimumIfEEfEEEvT_T0_DpT1_.private_seg_size, 0
	.set _ZN2at6native12_GLOBAL__N_125multi_tensor_apply_kernelINS1_18TensorListMetadataILi1EEENS1_21BinaryOpScalarFunctorIfLi1ELi1ELi0EEEJNS0_7minimumIfEEfEEEvT_T0_DpT1_.uses_vcc, 1
	.set _ZN2at6native12_GLOBAL__N_125multi_tensor_apply_kernelINS1_18TensorListMetadataILi1EEENS1_21BinaryOpScalarFunctorIfLi1ELi1ELi0EEEJNS0_7minimumIfEEfEEEvT_T0_DpT1_.uses_flat_scratch, 0
	.set _ZN2at6native12_GLOBAL__N_125multi_tensor_apply_kernelINS1_18TensorListMetadataILi1EEENS1_21BinaryOpScalarFunctorIfLi1ELi1ELi0EEEJNS0_7minimumIfEEfEEEvT_T0_DpT1_.has_dyn_sized_stack, 0
	.set _ZN2at6native12_GLOBAL__N_125multi_tensor_apply_kernelINS1_18TensorListMetadataILi1EEENS1_21BinaryOpScalarFunctorIfLi1ELi1ELi0EEEJNS0_7minimumIfEEfEEEvT_T0_DpT1_.has_recursion, 0
	.set _ZN2at6native12_GLOBAL__N_125multi_tensor_apply_kernelINS1_18TensorListMetadataILi1EEENS1_21BinaryOpScalarFunctorIfLi1ELi1ELi0EEEJNS0_7minimumIfEEfEEEvT_T0_DpT1_.has_indirect_call, 0
	.section	.AMDGPU.csdata,"",@progbits
; Kernel info:
; codeLenInByte = 1688
; TotalNumSgprs: 56
; NumVgprs: 23
; NumAgprs: 0
; TotalNumVgprs: 23
; ScratchSize: 0
; MemoryBound: 0
; FloatMode: 240
; IeeeMode: 1
; LDSByteSize: 0 bytes/workgroup (compile time only)
; SGPRBlocks: 6
; VGPRBlocks: 2
; NumSGPRsForWavesPerEU: 56
; NumVGPRsForWavesPerEU: 23
; AccumOffset: 24
; Occupancy: 8
; WaveLimiterHint : 0
; COMPUTE_PGM_RSRC2:SCRATCH_EN: 0
; COMPUTE_PGM_RSRC2:USER_SGPR: 2
; COMPUTE_PGM_RSRC2:TRAP_HANDLER: 0
; COMPUTE_PGM_RSRC2:TGID_X_EN: 1
; COMPUTE_PGM_RSRC2:TGID_Y_EN: 0
; COMPUTE_PGM_RSRC2:TGID_Z_EN: 0
; COMPUTE_PGM_RSRC2:TIDIG_COMP_CNT: 0
; COMPUTE_PGM_RSRC3_GFX90A:ACCUM_OFFSET: 5
; COMPUTE_PGM_RSRC3_GFX90A:TG_SPLIT: 0
	.section	.text._ZN2at6native12_GLOBAL__N_125multi_tensor_apply_kernelINS1_18TensorListMetadataILi1EEENS1_21BinaryOpScalarFunctorIN3c104HalfELi1ELi1ELi0EEEJNS0_7minimumIfEEfEEEvT_T0_DpT1_,"axG",@progbits,_ZN2at6native12_GLOBAL__N_125multi_tensor_apply_kernelINS1_18TensorListMetadataILi1EEENS1_21BinaryOpScalarFunctorIN3c104HalfELi1ELi1ELi0EEEJNS0_7minimumIfEEfEEEvT_T0_DpT1_,comdat
	.globl	_ZN2at6native12_GLOBAL__N_125multi_tensor_apply_kernelINS1_18TensorListMetadataILi1EEENS1_21BinaryOpScalarFunctorIN3c104HalfELi1ELi1ELi0EEEJNS0_7minimumIfEEfEEEvT_T0_DpT1_ ; -- Begin function _ZN2at6native12_GLOBAL__N_125multi_tensor_apply_kernelINS1_18TensorListMetadataILi1EEENS1_21BinaryOpScalarFunctorIN3c104HalfELi1ELi1ELi0EEEJNS0_7minimumIfEEfEEEvT_T0_DpT1_
	.p2align	8
	.type	_ZN2at6native12_GLOBAL__N_125multi_tensor_apply_kernelINS1_18TensorListMetadataILi1EEENS1_21BinaryOpScalarFunctorIN3c104HalfELi1ELi1ELi0EEEJNS0_7minimumIfEEfEEEvT_T0_DpT1_,@function
_ZN2at6native12_GLOBAL__N_125multi_tensor_apply_kernelINS1_18TensorListMetadataILi1EEENS1_21BinaryOpScalarFunctorIN3c104HalfELi1ELi1ELi0EEEJNS0_7minimumIfEEfEEEvT_T0_DpT1_: ; @_ZN2at6native12_GLOBAL__N_125multi_tensor_apply_kernelINS1_18TensorListMetadataILi1EEENS1_21BinaryOpScalarFunctorIN3c104HalfELi1ELi1ELi0EEEJNS0_7minimumIfEEfEEEvT_T0_DpT1_
; %bb.0:
	v_mov_b32_e32 v1, s2
	global_load_ubyte v1, v1, s[0:1] offset:1760
	s_add_u32 s3, s0, s2
	s_mul_hi_u32 s4, s2, 3
	s_mul_i32 s2, s2, 3
	s_addc_u32 s5, s1, 0
	s_add_u32 s2, s3, s2
	s_addc_u32 s3, s5, s4
	s_load_dword s2, s[2:3], 0x820
	s_mov_b32 s7, 0
	s_waitcnt vmcnt(0)
	v_readfirstlane_b32 s3, v1
	s_lshl_b32 s3, s3, 3
	s_load_dword s28, s[0:1], 0xd2c
	s_load_dwordx2 s[4:5], s[0:1], s3 offset:0x370
	s_load_dwordx2 s[10:11], s[0:1], s3 offset:0x0
	s_waitcnt lgkmcnt(0)
	s_ashr_i32 s3, s2, 31
	s_lshl_b64 s[12:13], s[2:3], 17
	s_lshl_b64 s[2:3], s[2:3], 16
	s_and_b32 s6, s10, 7
	s_sub_u32 s14, s4, s2
	s_subb_u32 s15, s5, s3
	s_and_b32 s2, s4, 3
	s_mov_b32 s3, s7
	s_or_b64 s[2:3], s[6:7], s[2:3]
	s_cmp_eq_u64 s[2:3], 0
	s_cbranch_scc1 .LBB114_21
; %bb.1:
	v_cmp_lt_i64_e64 s[2:3], s[14:15], 1
	s_and_b64 vcc, exec, s[2:3]
	s_cbranch_vccnz .LBB114_20
; %bb.2:
	s_load_dword s2, s[0:1], 0xd3c
	v_mov_b64_e32 v[2:3], 0x10000
	v_cmp_lt_i64_e32 vcc, s[14:15], v[2:3]
	s_and_b64 s[4:5], vcc, exec
	s_cselect_b32 s5, s15, 0
	s_cselect_b32 s4, s14, 0x10000
	s_waitcnt lgkmcnt(0)
	s_and_b32 s2, s2, 0xffff
	v_cmp_lt_u64_e32 vcc, s[14:15], v[2:3]
	s_and_b64 s[6:7], vcc, exec
	s_mov_b32 s3, 0
	v_mov_b32_e32 v1, 0
	s_cselect_b32 s17, s15, 0
	s_cselect_b32 s16, s14, 0x10000
	s_lshl_b32 s6, s2, 1
	v_cvt_f16_f32_e32 v18, s28
	s_lshl_b32 s18, s2, 2
	s_add_u32 s24, s10, s12
	v_lshl_add_u64 v[8:9], v[0:1], 0, s[2:3]
	s_mov_b32 s7, s3
	s_mul_i32 s8, s2, 3
	s_mov_b32 s9, s3
	v_lshlrev_b32_e32 v2, 1, v0
	v_mov_b32_e32 v3, v1
	s_addc_u32 s25, s11, s13
	v_lshlrev_b32_e32 v10, 1, v8
	v_mov_b32_e32 v11, v1
	s_mov_b32 s19, s3
	v_lshl_add_u64 v[2:3], s[24:25], 0, v[2:3]
	s_lshl_b32 s20, s2, 3
	s_mov_b32 s21, s3
	s_mul_i32 s22, s2, 6
	s_mov_b32 s23, s3
	v_lshl_add_u64 v[4:5], s[8:9], 0, v[0:1]
	v_lshl_add_u64 v[6:7], s[6:7], 0, v[0:1]
	;; [unrolled: 1-line block ×3, first 2 shown]
	s_mov_b64 s[24:25], 0
	v_mov_b64_e32 v[12:13], s[4:5]
	s_branch .LBB114_4
.LBB114_3:                              ;   in Loop: Header=BB114_4 Depth=1
	s_or_b64 exec, exec, s[4:5]
	s_add_u32 s24, s24, s18
	s_addc_u32 s25, s25, 0
	v_cmp_lt_i64_e32 vcc, s[24:25], v[12:13]
	v_lshl_add_u64 v[2:3], v[2:3], 0, s[20:21]
	v_lshl_add_u64 v[10:11], v[10:11], 0, s[20:21]
	s_cbranch_vccz .LBB114_20
.LBB114_4:                              ; =>This Inner Loop Header: Depth=1
	v_lshl_add_u64 v[14:15], v[0:1], 0, s[24:25]
	v_cmp_gt_u64_e64 s[2:3], s[16:17], v[14:15]
	s_waitcnt vmcnt(0)
	v_mov_b32_e32 v20, 0
	s_and_saveexec_b64 s[4:5], s[2:3]
	s_cbranch_execz .LBB114_6
; %bb.5:                                ;   in Loop: Header=BB114_4 Depth=1
	global_load_ushort v20, v[2:3], off
.LBB114_6:                              ;   in Loop: Header=BB114_4 Depth=1
	s_or_b64 exec, exec, s[4:5]
	v_lshl_add_u64 v[14:15], v[8:9], 0, s[24:25]
	v_cmp_gt_u64_e32 vcc, s[16:17], v[14:15]
	v_mov_b32_e32 v19, 0
	v_mov_b32_e32 v21, 0
	s_and_saveexec_b64 s[4:5], vcc
	s_cbranch_execz .LBB114_8
; %bb.7:                                ;   in Loop: Header=BB114_4 Depth=1
	global_load_ushort v21, v[10:11], off
.LBB114_8:                              ;   in Loop: Header=BB114_4 Depth=1
	s_or_b64 exec, exec, s[4:5]
	v_lshl_add_u64 v[14:15], v[6:7], 0, s[24:25]
	v_cmp_gt_u64_e64 s[4:5], s[16:17], v[14:15]
	v_lshl_add_u64 v[14:15], v[2:3], 0, s[18:19]
	s_and_saveexec_b64 s[6:7], s[4:5]
	s_cbranch_execz .LBB114_10
; %bb.9:                                ;   in Loop: Header=BB114_4 Depth=1
	global_load_ushort v19, v[14:15], off
.LBB114_10:                             ;   in Loop: Header=BB114_4 Depth=1
	s_or_b64 exec, exec, s[6:7]
	v_lshl_add_u64 v[16:17], v[4:5], 0, s[24:25]
	v_cmp_gt_u64_e64 s[6:7], s[16:17], v[16:17]
	v_mov_b32_e32 v22, 0
	v_lshl_add_u64 v[16:17], v[2:3], 0, s[22:23]
	s_and_saveexec_b64 s[8:9], s[6:7]
	s_cbranch_execnz .LBB114_15
; %bb.11:                               ;   in Loop: Header=BB114_4 Depth=1
	s_or_b64 exec, exec, s[8:9]
	s_and_saveexec_b64 s[26:27], s[2:3]
	s_cbranch_execnz .LBB114_16
.LBB114_12:                             ;   in Loop: Header=BB114_4 Depth=1
	s_or_b64 exec, exec, s[26:27]
	s_and_saveexec_b64 s[8:9], vcc
	s_cbranch_execnz .LBB114_17
.LBB114_13:                             ;   in Loop: Header=BB114_4 Depth=1
	s_or_b64 exec, exec, s[8:9]
	s_and_saveexec_b64 s[8:9], s[4:5]
	s_cbranch_execnz .LBB114_18
.LBB114_14:                             ;   in Loop: Header=BB114_4 Depth=1
	s_or_b64 exec, exec, s[8:9]
	s_and_saveexec_b64 s[4:5], s[6:7]
	s_cbranch_execz .LBB114_3
	s_branch .LBB114_19
.LBB114_15:                             ;   in Loop: Header=BB114_4 Depth=1
	global_load_ushort v22, v[16:17], off
	s_or_b64 exec, exec, s[8:9]
	s_and_saveexec_b64 s[26:27], s[2:3]
	s_cbranch_execz .LBB114_12
.LBB114_16:                             ;   in Loop: Header=BB114_4 Depth=1
	s_waitcnt vmcnt(0)
	v_cvt_f32_f16_e32 v23, v20
	v_cmp_u_f16_e64 s[2:3], v20, v20
	v_cmp_gt_f32_e64 s[8:9], s28, v23
	s_or_b64 s[2:3], s[2:3], s[8:9]
	v_cndmask_b32_e64 v20, v18, v20, s[2:3]
	global_store_short v[2:3], v20, off
	s_or_b64 exec, exec, s[26:27]
	s_and_saveexec_b64 s[8:9], vcc
	s_cbranch_execz .LBB114_13
.LBB114_17:                             ;   in Loop: Header=BB114_4 Depth=1
	s_waitcnt vmcnt(0)
	v_cvt_f32_f16_e32 v20, v21
	v_cmp_u_f16_e32 vcc, v21, v21
	v_cmp_gt_f32_e64 s[2:3], s28, v20
	s_or_b64 vcc, vcc, s[2:3]
	v_cndmask_b32_e32 v20, v18, v21, vcc
	global_store_short v[10:11], v20, off
	s_or_b64 exec, exec, s[8:9]
	s_and_saveexec_b64 s[8:9], s[4:5]
	s_cbranch_execz .LBB114_14
.LBB114_18:                             ;   in Loop: Header=BB114_4 Depth=1
	s_waitcnt vmcnt(0)
	v_cvt_f32_f16_e32 v20, v19
	v_cmp_u_f16_e32 vcc, v19, v19
	v_cmp_gt_f32_e64 s[2:3], s28, v20
	s_or_b64 vcc, vcc, s[2:3]
	v_cndmask_b32_e32 v19, v18, v19, vcc
	global_store_short v[14:15], v19, off
	s_or_b64 exec, exec, s[8:9]
	s_and_saveexec_b64 s[4:5], s[6:7]
	s_cbranch_execz .LBB114_3
.LBB114_19:                             ;   in Loop: Header=BB114_4 Depth=1
	s_waitcnt vmcnt(0)
	v_cvt_f32_f16_e32 v14, v22
	v_cmp_u_f16_e32 vcc, v22, v22
	v_cmp_gt_f32_e64 s[2:3], s28, v14
	s_or_b64 vcc, vcc, s[2:3]
	v_cndmask_b32_e32 v14, v18, v22, vcc
	global_store_short v[16:17], v14, off
	s_branch .LBB114_3
.LBB114_20:
	s_cbranch_execz .LBB114_22
	s_branch .LBB114_25
.LBB114_21:
.LBB114_22:
	v_mov_b64_e32 v[4:5], 0x10000
	v_cmp_lt_i64_e32 vcc, s[14:15], v[4:5]
	s_and_b64 s[2:3], vcc, exec
	v_mov_b32_e32 v3, 0
	s_cselect_b32 s19, s15, 0
	s_cselect_b32 s18, s14, 0x10000
	v_lshlrev_b32_e32 v2, 2, v0
	s_mov_b32 s17, 0
	v_cmp_gt_i64_e32 vcc, s[18:19], v[2:3]
	s_and_saveexec_b64 s[2:3], vcc
	s_cbranch_execz .LBB114_25
; %bb.23:
	s_load_dword s0, s[0:1], 0xd3c
	v_cvt_f16_f32_e32 v2, s28
	v_mov_b32_e32 v1, v3
	s_mov_b32 s24, s28
	s_mov_b32 s25, s28
	s_waitcnt lgkmcnt(0)
	s_and_b32 s16, s0, 0xffff
	s_add_u32 s0, s10, s12
	v_lshl_or_b32 v4, v2, 16, v2
	v_lshlrev_b32_e32 v2, 3, v0
	s_addc_u32 s1, s11, s13
	s_mov_b32 s26, s28
	v_lshl_add_u64 v[2:3], s[0:1], 0, v[2:3]
	s_lshl_b32 s20, s16, 3
	s_mov_b32 s21, s17
	s_mov_b64 s[22:23], 0
	v_lshrrev_b32_e32 v5, 16, v4
	s_mov_b32 s27, 0x5040100
.LBB114_24:                             ; =>This Inner Loop Header: Depth=1
	global_load_dwordx2 v[6:7], v[2:3], off
	v_lshl_add_u64 v[0:1], v[0:1], 0, s[16:17]
	v_lshlrev_b64 v[8:9], 2, v[0:1]
	v_cmp_le_i64_e32 vcc, s[18:19], v[8:9]
	s_waitcnt vmcnt(0)
	v_cvt_f32_f16_e32 v11, v7
	v_lshrrev_b32_e32 v9, 16, v7
	v_cvt_f32_f16_e32 v10, v6
	v_lshrrev_b32_e32 v8, 16, v6
	v_cvt_f32_f16_e32 v13, v9
	v_cvt_f32_f16_e32 v12, v8
	v_cmp_u_f16_e64 s[0:1], v7, v7
	v_cmp_gt_f32_e64 s[8:9], s25, v11
	v_cmp_u_f16_e64 s[2:3], v6, v6
	v_cmp_gt_f32_e64 s[10:11], s28, v10
	s_or_b64 s[0:1], s[0:1], s[8:9]
	v_cmp_u_f16_e64 s[4:5], v9, v9
	v_cmp_gt_f32_e64 s[12:13], s26, v13
	v_cndmask_b32_e64 v7, v4, v7, s[0:1]
	s_or_b64 s[0:1], s[2:3], s[10:11]
	v_cmp_u_f16_e64 s[6:7], v8, v8
	v_cmp_gt_f32_e64 s[14:15], s24, v12
	v_cndmask_b32_e64 v6, v4, v6, s[0:1]
	s_or_b64 s[0:1], s[4:5], s[12:13]
	v_cndmask_b32_e64 v9, v5, v9, s[0:1]
	s_or_b64 s[0:1], s[6:7], s[14:15]
	v_cndmask_b32_e64 v8, v5, v8, s[0:1]
	v_perm_b32 v7, v9, v7, s27
	v_perm_b32 v6, v8, v6, s27
	s_or_b64 s[22:23], vcc, s[22:23]
	global_store_dwordx2 v[2:3], v[6:7], off
	v_lshl_add_u64 v[2:3], v[2:3], 0, s[20:21]
	s_andn2_b64 exec, exec, s[22:23]
	s_cbranch_execnz .LBB114_24
.LBB114_25:
	s_endpgm
	.section	.rodata,"a",@progbits
	.p2align	6, 0x0
	.amdhsa_kernel _ZN2at6native12_GLOBAL__N_125multi_tensor_apply_kernelINS1_18TensorListMetadataILi1EEENS1_21BinaryOpScalarFunctorIN3c104HalfELi1ELi1ELi0EEEJNS0_7minimumIfEEfEEEvT_T0_DpT1_
		.amdhsa_group_segment_fixed_size 0
		.amdhsa_private_segment_fixed_size 0
		.amdhsa_kernarg_size 3632
		.amdhsa_user_sgpr_count 2
		.amdhsa_user_sgpr_dispatch_ptr 0
		.amdhsa_user_sgpr_queue_ptr 0
		.amdhsa_user_sgpr_kernarg_segment_ptr 1
		.amdhsa_user_sgpr_dispatch_id 0
		.amdhsa_user_sgpr_kernarg_preload_length 0
		.amdhsa_user_sgpr_kernarg_preload_offset 0
		.amdhsa_user_sgpr_private_segment_size 0
		.amdhsa_uses_dynamic_stack 0
		.amdhsa_enable_private_segment 0
		.amdhsa_system_sgpr_workgroup_id_x 1
		.amdhsa_system_sgpr_workgroup_id_y 0
		.amdhsa_system_sgpr_workgroup_id_z 0
		.amdhsa_system_sgpr_workgroup_info 0
		.amdhsa_system_vgpr_workitem_id 0
		.amdhsa_next_free_vgpr 24
		.amdhsa_next_free_sgpr 29
		.amdhsa_accum_offset 24
		.amdhsa_reserve_vcc 1
		.amdhsa_float_round_mode_32 0
		.amdhsa_float_round_mode_16_64 0
		.amdhsa_float_denorm_mode_32 3
		.amdhsa_float_denorm_mode_16_64 3
		.amdhsa_dx10_clamp 1
		.amdhsa_ieee_mode 1
		.amdhsa_fp16_overflow 0
		.amdhsa_tg_split 0
		.amdhsa_exception_fp_ieee_invalid_op 0
		.amdhsa_exception_fp_denorm_src 0
		.amdhsa_exception_fp_ieee_div_zero 0
		.amdhsa_exception_fp_ieee_overflow 0
		.amdhsa_exception_fp_ieee_underflow 0
		.amdhsa_exception_fp_ieee_inexact 0
		.amdhsa_exception_int_div_zero 0
	.end_amdhsa_kernel
	.section	.text._ZN2at6native12_GLOBAL__N_125multi_tensor_apply_kernelINS1_18TensorListMetadataILi1EEENS1_21BinaryOpScalarFunctorIN3c104HalfELi1ELi1ELi0EEEJNS0_7minimumIfEEfEEEvT_T0_DpT1_,"axG",@progbits,_ZN2at6native12_GLOBAL__N_125multi_tensor_apply_kernelINS1_18TensorListMetadataILi1EEENS1_21BinaryOpScalarFunctorIN3c104HalfELi1ELi1ELi0EEEJNS0_7minimumIfEEfEEEvT_T0_DpT1_,comdat
.Lfunc_end114:
	.size	_ZN2at6native12_GLOBAL__N_125multi_tensor_apply_kernelINS1_18TensorListMetadataILi1EEENS1_21BinaryOpScalarFunctorIN3c104HalfELi1ELi1ELi0EEEJNS0_7minimumIfEEfEEEvT_T0_DpT1_, .Lfunc_end114-_ZN2at6native12_GLOBAL__N_125multi_tensor_apply_kernelINS1_18TensorListMetadataILi1EEENS1_21BinaryOpScalarFunctorIN3c104HalfELi1ELi1ELi0EEEJNS0_7minimumIfEEfEEEvT_T0_DpT1_
                                        ; -- End function
	.set _ZN2at6native12_GLOBAL__N_125multi_tensor_apply_kernelINS1_18TensorListMetadataILi1EEENS1_21BinaryOpScalarFunctorIN3c104HalfELi1ELi1ELi0EEEJNS0_7minimumIfEEfEEEvT_T0_DpT1_.num_vgpr, 24
	.set _ZN2at6native12_GLOBAL__N_125multi_tensor_apply_kernelINS1_18TensorListMetadataILi1EEENS1_21BinaryOpScalarFunctorIN3c104HalfELi1ELi1ELi0EEEJNS0_7minimumIfEEfEEEvT_T0_DpT1_.num_agpr, 0
	.set _ZN2at6native12_GLOBAL__N_125multi_tensor_apply_kernelINS1_18TensorListMetadataILi1EEENS1_21BinaryOpScalarFunctorIN3c104HalfELi1ELi1ELi0EEEJNS0_7minimumIfEEfEEEvT_T0_DpT1_.numbered_sgpr, 29
	.set _ZN2at6native12_GLOBAL__N_125multi_tensor_apply_kernelINS1_18TensorListMetadataILi1EEENS1_21BinaryOpScalarFunctorIN3c104HalfELi1ELi1ELi0EEEJNS0_7minimumIfEEfEEEvT_T0_DpT1_.num_named_barrier, 0
	.set _ZN2at6native12_GLOBAL__N_125multi_tensor_apply_kernelINS1_18TensorListMetadataILi1EEENS1_21BinaryOpScalarFunctorIN3c104HalfELi1ELi1ELi0EEEJNS0_7minimumIfEEfEEEvT_T0_DpT1_.private_seg_size, 0
	.set _ZN2at6native12_GLOBAL__N_125multi_tensor_apply_kernelINS1_18TensorListMetadataILi1EEENS1_21BinaryOpScalarFunctorIN3c104HalfELi1ELi1ELi0EEEJNS0_7minimumIfEEfEEEvT_T0_DpT1_.uses_vcc, 1
	.set _ZN2at6native12_GLOBAL__N_125multi_tensor_apply_kernelINS1_18TensorListMetadataILi1EEENS1_21BinaryOpScalarFunctorIN3c104HalfELi1ELi1ELi0EEEJNS0_7minimumIfEEfEEEvT_T0_DpT1_.uses_flat_scratch, 0
	.set _ZN2at6native12_GLOBAL__N_125multi_tensor_apply_kernelINS1_18TensorListMetadataILi1EEENS1_21BinaryOpScalarFunctorIN3c104HalfELi1ELi1ELi0EEEJNS0_7minimumIfEEfEEEvT_T0_DpT1_.has_dyn_sized_stack, 0
	.set _ZN2at6native12_GLOBAL__N_125multi_tensor_apply_kernelINS1_18TensorListMetadataILi1EEENS1_21BinaryOpScalarFunctorIN3c104HalfELi1ELi1ELi0EEEJNS0_7minimumIfEEfEEEvT_T0_DpT1_.has_recursion, 0
	.set _ZN2at6native12_GLOBAL__N_125multi_tensor_apply_kernelINS1_18TensorListMetadataILi1EEENS1_21BinaryOpScalarFunctorIN3c104HalfELi1ELi1ELi0EEEJNS0_7minimumIfEEfEEEvT_T0_DpT1_.has_indirect_call, 0
	.section	.AMDGPU.csdata,"",@progbits
; Kernel info:
; codeLenInByte = 1176
; TotalNumSgprs: 35
; NumVgprs: 24
; NumAgprs: 0
; TotalNumVgprs: 24
; ScratchSize: 0
; MemoryBound: 0
; FloatMode: 240
; IeeeMode: 1
; LDSByteSize: 0 bytes/workgroup (compile time only)
; SGPRBlocks: 4
; VGPRBlocks: 2
; NumSGPRsForWavesPerEU: 35
; NumVGPRsForWavesPerEU: 24
; AccumOffset: 24
; Occupancy: 8
; WaveLimiterHint : 0
; COMPUTE_PGM_RSRC2:SCRATCH_EN: 0
; COMPUTE_PGM_RSRC2:USER_SGPR: 2
; COMPUTE_PGM_RSRC2:TRAP_HANDLER: 0
; COMPUTE_PGM_RSRC2:TGID_X_EN: 1
; COMPUTE_PGM_RSRC2:TGID_Y_EN: 0
; COMPUTE_PGM_RSRC2:TGID_Z_EN: 0
; COMPUTE_PGM_RSRC2:TIDIG_COMP_CNT: 0
; COMPUTE_PGM_RSRC3_GFX90A:ACCUM_OFFSET: 5
; COMPUTE_PGM_RSRC3_GFX90A:TG_SPLIT: 0
	.section	.text._ZN2at6native12_GLOBAL__N_125multi_tensor_apply_kernelINS1_18TensorListMetadataILi1EEENS1_21BinaryOpScalarFunctorIN3c108BFloat16ELi1ELi1ELi0EEEJNS0_7minimumIfEEfEEEvT_T0_DpT1_,"axG",@progbits,_ZN2at6native12_GLOBAL__N_125multi_tensor_apply_kernelINS1_18TensorListMetadataILi1EEENS1_21BinaryOpScalarFunctorIN3c108BFloat16ELi1ELi1ELi0EEEJNS0_7minimumIfEEfEEEvT_T0_DpT1_,comdat
	.globl	_ZN2at6native12_GLOBAL__N_125multi_tensor_apply_kernelINS1_18TensorListMetadataILi1EEENS1_21BinaryOpScalarFunctorIN3c108BFloat16ELi1ELi1ELi0EEEJNS0_7minimumIfEEfEEEvT_T0_DpT1_ ; -- Begin function _ZN2at6native12_GLOBAL__N_125multi_tensor_apply_kernelINS1_18TensorListMetadataILi1EEENS1_21BinaryOpScalarFunctorIN3c108BFloat16ELi1ELi1ELi0EEEJNS0_7minimumIfEEfEEEvT_T0_DpT1_
	.p2align	8
	.type	_ZN2at6native12_GLOBAL__N_125multi_tensor_apply_kernelINS1_18TensorListMetadataILi1EEENS1_21BinaryOpScalarFunctorIN3c108BFloat16ELi1ELi1ELi0EEEJNS0_7minimumIfEEfEEEvT_T0_DpT1_,@function
_ZN2at6native12_GLOBAL__N_125multi_tensor_apply_kernelINS1_18TensorListMetadataILi1EEENS1_21BinaryOpScalarFunctorIN3c108BFloat16ELi1ELi1ELi0EEEJNS0_7minimumIfEEfEEEvT_T0_DpT1_: ; @_ZN2at6native12_GLOBAL__N_125multi_tensor_apply_kernelINS1_18TensorListMetadataILi1EEENS1_21BinaryOpScalarFunctorIN3c108BFloat16ELi1ELi1ELi0EEEJNS0_7minimumIfEEfEEEvT_T0_DpT1_
; %bb.0:
	v_mov_b32_e32 v1, s2
	global_load_ubyte v1, v1, s[0:1] offset:1760
	s_add_u32 s3, s0, s2
	s_mul_hi_u32 s4, s2, 3
	s_mul_i32 s2, s2, 3
	s_addc_u32 s5, s1, 0
	s_add_u32 s2, s3, s2
	s_addc_u32 s3, s5, s4
	s_load_dword s2, s[2:3], 0x820
	s_mov_b32 s7, 0
	s_waitcnt vmcnt(0)
	v_readfirstlane_b32 s3, v1
	s_lshl_b32 s3, s3, 3
	s_load_dword s28, s[0:1], 0xd2c
	s_load_dwordx2 s[4:5], s[0:1], s3 offset:0x370
	s_load_dwordx2 s[10:11], s[0:1], s3 offset:0x0
	s_waitcnt lgkmcnt(0)
	s_ashr_i32 s3, s2, 31
	s_lshl_b64 s[12:13], s[2:3], 17
	s_lshl_b64 s[2:3], s[2:3], 16
	s_and_b32 s6, s10, 7
	s_sub_u32 s14, s4, s2
	s_subb_u32 s15, s5, s3
	s_and_b32 s2, s4, 3
	s_mov_b32 s3, s7
	s_or_b64 s[2:3], s[6:7], s[2:3]
	s_cmp_eq_u64 s[2:3], 0
	s_cbranch_scc1 .LBB115_21
; %bb.1:
	v_cmp_lt_i64_e64 s[2:3], s[14:15], 1
	s_and_b64 vcc, exec, s[2:3]
	s_cbranch_vccnz .LBB115_20
; %bb.2:
	s_load_dword s2, s[0:1], 0xd3c
	v_mov_b64_e32 v[2:3], 0x10000
	v_cmp_lt_i64_e32 vcc, s[14:15], v[2:3]
	s_and_b64 s[4:5], vcc, exec
	s_cselect_b32 s5, s15, 0
	s_cselect_b32 s4, s14, 0x10000
	s_waitcnt lgkmcnt(0)
	s_and_b32 s2, s2, 0xffff
	v_cmp_lt_u64_e32 vcc, s[14:15], v[2:3]
	s_and_b64 s[6:7], vcc, exec
	s_mov_b32 s3, 0
	v_mov_b32_e32 v1, 0
	s_cselect_b32 s17, s15, 0
	s_cselect_b32 s16, s14, 0x10000
	s_lshl_b32 s6, s2, 1
	s_lshl_b32 s18, s2, 2
	s_add_u32 s24, s10, s12
	v_lshl_add_u64 v[8:9], v[0:1], 0, s[2:3]
	s_mov_b32 s7, s3
	s_mul_i32 s8, s2, 3
	s_mov_b32 s9, s3
	v_lshlrev_b32_e32 v2, 1, v0
	v_mov_b32_e32 v3, v1
	s_addc_u32 s25, s11, s13
	v_lshlrev_b32_e32 v10, 1, v8
	v_mov_b32_e32 v11, v1
	s_mov_b32 s19, s3
	v_lshl_add_u64 v[2:3], s[24:25], 0, v[2:3]
	s_lshl_b32 s20, s2, 3
	s_mov_b32 s21, s3
	s_mul_i32 s22, s2, 6
	s_mov_b32 s23, s3
	v_lshl_add_u64 v[4:5], s[8:9], 0, v[0:1]
	v_lshl_add_u64 v[6:7], s[6:7], 0, v[0:1]
	;; [unrolled: 1-line block ×3, first 2 shown]
	s_mov_b64 s[24:25], 0
	s_movk_i32 s29, 0x7fff
	v_mov_b64_e32 v[12:13], s[4:5]
	v_mov_b32_e32 v18, 0x7fc0
	s_branch .LBB115_4
.LBB115_3:                              ;   in Loop: Header=BB115_4 Depth=1
	s_or_b64 exec, exec, s[4:5]
	s_add_u32 s24, s24, s18
	s_addc_u32 s25, s25, 0
	v_cmp_lt_i64_e32 vcc, s[24:25], v[12:13]
	v_lshl_add_u64 v[2:3], v[2:3], 0, s[20:21]
	v_lshl_add_u64 v[10:11], v[10:11], 0, s[20:21]
	s_cbranch_vccz .LBB115_20
.LBB115_4:                              ; =>This Inner Loop Header: Depth=1
	v_lshl_add_u64 v[14:15], v[0:1], 0, s[24:25]
	v_cmp_gt_u64_e32 vcc, s[16:17], v[14:15]
	v_mov_b32_e32 v22, 0
	s_and_saveexec_b64 s[2:3], vcc
	s_cbranch_execz .LBB115_6
; %bb.5:                                ;   in Loop: Header=BB115_4 Depth=1
	global_load_ushort v14, v[2:3], off
	s_waitcnt vmcnt(0)
	v_lshlrev_b32_e32 v22, 16, v14
.LBB115_6:                              ;   in Loop: Header=BB115_4 Depth=1
	s_or_b64 exec, exec, s[2:3]
	v_lshl_add_u64 v[14:15], v[8:9], 0, s[24:25]
	v_cmp_gt_u64_e64 s[6:7], s[16:17], v[14:15]
	v_mov_b32_e32 v19, 0
	v_mov_b32_e32 v21, 0
	s_and_saveexec_b64 s[2:3], s[6:7]
	s_cbranch_execz .LBB115_8
; %bb.7:                                ;   in Loop: Header=BB115_4 Depth=1
	global_load_ushort v14, v[10:11], off
	s_waitcnt vmcnt(0)
	v_lshlrev_b32_e32 v21, 16, v14
.LBB115_8:                              ;   in Loop: Header=BB115_4 Depth=1
	s_or_b64 exec, exec, s[2:3]
	v_lshl_add_u64 v[14:15], v[6:7], 0, s[24:25]
	v_cmp_gt_u64_e64 s[4:5], s[16:17], v[14:15]
	v_lshl_add_u64 v[16:17], v[2:3], 0, s[18:19]
	s_and_saveexec_b64 s[2:3], s[4:5]
	s_cbranch_execz .LBB115_10
; %bb.9:                                ;   in Loop: Header=BB115_4 Depth=1
	global_load_ushort v14, v[16:17], off
	s_waitcnt vmcnt(0)
	v_lshlrev_b32_e32 v19, 16, v14
.LBB115_10:                             ;   in Loop: Header=BB115_4 Depth=1
	s_or_b64 exec, exec, s[2:3]
	v_lshl_add_u64 v[14:15], v[4:5], 0, s[24:25]
	v_cmp_gt_u64_e64 s[2:3], s[16:17], v[14:15]
	v_mov_b32_e32 v20, 0
	v_lshl_add_u64 v[14:15], v[2:3], 0, s[22:23]
	s_and_saveexec_b64 s[8:9], s[2:3]
	s_cbranch_execnz .LBB115_15
; %bb.11:                               ;   in Loop: Header=BB115_4 Depth=1
	s_or_b64 exec, exec, s[8:9]
	s_and_saveexec_b64 s[26:27], vcc
	s_cbranch_execnz .LBB115_16
.LBB115_12:                             ;   in Loop: Header=BB115_4 Depth=1
	s_or_b64 exec, exec, s[26:27]
	s_and_saveexec_b64 s[8:9], s[6:7]
	s_cbranch_execnz .LBB115_17
.LBB115_13:                             ;   in Loop: Header=BB115_4 Depth=1
	s_or_b64 exec, exec, s[8:9]
	s_and_saveexec_b64 s[6:7], s[4:5]
	s_cbranch_execnz .LBB115_18
.LBB115_14:                             ;   in Loop: Header=BB115_4 Depth=1
	s_or_b64 exec, exec, s[6:7]
	s_and_saveexec_b64 s[4:5], s[2:3]
	s_cbranch_execz .LBB115_3
	s_branch .LBB115_19
.LBB115_15:                             ;   in Loop: Header=BB115_4 Depth=1
	global_load_ushort v20, v[14:15], off
	s_waitcnt vmcnt(0)
	v_lshlrev_b32_e32 v20, 16, v20
	s_or_b64 exec, exec, s[8:9]
	s_and_saveexec_b64 s[26:27], vcc
	s_cbranch_execz .LBB115_12
.LBB115_16:                             ;   in Loop: Header=BB115_4 Depth=1
	v_cmp_u_f32_e32 vcc, v22, v22
	v_cmp_gt_f32_e64 s[8:9], s28, v22
	v_mov_b32_e32 v23, s28
	s_or_b64 vcc, vcc, s[8:9]
	v_cndmask_b32_e32 v22, v23, v22, vcc
	v_bfe_u32 v23, v22, 16, 1
	v_add3_u32 v23, v22, v23, s29
	v_cmp_o_f32_e32 vcc, v22, v22
	s_nop 1
	v_cndmask_b32_sdwa v22, v18, v23, vcc dst_sel:DWORD dst_unused:UNUSED_PAD src0_sel:DWORD src1_sel:WORD_1
	global_store_short v[2:3], v22, off
	s_or_b64 exec, exec, s[26:27]
	s_and_saveexec_b64 s[8:9], s[6:7]
	s_cbranch_execz .LBB115_13
.LBB115_17:                             ;   in Loop: Header=BB115_4 Depth=1
	v_cmp_u_f32_e32 vcc, v21, v21
	v_cmp_gt_f32_e64 s[6:7], s28, v21
	v_mov_b32_e32 v22, s28
	s_or_b64 vcc, vcc, s[6:7]
	v_cndmask_b32_e32 v21, v22, v21, vcc
	v_bfe_u32 v22, v21, 16, 1
	v_add3_u32 v22, v21, v22, s29
	v_cmp_o_f32_e32 vcc, v21, v21
	s_nop 1
	v_cndmask_b32_sdwa v21, v18, v22, vcc dst_sel:DWORD dst_unused:UNUSED_PAD src0_sel:DWORD src1_sel:WORD_1
	global_store_short v[10:11], v21, off
	s_or_b64 exec, exec, s[8:9]
	s_and_saveexec_b64 s[6:7], s[4:5]
	s_cbranch_execz .LBB115_14
.LBB115_18:                             ;   in Loop: Header=BB115_4 Depth=1
	v_cmp_u_f32_e32 vcc, v19, v19
	v_cmp_gt_f32_e64 s[4:5], s28, v19
	v_mov_b32_e32 v21, s28
	s_or_b64 vcc, vcc, s[4:5]
	v_cndmask_b32_e32 v19, v21, v19, vcc
	v_bfe_u32 v21, v19, 16, 1
	v_add3_u32 v21, v19, v21, s29
	v_cmp_o_f32_e32 vcc, v19, v19
	s_nop 1
	v_cndmask_b32_sdwa v19, v18, v21, vcc dst_sel:DWORD dst_unused:UNUSED_PAD src0_sel:DWORD src1_sel:WORD_1
	global_store_short v[16:17], v19, off
	s_or_b64 exec, exec, s[6:7]
	s_and_saveexec_b64 s[4:5], s[2:3]
	s_cbranch_execz .LBB115_3
.LBB115_19:                             ;   in Loop: Header=BB115_4 Depth=1
	v_cmp_u_f32_e32 vcc, v20, v20
	v_cmp_gt_f32_e64 s[2:3], s28, v20
	v_mov_b32_e32 v16, s28
	s_or_b64 vcc, vcc, s[2:3]
	v_cndmask_b32_e32 v16, v16, v20, vcc
	v_bfe_u32 v17, v16, 16, 1
	v_add3_u32 v17, v16, v17, s29
	v_cmp_o_f32_e32 vcc, v16, v16
	s_nop 1
	v_cndmask_b32_sdwa v16, v18, v17, vcc dst_sel:DWORD dst_unused:UNUSED_PAD src0_sel:DWORD src1_sel:WORD_1
	global_store_short v[14:15], v16, off
	s_branch .LBB115_3
.LBB115_20:
	s_cbranch_execz .LBB115_22
	s_branch .LBB115_25
.LBB115_21:
.LBB115_22:
	v_mov_b64_e32 v[4:5], 0x10000
	v_cmp_lt_i64_e32 vcc, s[14:15], v[4:5]
	s_and_b64 s[2:3], vcc, exec
	v_mov_b32_e32 v3, 0
	s_cselect_b32 s15, s15, 0
	s_cselect_b32 s14, s14, 0x10000
	v_lshlrev_b32_e32 v2, 2, v0
	s_mov_b32 s17, 0
	v_cmp_gt_i64_e32 vcc, s[14:15], v[2:3]
	s_and_saveexec_b64 s[2:3], vcc
	s_cbranch_execz .LBB115_25
; %bb.23:
	s_load_dword s0, s[0:1], 0xd3c
	v_lshlrev_b32_e32 v2, 3, v0
	v_mov_b32_e32 v1, v3
	s_mov_b32 s19, s17
	v_mov_b32_e32 v4, s28
	s_waitcnt lgkmcnt(0)
	s_and_b32 s16, s0, 0xffff
	s_add_u32 s0, s10, s12
	s_addc_u32 s1, s11, s13
	s_lshl_b32 s18, s16, 3
	v_lshl_add_u64 v[2:3], s[0:1], 0, v[2:3]
	s_mov_b64 s[12:13], 0
	s_movk_i32 s20, 0x7fff
	v_mov_b32_e32 v5, 0x7fc00000
	v_mov_b32_e32 v6, 0x7fc0
.LBB115_24:                             ; =>This Inner Loop Header: Depth=1
	global_load_dwordx2 v[8:9], v[2:3], off
	v_lshl_add_u64 v[0:1], v[0:1], 0, s[16:17]
	v_lshlrev_b64 v[10:11], 2, v[0:1]
	v_cmp_le_i64_e32 vcc, s[14:15], v[10:11]
	s_waitcnt vmcnt(0)
	v_lshlrev_b32_e32 v7, 16, v8
	v_and_b32_e32 v10, 0xffff0000, v8
	v_alignbit_b32 v8, v9, v8, 16
	v_and_b32_e32 v9, 0xffff0000, v9
	v_cmp_u_f32_e64 s[0:1], v7, v7
	v_cmp_gt_f32_e64 s[2:3], s28, v7
	v_cmp_u_f32_e64 s[4:5], v10, v10
	v_cmp_gt_f32_e64 s[6:7], s28, v10
	;; [unrolled: 2-line block ×3, first 2 shown]
	s_or_b64 s[0:1], s[0:1], s[2:3]
	v_cndmask_b32_e64 v7, v4, v7, s[0:1]
	s_or_b64 s[0:1], s[4:5], s[6:7]
	s_or_b64 s[4:5], s[8:9], s[10:11]
	v_and_b32_e32 v8, 0xffff0000, v8
	v_cndmask_b32_e64 v9, v4, v9, s[4:5]
	v_cndmask_b32_e64 v10, v4, v10, s[0:1]
	v_cmp_u_f32_e64 s[0:1], v8, v8
	v_cmp_gt_f32_e64 s[2:3], s28, v8
	v_bfe_u32 v13, v9, 16, 1
	v_bfe_u32 v12, v10, 16, 1
	s_or_b64 s[0:1], s[0:1], s[2:3]
	v_add3_u32 v13, v9, v13, s20
	v_bfe_u32 v11, v7, 16, 1
	v_cndmask_b32_e64 v8, v4, v8, s[0:1]
	v_add3_u32 v12, v10, v12, s20
	s_or_b64 s[12:13], vcc, s[12:13]
	v_and_b32_e32 v13, 0xffff0000, v13
	v_cmp_o_f32_e32 vcc, v9, v9
	v_add3_u32 v11, v7, v11, s20
	v_bfe_u32 v14, v8, 16, 1
	v_and_b32_e32 v12, 0xffff0000, v12
	v_cndmask_b32_e32 v9, v5, v13, vcc
	v_cmp_o_f32_e32 vcc, v10, v10
	v_lshrrev_b32_e32 v11, 16, v11
	v_add3_u32 v14, v8, v14, s20
	v_cndmask_b32_e32 v10, v5, v12, vcc
	v_cmp_o_f32_e32 vcc, v7, v7
	v_lshrrev_b32_e32 v14, 16, v14
	s_nop 0
	v_cndmask_b32_e32 v7, v6, v11, vcc
	v_cmp_o_f32_e32 vcc, v8, v8
	v_or_b32_e32 v7, v7, v10
	s_nop 0
	v_cndmask_b32_e32 v8, v6, v14, vcc
	v_or3_b32 v9, 0, v8, v9
	v_or3_b32 v8, v7, 0, 0
	global_store_dwordx2 v[2:3], v[8:9], off
	v_lshl_add_u64 v[2:3], v[2:3], 0, s[18:19]
	s_andn2_b64 exec, exec, s[12:13]
	s_cbranch_execnz .LBB115_24
.LBB115_25:
	s_endpgm
	.section	.rodata,"a",@progbits
	.p2align	6, 0x0
	.amdhsa_kernel _ZN2at6native12_GLOBAL__N_125multi_tensor_apply_kernelINS1_18TensorListMetadataILi1EEENS1_21BinaryOpScalarFunctorIN3c108BFloat16ELi1ELi1ELi0EEEJNS0_7minimumIfEEfEEEvT_T0_DpT1_
		.amdhsa_group_segment_fixed_size 0
		.amdhsa_private_segment_fixed_size 0
		.amdhsa_kernarg_size 3632
		.amdhsa_user_sgpr_count 2
		.amdhsa_user_sgpr_dispatch_ptr 0
		.amdhsa_user_sgpr_queue_ptr 0
		.amdhsa_user_sgpr_kernarg_segment_ptr 1
		.amdhsa_user_sgpr_dispatch_id 0
		.amdhsa_user_sgpr_kernarg_preload_length 0
		.amdhsa_user_sgpr_kernarg_preload_offset 0
		.amdhsa_user_sgpr_private_segment_size 0
		.amdhsa_uses_dynamic_stack 0
		.amdhsa_enable_private_segment 0
		.amdhsa_system_sgpr_workgroup_id_x 1
		.amdhsa_system_sgpr_workgroup_id_y 0
		.amdhsa_system_sgpr_workgroup_id_z 0
		.amdhsa_system_sgpr_workgroup_info 0
		.amdhsa_system_vgpr_workitem_id 0
		.amdhsa_next_free_vgpr 24
		.amdhsa_next_free_sgpr 30
		.amdhsa_accum_offset 24
		.amdhsa_reserve_vcc 1
		.amdhsa_float_round_mode_32 0
		.amdhsa_float_round_mode_16_64 0
		.amdhsa_float_denorm_mode_32 3
		.amdhsa_float_denorm_mode_16_64 3
		.amdhsa_dx10_clamp 1
		.amdhsa_ieee_mode 1
		.amdhsa_fp16_overflow 0
		.amdhsa_tg_split 0
		.amdhsa_exception_fp_ieee_invalid_op 0
		.amdhsa_exception_fp_denorm_src 0
		.amdhsa_exception_fp_ieee_div_zero 0
		.amdhsa_exception_fp_ieee_overflow 0
		.amdhsa_exception_fp_ieee_underflow 0
		.amdhsa_exception_fp_ieee_inexact 0
		.amdhsa_exception_int_div_zero 0
	.end_amdhsa_kernel
	.section	.text._ZN2at6native12_GLOBAL__N_125multi_tensor_apply_kernelINS1_18TensorListMetadataILi1EEENS1_21BinaryOpScalarFunctorIN3c108BFloat16ELi1ELi1ELi0EEEJNS0_7minimumIfEEfEEEvT_T0_DpT1_,"axG",@progbits,_ZN2at6native12_GLOBAL__N_125multi_tensor_apply_kernelINS1_18TensorListMetadataILi1EEENS1_21BinaryOpScalarFunctorIN3c108BFloat16ELi1ELi1ELi0EEEJNS0_7minimumIfEEfEEEvT_T0_DpT1_,comdat
.Lfunc_end115:
	.size	_ZN2at6native12_GLOBAL__N_125multi_tensor_apply_kernelINS1_18TensorListMetadataILi1EEENS1_21BinaryOpScalarFunctorIN3c108BFloat16ELi1ELi1ELi0EEEJNS0_7minimumIfEEfEEEvT_T0_DpT1_, .Lfunc_end115-_ZN2at6native12_GLOBAL__N_125multi_tensor_apply_kernelINS1_18TensorListMetadataILi1EEENS1_21BinaryOpScalarFunctorIN3c108BFloat16ELi1ELi1ELi0EEEJNS0_7minimumIfEEfEEEvT_T0_DpT1_
                                        ; -- End function
	.set _ZN2at6native12_GLOBAL__N_125multi_tensor_apply_kernelINS1_18TensorListMetadataILi1EEENS1_21BinaryOpScalarFunctorIN3c108BFloat16ELi1ELi1ELi0EEEJNS0_7minimumIfEEfEEEvT_T0_DpT1_.num_vgpr, 24
	.set _ZN2at6native12_GLOBAL__N_125multi_tensor_apply_kernelINS1_18TensorListMetadataILi1EEENS1_21BinaryOpScalarFunctorIN3c108BFloat16ELi1ELi1ELi0EEEJNS0_7minimumIfEEfEEEvT_T0_DpT1_.num_agpr, 0
	.set _ZN2at6native12_GLOBAL__N_125multi_tensor_apply_kernelINS1_18TensorListMetadataILi1EEENS1_21BinaryOpScalarFunctorIN3c108BFloat16ELi1ELi1ELi0EEEJNS0_7minimumIfEEfEEEvT_T0_DpT1_.numbered_sgpr, 30
	.set _ZN2at6native12_GLOBAL__N_125multi_tensor_apply_kernelINS1_18TensorListMetadataILi1EEENS1_21BinaryOpScalarFunctorIN3c108BFloat16ELi1ELi1ELi0EEEJNS0_7minimumIfEEfEEEvT_T0_DpT1_.num_named_barrier, 0
	.set _ZN2at6native12_GLOBAL__N_125multi_tensor_apply_kernelINS1_18TensorListMetadataILi1EEENS1_21BinaryOpScalarFunctorIN3c108BFloat16ELi1ELi1ELi0EEEJNS0_7minimumIfEEfEEEvT_T0_DpT1_.private_seg_size, 0
	.set _ZN2at6native12_GLOBAL__N_125multi_tensor_apply_kernelINS1_18TensorListMetadataILi1EEENS1_21BinaryOpScalarFunctorIN3c108BFloat16ELi1ELi1ELi0EEEJNS0_7minimumIfEEfEEEvT_T0_DpT1_.uses_vcc, 1
	.set _ZN2at6native12_GLOBAL__N_125multi_tensor_apply_kernelINS1_18TensorListMetadataILi1EEENS1_21BinaryOpScalarFunctorIN3c108BFloat16ELi1ELi1ELi0EEEJNS0_7minimumIfEEfEEEvT_T0_DpT1_.uses_flat_scratch, 0
	.set _ZN2at6native12_GLOBAL__N_125multi_tensor_apply_kernelINS1_18TensorListMetadataILi1EEENS1_21BinaryOpScalarFunctorIN3c108BFloat16ELi1ELi1ELi0EEEJNS0_7minimumIfEEfEEEvT_T0_DpT1_.has_dyn_sized_stack, 0
	.set _ZN2at6native12_GLOBAL__N_125multi_tensor_apply_kernelINS1_18TensorListMetadataILi1EEENS1_21BinaryOpScalarFunctorIN3c108BFloat16ELi1ELi1ELi0EEEJNS0_7minimumIfEEfEEEvT_T0_DpT1_.has_recursion, 0
	.set _ZN2at6native12_GLOBAL__N_125multi_tensor_apply_kernelINS1_18TensorListMetadataILi1EEENS1_21BinaryOpScalarFunctorIN3c108BFloat16ELi1ELi1ELi0EEEJNS0_7minimumIfEEfEEEvT_T0_DpT1_.has_indirect_call, 0
	.section	.AMDGPU.csdata,"",@progbits
; Kernel info:
; codeLenInByte = 1448
; TotalNumSgprs: 36
; NumVgprs: 24
; NumAgprs: 0
; TotalNumVgprs: 24
; ScratchSize: 0
; MemoryBound: 0
; FloatMode: 240
; IeeeMode: 1
; LDSByteSize: 0 bytes/workgroup (compile time only)
; SGPRBlocks: 4
; VGPRBlocks: 2
; NumSGPRsForWavesPerEU: 36
; NumVGPRsForWavesPerEU: 24
; AccumOffset: 24
; Occupancy: 8
; WaveLimiterHint : 0
; COMPUTE_PGM_RSRC2:SCRATCH_EN: 0
; COMPUTE_PGM_RSRC2:USER_SGPR: 2
; COMPUTE_PGM_RSRC2:TRAP_HANDLER: 0
; COMPUTE_PGM_RSRC2:TGID_X_EN: 1
; COMPUTE_PGM_RSRC2:TGID_Y_EN: 0
; COMPUTE_PGM_RSRC2:TGID_Z_EN: 0
; COMPUTE_PGM_RSRC2:TIDIG_COMP_CNT: 0
; COMPUTE_PGM_RSRC3_GFX90A:ACCUM_OFFSET: 5
; COMPUTE_PGM_RSRC3_GFX90A:TG_SPLIT: 0
	.section	.text._ZN2at6native12_GLOBAL__N_125multi_tensor_apply_kernelINS1_18TensorListMetadataILi2EEENS1_21BinaryOpScalarFunctorIhLi2ELi1ELi1EEEJNS0_7minimumIhEEhEEEvT_T0_DpT1_,"axG",@progbits,_ZN2at6native12_GLOBAL__N_125multi_tensor_apply_kernelINS1_18TensorListMetadataILi2EEENS1_21BinaryOpScalarFunctorIhLi2ELi1ELi1EEEJNS0_7minimumIhEEhEEEvT_T0_DpT1_,comdat
	.globl	_ZN2at6native12_GLOBAL__N_125multi_tensor_apply_kernelINS1_18TensorListMetadataILi2EEENS1_21BinaryOpScalarFunctorIhLi2ELi1ELi1EEEJNS0_7minimumIhEEhEEEvT_T0_DpT1_ ; -- Begin function _ZN2at6native12_GLOBAL__N_125multi_tensor_apply_kernelINS1_18TensorListMetadataILi2EEENS1_21BinaryOpScalarFunctorIhLi2ELi1ELi1EEEJNS0_7minimumIhEEhEEEvT_T0_DpT1_
	.p2align	8
	.type	_ZN2at6native12_GLOBAL__N_125multi_tensor_apply_kernelINS1_18TensorListMetadataILi2EEENS1_21BinaryOpScalarFunctorIhLi2ELi1ELi1EEEJNS0_7minimumIhEEhEEEvT_T0_DpT1_,@function
_ZN2at6native12_GLOBAL__N_125multi_tensor_apply_kernelINS1_18TensorListMetadataILi2EEENS1_21BinaryOpScalarFunctorIhLi2ELi1ELi1EEEJNS0_7minimumIhEEhEEEvT_T0_DpT1_: ; @_ZN2at6native12_GLOBAL__N_125multi_tensor_apply_kernelINS1_18TensorListMetadataILi2EEENS1_21BinaryOpScalarFunctorIhLi2ELi1ELi1EEEJNS0_7minimumIhEEhEEEvT_T0_DpT1_
; %bb.0:
	v_mov_b32_e32 v1, s2
	global_load_ubyte v1, v1, s[0:1] offset:1536
	s_load_dword s3, s[0:1], 0xc48
	s_mul_hi_u32 s4, s2, 3
	s_mul_i32 s5, s2, 3
	s_waitcnt lgkmcnt(0)
	s_lshr_b32 s22, s3, 16
	s_add_u32 s2, s0, s2
	s_addc_u32 s3, s1, 0
	s_add_u32 s2, s2, s5
	s_addc_u32 s3, s3, s4
	s_load_dword s2, s[2:3], 0x740
	s_waitcnt vmcnt(0)
	v_readfirstlane_b32 s3, v1
	s_lshl_b32 s6, s3, 3
	s_load_dwordx2 s[8:9], s[0:1], s6 offset:0x0
	s_load_dwordx2 s[4:5], s[0:1], s6 offset:0x400
	;; [unrolled: 1-line block ×3, first 2 shown]
	s_waitcnt lgkmcnt(0)
	s_ashr_i32 s3, s2, 31
	s_lshl_b64 s[12:13], s[2:3], 16
	s_add_u32 s2, s8, s12
	s_sub_u32 s14, s4, s12
	s_subb_u32 s15, s5, s13
	s_or_b32 s3, s4, s10
	s_or_b32 s2, s3, s2
	s_and_b32 s2, s2, 3
	s_cmp_eq_u32 s2, 0
	s_mov_b64 s[2:3], -1
	s_cbranch_scc1 .LBB116_21
; %bb.1:
	v_cmp_lt_i64_e64 s[2:3], s[14:15], 1
	s_and_b64 vcc, exec, s[2:3]
	s_cbranch_vccnz .LBB116_20
; %bb.2:
	s_load_dword s2, s[0:1], 0xc5c
	v_mov_b64_e32 v[2:3], 0x10000
	v_cmp_lt_i64_e32 vcc, s[14:15], v[2:3]
	s_and_b64 s[4:5], vcc, exec
	s_cselect_b32 s5, s15, 0
	s_cselect_b32 s4, s14, 0x10000
	s_waitcnt lgkmcnt(0)
	s_and_b32 s2, s2, 0xffff
	v_cmp_lt_u64_e32 vcc, s[14:15], v[2:3]
	s_and_b64 s[6:7], vcc, exec
	s_cselect_b32 s17, s15, 0
	s_cselect_b32 s16, s14, 0x10000
	s_lshl_b32 s6, s2, 1
	s_mul_i32 s18, s2, 3
	s_lshl_b32 s23, s2, 2
	s_mov_b32 s3, 0
	s_add_u32 s20, s12, s18
	v_mov_b32_e32 v1, 0
	s_mov_b32 s19, s3
	s_addc_u32 s21, s13, 0
	v_lshl_add_u64 v[10:11], s[18:19], 0, v[0:1]
	s_add_u32 s18, s12, s6
	v_lshl_add_u64 v[18:19], s[12:13], 0, v[0:1]
	s_addc_u32 s19, s13, 0
	s_mov_b32 s7, s3
	v_lshl_add_u64 v[8:9], s[20:21], 0, v[0:1]
	v_lshl_add_u64 v[14:15], s[18:19], 0, v[0:1]
	;; [unrolled: 1-line block ×13, first 2 shown]
	s_mov_b64 s[18:19], 0
	v_mov_b64_e32 v[24:25], s[4:5]
	s_and_b32 s24, s22, 0xff
	s_branch .LBB116_4
.LBB116_3:                              ;   in Loop: Header=BB116_4 Depth=1
	s_or_b64 exec, exec, s[2:3]
	s_add_u32 s18, s18, s23
	s_addc_u32 s19, s19, 0
	v_cmp_lt_i64_e32 vcc, s[18:19], v[24:25]
	s_cbranch_vccz .LBB116_20
.LBB116_4:                              ; =>This Inner Loop Header: Depth=1
	v_lshl_add_u64 v[26:27], v[0:1], 0, s[18:19]
	v_cmp_gt_u64_e32 vcc, s[16:17], v[26:27]
	v_mov_b32_e32 v27, 0
	s_and_saveexec_b64 s[2:3], vcc
	s_cbranch_execz .LBB116_6
; %bb.5:                                ;   in Loop: Header=BB116_4 Depth=1
	v_lshl_add_u64 v[26:27], v[2:3], 0, s[18:19]
	global_load_ubyte v26, v[26:27], off
	s_waitcnt vmcnt(0)
	v_min_u16_e32 v27, s24, v26
.LBB116_6:                              ;   in Loop: Header=BB116_4 Depth=1
	s_or_b64 exec, exec, s[2:3]
	v_lshl_add_u64 v[28:29], v[22:23], 0, s[18:19]
	v_cmp_gt_u64_e64 s[2:3], s[16:17], v[28:29]
	v_mov_b32_e32 v26, 0
	v_mov_b32_e32 v28, 0
	s_and_saveexec_b64 s[4:5], s[2:3]
	s_cbranch_execz .LBB116_8
; %bb.7:                                ;   in Loop: Header=BB116_4 Depth=1
	v_lshl_add_u64 v[28:29], v[18:19], 0, s[18:19]
	global_load_ubyte v28, v[28:29], off
	s_waitcnt vmcnt(0)
	v_min_u16_e32 v28, s24, v28
.LBB116_8:                              ;   in Loop: Header=BB116_4 Depth=1
	s_or_b64 exec, exec, s[4:5]
	v_lshl_add_u64 v[30:31], v[16:17], 0, s[18:19]
	v_cmp_gt_u64_e64 s[4:5], s[16:17], v[30:31]
	s_and_saveexec_b64 s[6:7], s[4:5]
	s_cbranch_execz .LBB116_10
; %bb.9:                                ;   in Loop: Header=BB116_4 Depth=1
	v_lshl_add_u64 v[30:31], v[12:13], 0, s[18:19]
	global_load_ubyte v26, v[30:31], off
	s_waitcnt vmcnt(0)
	v_min_u16_e32 v26, s24, v26
.LBB116_10:                             ;   in Loop: Header=BB116_4 Depth=1
	s_or_b64 exec, exec, s[6:7]
	v_lshl_add_u64 v[30:31], v[10:11], 0, s[18:19]
	v_cmp_gt_u64_e64 s[6:7], s[16:17], v[30:31]
	v_mov_b32_e32 v29, 0
	s_and_saveexec_b64 s[20:21], s[6:7]
	s_cbranch_execnz .LBB116_15
; %bb.11:                               ;   in Loop: Header=BB116_4 Depth=1
	s_or_b64 exec, exec, s[20:21]
	s_and_saveexec_b64 s[20:21], vcc
	s_cbranch_execnz .LBB116_16
.LBB116_12:                             ;   in Loop: Header=BB116_4 Depth=1
	s_or_b64 exec, exec, s[20:21]
	s_and_saveexec_b64 s[20:21], s[2:3]
	s_cbranch_execnz .LBB116_17
.LBB116_13:                             ;   in Loop: Header=BB116_4 Depth=1
	s_or_b64 exec, exec, s[20:21]
	s_and_saveexec_b64 s[2:3], s[4:5]
	s_cbranch_execnz .LBB116_18
.LBB116_14:                             ;   in Loop: Header=BB116_4 Depth=1
	s_or_b64 exec, exec, s[2:3]
	s_and_saveexec_b64 s[2:3], s[6:7]
	s_cbranch_execz .LBB116_3
	s_branch .LBB116_19
.LBB116_15:                             ;   in Loop: Header=BB116_4 Depth=1
	v_lshl_add_u64 v[30:31], v[6:7], 0, s[18:19]
	global_load_ubyte v29, v[30:31], off
	s_waitcnt vmcnt(0)
	v_min_u16_e32 v29, s24, v29
	s_or_b64 exec, exec, s[20:21]
	s_and_saveexec_b64 s[20:21], vcc
	s_cbranch_execz .LBB116_12
.LBB116_16:                             ;   in Loop: Header=BB116_4 Depth=1
	v_lshl_add_u64 v[30:31], v[4:5], 0, s[18:19]
	global_store_byte v[30:31], v27, off
	s_or_b64 exec, exec, s[20:21]
	s_and_saveexec_b64 s[20:21], s[2:3]
	s_cbranch_execz .LBB116_13
.LBB116_17:                             ;   in Loop: Header=BB116_4 Depth=1
	v_lshl_add_u64 v[30:31], v[20:21], 0, s[18:19]
	global_store_byte v[30:31], v28, off
	s_or_b64 exec, exec, s[20:21]
	s_and_saveexec_b64 s[2:3], s[4:5]
	s_cbranch_execz .LBB116_14
.LBB116_18:                             ;   in Loop: Header=BB116_4 Depth=1
	v_lshl_add_u64 v[30:31], v[14:15], 0, s[18:19]
	global_store_byte v[30:31], v26, off
	s_or_b64 exec, exec, s[2:3]
	s_and_saveexec_b64 s[2:3], s[6:7]
	s_cbranch_execz .LBB116_3
.LBB116_19:                             ;   in Loop: Header=BB116_4 Depth=1
	v_lshl_add_u64 v[26:27], v[8:9], 0, s[18:19]
	global_store_byte v[26:27], v29, off
	s_branch .LBB116_3
.LBB116_20:
	s_mov_b64 s[2:3], 0
.LBB116_21:
	s_andn2_b64 vcc, exec, s[2:3]
	s_cbranch_vccnz .LBB116_25
; %bb.22:
	v_mov_b64_e32 v[4:5], 0x10000
	v_cmp_lt_i64_e32 vcc, s[14:15], v[4:5]
	s_and_b64 s[4:5], vcc, exec
	v_mov_b32_e32 v3, 0
	s_cselect_b32 s5, s15, 0
	s_cselect_b32 s4, s14, 0x10000
	v_lshlrev_b32_e32 v2, 2, v0
	s_mov_b32 s3, 0
	v_cmp_gt_i64_e32 vcc, s[4:5], v[2:3]
	s_and_saveexec_b64 s[6:7], vcc
	s_cbranch_execz .LBB116_25
; %bb.23:
	s_load_dword s0, s[0:1], 0xc5c
	v_mov_b32_e32 v1, v3
	v_lshl_add_u64 v[2:3], s[12:13], 0, v[2:3]
	s_mov_b32 s1, s3
	s_mov_b64 s[6:7], 0
	s_waitcnt lgkmcnt(0)
	s_and_b32 s2, s0, 0xffff
	s_lshl_b32 s0, s2, 2
	s_movk_i32 s12, 0xff
	s_and_b32 s13, s22, 0xff
.LBB116_24:                             ; =>This Inner Loop Header: Depth=1
	v_lshl_add_u64 v[4:5], s[8:9], 0, v[2:3]
	global_load_dword v8, v[4:5], off
	v_lshl_add_u64 v[0:1], v[0:1], 0, s[2:3]
	v_lshlrev_b64 v[6:7], 2, v[0:1]
	v_cmp_le_i64_e32 vcc, s[4:5], v[6:7]
	v_lshl_add_u64 v[4:5], s[10:11], 0, v[2:3]
	v_lshl_add_u64 v[2:3], v[2:3], 0, s[0:1]
	s_or_b64 s[6:7], vcc, s[6:7]
	s_waitcnt vmcnt(0)
	v_lshrrev_b32_e32 v7, 8, v8
	v_and_b32_sdwa v9, v8, s12 dst_sel:DWORD dst_unused:UNUSED_PAD src0_sel:WORD_1 src1_sel:DWORD
	v_min_u16_sdwa v6, v8, s13 dst_sel:DWORD dst_unused:UNUSED_PAD src0_sel:BYTE_0 src1_sel:DWORD
	v_min_u16_sdwa v8, v8, s13 dst_sel:BYTE_1 dst_unused:UNUSED_PAD src0_sel:BYTE_3 src1_sel:DWORD
	v_min_u16_sdwa v7, v7, s13 dst_sel:BYTE_1 dst_unused:UNUSED_PAD src0_sel:BYTE_0 src1_sel:DWORD
	v_min_u16_e32 v9, s13, v9
	v_or_b32_e32 v6, v6, v7
	v_or_b32_sdwa v7, v9, v8 dst_sel:WORD_1 dst_unused:UNUSED_PAD src0_sel:DWORD src1_sel:DWORD
	s_nop 0
	v_or_b32_sdwa v6, v6, v7 dst_sel:DWORD dst_unused:UNUSED_PAD src0_sel:WORD_0 src1_sel:DWORD
	global_store_dword v[4:5], v6, off
	s_andn2_b64 exec, exec, s[6:7]
	s_cbranch_execnz .LBB116_24
.LBB116_25:
	s_endpgm
	.section	.rodata,"a",@progbits
	.p2align	6, 0x0
	.amdhsa_kernel _ZN2at6native12_GLOBAL__N_125multi_tensor_apply_kernelINS1_18TensorListMetadataILi2EEENS1_21BinaryOpScalarFunctorIhLi2ELi1ELi1EEEJNS0_7minimumIhEEhEEEvT_T0_DpT1_
		.amdhsa_group_segment_fixed_size 0
		.amdhsa_private_segment_fixed_size 0
		.amdhsa_kernarg_size 3408
		.amdhsa_user_sgpr_count 2
		.amdhsa_user_sgpr_dispatch_ptr 0
		.amdhsa_user_sgpr_queue_ptr 0
		.amdhsa_user_sgpr_kernarg_segment_ptr 1
		.amdhsa_user_sgpr_dispatch_id 0
		.amdhsa_user_sgpr_kernarg_preload_length 0
		.amdhsa_user_sgpr_kernarg_preload_offset 0
		.amdhsa_user_sgpr_private_segment_size 0
		.amdhsa_uses_dynamic_stack 0
		.amdhsa_enable_private_segment 0
		.amdhsa_system_sgpr_workgroup_id_x 1
		.amdhsa_system_sgpr_workgroup_id_y 0
		.amdhsa_system_sgpr_workgroup_id_z 0
		.amdhsa_system_sgpr_workgroup_info 0
		.amdhsa_system_vgpr_workitem_id 0
		.amdhsa_next_free_vgpr 32
		.amdhsa_next_free_sgpr 25
		.amdhsa_accum_offset 32
		.amdhsa_reserve_vcc 1
		.amdhsa_float_round_mode_32 0
		.amdhsa_float_round_mode_16_64 0
		.amdhsa_float_denorm_mode_32 3
		.amdhsa_float_denorm_mode_16_64 3
		.amdhsa_dx10_clamp 1
		.amdhsa_ieee_mode 1
		.amdhsa_fp16_overflow 0
		.amdhsa_tg_split 0
		.amdhsa_exception_fp_ieee_invalid_op 0
		.amdhsa_exception_fp_denorm_src 0
		.amdhsa_exception_fp_ieee_div_zero 0
		.amdhsa_exception_fp_ieee_overflow 0
		.amdhsa_exception_fp_ieee_underflow 0
		.amdhsa_exception_fp_ieee_inexact 0
		.amdhsa_exception_int_div_zero 0
	.end_amdhsa_kernel
	.section	.text._ZN2at6native12_GLOBAL__N_125multi_tensor_apply_kernelINS1_18TensorListMetadataILi2EEENS1_21BinaryOpScalarFunctorIhLi2ELi1ELi1EEEJNS0_7minimumIhEEhEEEvT_T0_DpT1_,"axG",@progbits,_ZN2at6native12_GLOBAL__N_125multi_tensor_apply_kernelINS1_18TensorListMetadataILi2EEENS1_21BinaryOpScalarFunctorIhLi2ELi1ELi1EEEJNS0_7minimumIhEEhEEEvT_T0_DpT1_,comdat
.Lfunc_end116:
	.size	_ZN2at6native12_GLOBAL__N_125multi_tensor_apply_kernelINS1_18TensorListMetadataILi2EEENS1_21BinaryOpScalarFunctorIhLi2ELi1ELi1EEEJNS0_7minimumIhEEhEEEvT_T0_DpT1_, .Lfunc_end116-_ZN2at6native12_GLOBAL__N_125multi_tensor_apply_kernelINS1_18TensorListMetadataILi2EEENS1_21BinaryOpScalarFunctorIhLi2ELi1ELi1EEEJNS0_7minimumIhEEhEEEvT_T0_DpT1_
                                        ; -- End function
	.set _ZN2at6native12_GLOBAL__N_125multi_tensor_apply_kernelINS1_18TensorListMetadataILi2EEENS1_21BinaryOpScalarFunctorIhLi2ELi1ELi1EEEJNS0_7minimumIhEEhEEEvT_T0_DpT1_.num_vgpr, 32
	.set _ZN2at6native12_GLOBAL__N_125multi_tensor_apply_kernelINS1_18TensorListMetadataILi2EEENS1_21BinaryOpScalarFunctorIhLi2ELi1ELi1EEEJNS0_7minimumIhEEhEEEvT_T0_DpT1_.num_agpr, 0
	.set _ZN2at6native12_GLOBAL__N_125multi_tensor_apply_kernelINS1_18TensorListMetadataILi2EEENS1_21BinaryOpScalarFunctorIhLi2ELi1ELi1EEEJNS0_7minimumIhEEhEEEvT_T0_DpT1_.numbered_sgpr, 25
	.set _ZN2at6native12_GLOBAL__N_125multi_tensor_apply_kernelINS1_18TensorListMetadataILi2EEENS1_21BinaryOpScalarFunctorIhLi2ELi1ELi1EEEJNS0_7minimumIhEEhEEEvT_T0_DpT1_.num_named_barrier, 0
	.set _ZN2at6native12_GLOBAL__N_125multi_tensor_apply_kernelINS1_18TensorListMetadataILi2EEENS1_21BinaryOpScalarFunctorIhLi2ELi1ELi1EEEJNS0_7minimumIhEEhEEEvT_T0_DpT1_.private_seg_size, 0
	.set _ZN2at6native12_GLOBAL__N_125multi_tensor_apply_kernelINS1_18TensorListMetadataILi2EEENS1_21BinaryOpScalarFunctorIhLi2ELi1ELi1EEEJNS0_7minimumIhEEhEEEvT_T0_DpT1_.uses_vcc, 1
	.set _ZN2at6native12_GLOBAL__N_125multi_tensor_apply_kernelINS1_18TensorListMetadataILi2EEENS1_21BinaryOpScalarFunctorIhLi2ELi1ELi1EEEJNS0_7minimumIhEEhEEEvT_T0_DpT1_.uses_flat_scratch, 0
	.set _ZN2at6native12_GLOBAL__N_125multi_tensor_apply_kernelINS1_18TensorListMetadataILi2EEENS1_21BinaryOpScalarFunctorIhLi2ELi1ELi1EEEJNS0_7minimumIhEEhEEEvT_T0_DpT1_.has_dyn_sized_stack, 0
	.set _ZN2at6native12_GLOBAL__N_125multi_tensor_apply_kernelINS1_18TensorListMetadataILi2EEENS1_21BinaryOpScalarFunctorIhLi2ELi1ELi1EEEJNS0_7minimumIhEEhEEEvT_T0_DpT1_.has_recursion, 0
	.set _ZN2at6native12_GLOBAL__N_125multi_tensor_apply_kernelINS1_18TensorListMetadataILi2EEENS1_21BinaryOpScalarFunctorIhLi2ELi1ELi1EEEJNS0_7minimumIhEEhEEEvT_T0_DpT1_.has_indirect_call, 0
	.section	.AMDGPU.csdata,"",@progbits
; Kernel info:
; codeLenInByte = 1080
; TotalNumSgprs: 31
; NumVgprs: 32
; NumAgprs: 0
; TotalNumVgprs: 32
; ScratchSize: 0
; MemoryBound: 0
; FloatMode: 240
; IeeeMode: 1
; LDSByteSize: 0 bytes/workgroup (compile time only)
; SGPRBlocks: 3
; VGPRBlocks: 3
; NumSGPRsForWavesPerEU: 31
; NumVGPRsForWavesPerEU: 32
; AccumOffset: 32
; Occupancy: 8
; WaveLimiterHint : 0
; COMPUTE_PGM_RSRC2:SCRATCH_EN: 0
; COMPUTE_PGM_RSRC2:USER_SGPR: 2
; COMPUTE_PGM_RSRC2:TRAP_HANDLER: 0
; COMPUTE_PGM_RSRC2:TGID_X_EN: 1
; COMPUTE_PGM_RSRC2:TGID_Y_EN: 0
; COMPUTE_PGM_RSRC2:TGID_Z_EN: 0
; COMPUTE_PGM_RSRC2:TIDIG_COMP_CNT: 0
; COMPUTE_PGM_RSRC3_GFX90A:ACCUM_OFFSET: 7
; COMPUTE_PGM_RSRC3_GFX90A:TG_SPLIT: 0
	.section	.text._ZN2at6native12_GLOBAL__N_125multi_tensor_apply_kernelINS1_18TensorListMetadataILi2EEENS1_21BinaryOpScalarFunctorIaLi2ELi1ELi1EEEJNS0_7minimumIaEEaEEEvT_T0_DpT1_,"axG",@progbits,_ZN2at6native12_GLOBAL__N_125multi_tensor_apply_kernelINS1_18TensorListMetadataILi2EEENS1_21BinaryOpScalarFunctorIaLi2ELi1ELi1EEEJNS0_7minimumIaEEaEEEvT_T0_DpT1_,comdat
	.globl	_ZN2at6native12_GLOBAL__N_125multi_tensor_apply_kernelINS1_18TensorListMetadataILi2EEENS1_21BinaryOpScalarFunctorIaLi2ELi1ELi1EEEJNS0_7minimumIaEEaEEEvT_T0_DpT1_ ; -- Begin function _ZN2at6native12_GLOBAL__N_125multi_tensor_apply_kernelINS1_18TensorListMetadataILi2EEENS1_21BinaryOpScalarFunctorIaLi2ELi1ELi1EEEJNS0_7minimumIaEEaEEEvT_T0_DpT1_
	.p2align	8
	.type	_ZN2at6native12_GLOBAL__N_125multi_tensor_apply_kernelINS1_18TensorListMetadataILi2EEENS1_21BinaryOpScalarFunctorIaLi2ELi1ELi1EEEJNS0_7minimumIaEEaEEEvT_T0_DpT1_,@function
_ZN2at6native12_GLOBAL__N_125multi_tensor_apply_kernelINS1_18TensorListMetadataILi2EEENS1_21BinaryOpScalarFunctorIaLi2ELi1ELi1EEEJNS0_7minimumIaEEaEEEvT_T0_DpT1_: ; @_ZN2at6native12_GLOBAL__N_125multi_tensor_apply_kernelINS1_18TensorListMetadataILi2EEENS1_21BinaryOpScalarFunctorIaLi2ELi1ELi1EEEJNS0_7minimumIaEEaEEEvT_T0_DpT1_
; %bb.0:
	v_mov_b32_e32 v1, s2
	global_load_ubyte v1, v1, s[0:1] offset:1536
	s_load_dword s3, s[0:1], 0xc48
	s_mul_hi_u32 s4, s2, 3
	s_mul_i32 s5, s2, 3
	s_waitcnt lgkmcnt(0)
	s_lshr_b32 s22, s3, 16
	s_add_u32 s2, s0, s2
	s_addc_u32 s3, s1, 0
	s_add_u32 s2, s2, s5
	s_addc_u32 s3, s3, s4
	s_load_dword s2, s[2:3], 0x740
	s_waitcnt vmcnt(0)
	v_readfirstlane_b32 s3, v1
	s_lshl_b32 s6, s3, 3
	s_load_dwordx2 s[8:9], s[0:1], s6 offset:0x0
	s_load_dwordx2 s[4:5], s[0:1], s6 offset:0x400
	s_load_dwordx2 s[10:11], s[0:1], s6 offset:0x200
	s_waitcnt lgkmcnt(0)
	s_ashr_i32 s3, s2, 31
	s_lshl_b64 s[12:13], s[2:3], 16
	s_add_u32 s2, s8, s12
	s_sub_u32 s14, s4, s12
	s_subb_u32 s15, s5, s13
	s_or_b32 s3, s4, s10
	s_or_b32 s2, s3, s2
	s_and_b32 s2, s2, 3
	s_cmp_eq_u32 s2, 0
	s_mov_b64 s[2:3], -1
	s_cbranch_scc1 .LBB117_21
; %bb.1:
	v_cmp_lt_i64_e64 s[2:3], s[14:15], 1
	s_and_b64 vcc, exec, s[2:3]
	s_cbranch_vccnz .LBB117_20
; %bb.2:
	s_load_dword s2, s[0:1], 0xc5c
	v_mov_b64_e32 v[2:3], 0x10000
	v_cmp_lt_i64_e32 vcc, s[14:15], v[2:3]
	s_and_b64 s[4:5], vcc, exec
	s_cselect_b32 s5, s15, 0
	s_cselect_b32 s4, s14, 0x10000
	s_waitcnt lgkmcnt(0)
	s_and_b32 s2, s2, 0xffff
	v_cmp_lt_u64_e32 vcc, s[14:15], v[2:3]
	s_and_b64 s[6:7], vcc, exec
	s_cselect_b32 s17, s15, 0
	s_cselect_b32 s16, s14, 0x10000
	s_lshl_b32 s6, s2, 1
	s_mul_i32 s18, s2, 3
	s_lshl_b32 s23, s2, 2
	s_mov_b32 s3, 0
	s_add_u32 s20, s12, s18
	v_mov_b32_e32 v1, 0
	s_mov_b32 s19, s3
	s_addc_u32 s21, s13, 0
	v_lshl_add_u64 v[10:11], s[18:19], 0, v[0:1]
	s_add_u32 s18, s12, s6
	v_lshl_add_u64 v[18:19], s[12:13], 0, v[0:1]
	s_addc_u32 s19, s13, 0
	s_mov_b32 s7, s3
	v_lshl_add_u64 v[8:9], s[20:21], 0, v[0:1]
	v_lshl_add_u64 v[14:15], s[18:19], 0, v[0:1]
	;; [unrolled: 1-line block ×13, first 2 shown]
	s_mov_b64 s[18:19], 0
	s_bfe_i32 s24, s22, 0x80000
	v_mov_b64_e32 v[24:25], s[4:5]
	s_branch .LBB117_4
.LBB117_3:                              ;   in Loop: Header=BB117_4 Depth=1
	s_or_b64 exec, exec, s[2:3]
	s_add_u32 s18, s18, s23
	s_addc_u32 s19, s19, 0
	v_cmp_lt_i64_e32 vcc, s[18:19], v[24:25]
	s_cbranch_vccz .LBB117_20
.LBB117_4:                              ; =>This Inner Loop Header: Depth=1
	s_waitcnt vmcnt(0)
	v_lshl_add_u64 v[26:27], v[0:1], 0, s[18:19]
	v_cmp_gt_u64_e32 vcc, s[16:17], v[26:27]
	v_mov_b32_e32 v27, 0
	s_and_saveexec_b64 s[2:3], vcc
	s_cbranch_execz .LBB117_6
; %bb.5:                                ;   in Loop: Header=BB117_4 Depth=1
	v_lshl_add_u64 v[26:27], v[2:3], 0, s[18:19]
	global_load_ubyte v27, v[26:27], off
.LBB117_6:                              ;   in Loop: Header=BB117_4 Depth=1
	s_or_b64 exec, exec, s[2:3]
	v_lshl_add_u64 v[28:29], v[22:23], 0, s[18:19]
	v_cmp_gt_u64_e64 s[2:3], s[16:17], v[28:29]
	v_mov_b32_e32 v26, 0
	v_mov_b32_e32 v28, 0
	s_and_saveexec_b64 s[4:5], s[2:3]
	s_cbranch_execz .LBB117_8
; %bb.7:                                ;   in Loop: Header=BB117_4 Depth=1
	v_lshl_add_u64 v[28:29], v[18:19], 0, s[18:19]
	global_load_ubyte v28, v[28:29], off
.LBB117_8:                              ;   in Loop: Header=BB117_4 Depth=1
	s_or_b64 exec, exec, s[4:5]
	v_lshl_add_u64 v[30:31], v[16:17], 0, s[18:19]
	v_cmp_gt_u64_e64 s[4:5], s[16:17], v[30:31]
	s_and_saveexec_b64 s[6:7], s[4:5]
	s_cbranch_execz .LBB117_10
; %bb.9:                                ;   in Loop: Header=BB117_4 Depth=1
	v_lshl_add_u64 v[30:31], v[12:13], 0, s[18:19]
	global_load_ubyte v26, v[30:31], off
.LBB117_10:                             ;   in Loop: Header=BB117_4 Depth=1
	s_or_b64 exec, exec, s[6:7]
	v_lshl_add_u64 v[30:31], v[10:11], 0, s[18:19]
	v_cmp_gt_u64_e64 s[6:7], s[16:17], v[30:31]
	v_mov_b32_e32 v29, 0
	s_and_saveexec_b64 s[20:21], s[6:7]
	s_cbranch_execnz .LBB117_15
; %bb.11:                               ;   in Loop: Header=BB117_4 Depth=1
	s_or_b64 exec, exec, s[20:21]
	s_and_saveexec_b64 s[20:21], vcc
	s_cbranch_execnz .LBB117_16
.LBB117_12:                             ;   in Loop: Header=BB117_4 Depth=1
	s_or_b64 exec, exec, s[20:21]
	s_and_saveexec_b64 s[20:21], s[2:3]
	s_cbranch_execnz .LBB117_17
.LBB117_13:                             ;   in Loop: Header=BB117_4 Depth=1
	s_or_b64 exec, exec, s[20:21]
	s_and_saveexec_b64 s[2:3], s[4:5]
	s_cbranch_execnz .LBB117_18
.LBB117_14:                             ;   in Loop: Header=BB117_4 Depth=1
	s_or_b64 exec, exec, s[2:3]
	s_and_saveexec_b64 s[2:3], s[6:7]
	s_cbranch_execz .LBB117_3
	s_branch .LBB117_19
.LBB117_15:                             ;   in Loop: Header=BB117_4 Depth=1
	v_lshl_add_u64 v[30:31], v[6:7], 0, s[18:19]
	global_load_ubyte v29, v[30:31], off
	s_or_b64 exec, exec, s[20:21]
	s_and_saveexec_b64 s[20:21], vcc
	s_cbranch_execz .LBB117_12
.LBB117_16:                             ;   in Loop: Header=BB117_4 Depth=1
	s_waitcnt vmcnt(0)
	v_min_i16_sdwa v27, sext(v27), s24 dst_sel:DWORD dst_unused:UNUSED_PAD src0_sel:BYTE_0 src1_sel:DWORD
	v_lshl_add_u64 v[30:31], v[4:5], 0, s[18:19]
	global_store_byte v[30:31], v27, off
	s_or_b64 exec, exec, s[20:21]
	s_and_saveexec_b64 s[20:21], s[2:3]
	s_cbranch_execz .LBB117_13
.LBB117_17:                             ;   in Loop: Header=BB117_4 Depth=1
	s_waitcnt vmcnt(0)
	v_min_i16_sdwa v27, sext(v28), s24 dst_sel:DWORD dst_unused:UNUSED_PAD src0_sel:BYTE_0 src1_sel:DWORD
	v_lshl_add_u64 v[30:31], v[20:21], 0, s[18:19]
	global_store_byte v[30:31], v27, off
	s_or_b64 exec, exec, s[20:21]
	s_and_saveexec_b64 s[2:3], s[4:5]
	s_cbranch_execz .LBB117_14
.LBB117_18:                             ;   in Loop: Header=BB117_4 Depth=1
	s_waitcnt vmcnt(0)
	v_min_i16_sdwa v28, sext(v26), s24 dst_sel:DWORD dst_unused:UNUSED_PAD src0_sel:BYTE_0 src1_sel:DWORD
	v_lshl_add_u64 v[26:27], v[14:15], 0, s[18:19]
	global_store_byte v[26:27], v28, off
	s_or_b64 exec, exec, s[2:3]
	s_and_saveexec_b64 s[2:3], s[6:7]
	s_cbranch_execz .LBB117_3
.LBB117_19:                             ;   in Loop: Header=BB117_4 Depth=1
	s_waitcnt vmcnt(0)
	v_min_i16_sdwa v28, sext(v29), s24 dst_sel:DWORD dst_unused:UNUSED_PAD src0_sel:BYTE_0 src1_sel:DWORD
	v_lshl_add_u64 v[26:27], v[8:9], 0, s[18:19]
	global_store_byte v[26:27], v28, off
	s_branch .LBB117_3
.LBB117_20:
	s_mov_b64 s[2:3], 0
.LBB117_21:
	s_andn2_b64 vcc, exec, s[2:3]
	s_cbranch_vccnz .LBB117_25
; %bb.22:
	v_mov_b64_e32 v[4:5], 0x10000
	v_cmp_lt_i64_e32 vcc, s[14:15], v[4:5]
	s_and_b64 s[4:5], vcc, exec
	v_mov_b32_e32 v3, 0
	s_cselect_b32 s5, s15, 0
	s_cselect_b32 s4, s14, 0x10000
	v_lshlrev_b32_e32 v2, 2, v0
	s_mov_b32 s3, 0
	v_cmp_gt_i64_e32 vcc, s[4:5], v[2:3]
	s_and_saveexec_b64 s[6:7], vcc
	s_cbranch_execz .LBB117_25
; %bb.23:
	s_load_dword s0, s[0:1], 0xc5c
	v_mov_b32_e32 v1, v3
	v_lshl_add_u64 v[2:3], s[12:13], 0, v[2:3]
	s_mov_b32 s1, s3
	s_mov_b64 s[6:7], 0
	s_waitcnt lgkmcnt(0)
	s_and_b32 s2, s0, 0xffff
	s_lshl_b32 s0, s2, 2
	s_bfe_i32 s12, s22, 0x80000
	s_movk_i32 s13, 0xff
.LBB117_24:                             ; =>This Inner Loop Header: Depth=1
	v_lshl_add_u64 v[4:5], s[8:9], 0, v[2:3]
	global_load_dword v8, v[4:5], off
	v_lshl_add_u64 v[0:1], v[0:1], 0, s[2:3]
	v_lshlrev_b64 v[6:7], 2, v[0:1]
	v_cmp_le_i64_e32 vcc, s[4:5], v[6:7]
	v_lshl_add_u64 v[4:5], s[10:11], 0, v[2:3]
	v_lshl_add_u64 v[2:3], v[2:3], 0, s[0:1]
	s_or_b64 s[6:7], vcc, s[6:7]
	s_waitcnt vmcnt(0)
	v_min_i16_sdwa v6, sext(v8), s12 dst_sel:DWORD dst_unused:UNUSED_PAD src0_sel:BYTE_0 src1_sel:DWORD
	v_lshrrev_b32_e32 v7, 8, v8
	v_lshrrev_b32_e32 v9, 16, v8
	v_lshrrev_b32_e32 v8, 24, v8
	v_min_i16_sdwa v7, sext(v7), s12 dst_sel:BYTE_1 dst_unused:UNUSED_PAD src0_sel:BYTE_0 src1_sel:DWORD
	v_min_i16_sdwa v9, sext(v9), s12 dst_sel:DWORD dst_unused:UNUSED_PAD src0_sel:BYTE_0 src1_sel:DWORD
	v_min_i16_sdwa v8, sext(v8), s12 dst_sel:BYTE_1 dst_unused:UNUSED_PAD src0_sel:BYTE_0 src1_sel:DWORD
	v_bitop3_b16 v6, v6, v7, s13 bitop3:0xec
	v_bitop3_b16 v7, v9, v8, s13 bitop3:0xec
	v_lshlrev_b32_e32 v7, 16, v7
	v_or_b32_sdwa v6, v6, v7 dst_sel:DWORD dst_unused:UNUSED_PAD src0_sel:WORD_0 src1_sel:DWORD
	global_store_dword v[4:5], v6, off
	s_andn2_b64 exec, exec, s[6:7]
	s_cbranch_execnz .LBB117_24
.LBB117_25:
	s_endpgm
	.section	.rodata,"a",@progbits
	.p2align	6, 0x0
	.amdhsa_kernel _ZN2at6native12_GLOBAL__N_125multi_tensor_apply_kernelINS1_18TensorListMetadataILi2EEENS1_21BinaryOpScalarFunctorIaLi2ELi1ELi1EEEJNS0_7minimumIaEEaEEEvT_T0_DpT1_
		.amdhsa_group_segment_fixed_size 0
		.amdhsa_private_segment_fixed_size 0
		.amdhsa_kernarg_size 3408
		.amdhsa_user_sgpr_count 2
		.amdhsa_user_sgpr_dispatch_ptr 0
		.amdhsa_user_sgpr_queue_ptr 0
		.amdhsa_user_sgpr_kernarg_segment_ptr 1
		.amdhsa_user_sgpr_dispatch_id 0
		.amdhsa_user_sgpr_kernarg_preload_length 0
		.amdhsa_user_sgpr_kernarg_preload_offset 0
		.amdhsa_user_sgpr_private_segment_size 0
		.amdhsa_uses_dynamic_stack 0
		.amdhsa_enable_private_segment 0
		.amdhsa_system_sgpr_workgroup_id_x 1
		.amdhsa_system_sgpr_workgroup_id_y 0
		.amdhsa_system_sgpr_workgroup_id_z 0
		.amdhsa_system_sgpr_workgroup_info 0
		.amdhsa_system_vgpr_workitem_id 0
		.amdhsa_next_free_vgpr 32
		.amdhsa_next_free_sgpr 25
		.amdhsa_accum_offset 32
		.amdhsa_reserve_vcc 1
		.amdhsa_float_round_mode_32 0
		.amdhsa_float_round_mode_16_64 0
		.amdhsa_float_denorm_mode_32 3
		.amdhsa_float_denorm_mode_16_64 3
		.amdhsa_dx10_clamp 1
		.amdhsa_ieee_mode 1
		.amdhsa_fp16_overflow 0
		.amdhsa_tg_split 0
		.amdhsa_exception_fp_ieee_invalid_op 0
		.amdhsa_exception_fp_denorm_src 0
		.amdhsa_exception_fp_ieee_div_zero 0
		.amdhsa_exception_fp_ieee_overflow 0
		.amdhsa_exception_fp_ieee_underflow 0
		.amdhsa_exception_fp_ieee_inexact 0
		.amdhsa_exception_int_div_zero 0
	.end_amdhsa_kernel
	.section	.text._ZN2at6native12_GLOBAL__N_125multi_tensor_apply_kernelINS1_18TensorListMetadataILi2EEENS1_21BinaryOpScalarFunctorIaLi2ELi1ELi1EEEJNS0_7minimumIaEEaEEEvT_T0_DpT1_,"axG",@progbits,_ZN2at6native12_GLOBAL__N_125multi_tensor_apply_kernelINS1_18TensorListMetadataILi2EEENS1_21BinaryOpScalarFunctorIaLi2ELi1ELi1EEEJNS0_7minimumIaEEaEEEvT_T0_DpT1_,comdat
.Lfunc_end117:
	.size	_ZN2at6native12_GLOBAL__N_125multi_tensor_apply_kernelINS1_18TensorListMetadataILi2EEENS1_21BinaryOpScalarFunctorIaLi2ELi1ELi1EEEJNS0_7minimumIaEEaEEEvT_T0_DpT1_, .Lfunc_end117-_ZN2at6native12_GLOBAL__N_125multi_tensor_apply_kernelINS1_18TensorListMetadataILi2EEENS1_21BinaryOpScalarFunctorIaLi2ELi1ELi1EEEJNS0_7minimumIaEEaEEEvT_T0_DpT1_
                                        ; -- End function
	.set _ZN2at6native12_GLOBAL__N_125multi_tensor_apply_kernelINS1_18TensorListMetadataILi2EEENS1_21BinaryOpScalarFunctorIaLi2ELi1ELi1EEEJNS0_7minimumIaEEaEEEvT_T0_DpT1_.num_vgpr, 32
	.set _ZN2at6native12_GLOBAL__N_125multi_tensor_apply_kernelINS1_18TensorListMetadataILi2EEENS1_21BinaryOpScalarFunctorIaLi2ELi1ELi1EEEJNS0_7minimumIaEEaEEEvT_T0_DpT1_.num_agpr, 0
	.set _ZN2at6native12_GLOBAL__N_125multi_tensor_apply_kernelINS1_18TensorListMetadataILi2EEENS1_21BinaryOpScalarFunctorIaLi2ELi1ELi1EEEJNS0_7minimumIaEEaEEEvT_T0_DpT1_.numbered_sgpr, 25
	.set _ZN2at6native12_GLOBAL__N_125multi_tensor_apply_kernelINS1_18TensorListMetadataILi2EEENS1_21BinaryOpScalarFunctorIaLi2ELi1ELi1EEEJNS0_7minimumIaEEaEEEvT_T0_DpT1_.num_named_barrier, 0
	.set _ZN2at6native12_GLOBAL__N_125multi_tensor_apply_kernelINS1_18TensorListMetadataILi2EEENS1_21BinaryOpScalarFunctorIaLi2ELi1ELi1EEEJNS0_7minimumIaEEaEEEvT_T0_DpT1_.private_seg_size, 0
	.set _ZN2at6native12_GLOBAL__N_125multi_tensor_apply_kernelINS1_18TensorListMetadataILi2EEENS1_21BinaryOpScalarFunctorIaLi2ELi1ELi1EEEJNS0_7minimumIaEEaEEEvT_T0_DpT1_.uses_vcc, 1
	.set _ZN2at6native12_GLOBAL__N_125multi_tensor_apply_kernelINS1_18TensorListMetadataILi2EEENS1_21BinaryOpScalarFunctorIaLi2ELi1ELi1EEEJNS0_7minimumIaEEaEEEvT_T0_DpT1_.uses_flat_scratch, 0
	.set _ZN2at6native12_GLOBAL__N_125multi_tensor_apply_kernelINS1_18TensorListMetadataILi2EEENS1_21BinaryOpScalarFunctorIaLi2ELi1ELi1EEEJNS0_7minimumIaEEaEEEvT_T0_DpT1_.has_dyn_sized_stack, 0
	.set _ZN2at6native12_GLOBAL__N_125multi_tensor_apply_kernelINS1_18TensorListMetadataILi2EEENS1_21BinaryOpScalarFunctorIaLi2ELi1ELi1EEEJNS0_7minimumIaEEaEEEvT_T0_DpT1_.has_recursion, 0
	.set _ZN2at6native12_GLOBAL__N_125multi_tensor_apply_kernelINS1_18TensorListMetadataILi2EEENS1_21BinaryOpScalarFunctorIaLi2ELi1ELi1EEEJNS0_7minimumIaEEaEEEvT_T0_DpT1_.has_indirect_call, 0
	.section	.AMDGPU.csdata,"",@progbits
; Kernel info:
; codeLenInByte = 1108
; TotalNumSgprs: 31
; NumVgprs: 32
; NumAgprs: 0
; TotalNumVgprs: 32
; ScratchSize: 0
; MemoryBound: 0
; FloatMode: 240
; IeeeMode: 1
; LDSByteSize: 0 bytes/workgroup (compile time only)
; SGPRBlocks: 3
; VGPRBlocks: 3
; NumSGPRsForWavesPerEU: 31
; NumVGPRsForWavesPerEU: 32
; AccumOffset: 32
; Occupancy: 8
; WaveLimiterHint : 0
; COMPUTE_PGM_RSRC2:SCRATCH_EN: 0
; COMPUTE_PGM_RSRC2:USER_SGPR: 2
; COMPUTE_PGM_RSRC2:TRAP_HANDLER: 0
; COMPUTE_PGM_RSRC2:TGID_X_EN: 1
; COMPUTE_PGM_RSRC2:TGID_Y_EN: 0
; COMPUTE_PGM_RSRC2:TGID_Z_EN: 0
; COMPUTE_PGM_RSRC2:TIDIG_COMP_CNT: 0
; COMPUTE_PGM_RSRC3_GFX90A:ACCUM_OFFSET: 7
; COMPUTE_PGM_RSRC3_GFX90A:TG_SPLIT: 0
	.section	.text._ZN2at6native12_GLOBAL__N_125multi_tensor_apply_kernelINS1_18TensorListMetadataILi2EEENS1_21BinaryOpScalarFunctorIiLi2ELi1ELi1EEEJNS0_7minimumIiEEiEEEvT_T0_DpT1_,"axG",@progbits,_ZN2at6native12_GLOBAL__N_125multi_tensor_apply_kernelINS1_18TensorListMetadataILi2EEENS1_21BinaryOpScalarFunctorIiLi2ELi1ELi1EEEJNS0_7minimumIiEEiEEEvT_T0_DpT1_,comdat
	.globl	_ZN2at6native12_GLOBAL__N_125multi_tensor_apply_kernelINS1_18TensorListMetadataILi2EEENS1_21BinaryOpScalarFunctorIiLi2ELi1ELi1EEEJNS0_7minimumIiEEiEEEvT_T0_DpT1_ ; -- Begin function _ZN2at6native12_GLOBAL__N_125multi_tensor_apply_kernelINS1_18TensorListMetadataILi2EEENS1_21BinaryOpScalarFunctorIiLi2ELi1ELi1EEEJNS0_7minimumIiEEiEEEvT_T0_DpT1_
	.p2align	8
	.type	_ZN2at6native12_GLOBAL__N_125multi_tensor_apply_kernelINS1_18TensorListMetadataILi2EEENS1_21BinaryOpScalarFunctorIiLi2ELi1ELi1EEEJNS0_7minimumIiEEiEEEvT_T0_DpT1_,@function
_ZN2at6native12_GLOBAL__N_125multi_tensor_apply_kernelINS1_18TensorListMetadataILi2EEENS1_21BinaryOpScalarFunctorIiLi2ELi1ELi1EEEJNS0_7minimumIiEEiEEEvT_T0_DpT1_: ; @_ZN2at6native12_GLOBAL__N_125multi_tensor_apply_kernelINS1_18TensorListMetadataILi2EEENS1_21BinaryOpScalarFunctorIiLi2ELi1ELi1EEEJNS0_7minimumIiEEiEEEvT_T0_DpT1_
; %bb.0:
	v_mov_b32_e32 v1, s2
	global_load_ubyte v1, v1, s[0:1] offset:1536
	s_add_u32 s4, s0, s2
	s_mul_hi_u32 s7, s2, 3
	s_mul_i32 s2, s2, 3
	s_addc_u32 s8, s1, 0
	s_add_u32 s6, s4, s2
	s_addc_u32 s7, s8, s7
	s_load_dword s6, s[6:7], 0x740
	s_mov_b32 s3, 0
	s_mov_b32 s5, s3
	s_waitcnt lgkmcnt(0)
	s_ashr_i32 s7, s6, 31
	s_lshl_b64 s[12:13], s[6:7], 18
	s_lshl_b64 s[6:7], s[6:7], 16
	s_waitcnt vmcnt(0)
	v_readfirstlane_b32 s2, v1
	s_lshl_b32 s2, s2, 3
	s_load_dword s24, s[0:1], 0xc4c
	s_load_dwordx2 s[16:17], s[0:1], s2 offset:0x400
	s_load_dwordx2 s[8:9], s[0:1], s2 offset:0x0
	;; [unrolled: 1-line block ×3, first 2 shown]
	s_waitcnt lgkmcnt(0)
	s_add_u32 s2, s8, s12
	s_and_b32 s4, s10, 15
	s_and_b32 s2, s2, 15
	s_sub_u32 s14, s16, s6
	s_subb_u32 s15, s17, s7
	s_and_b32 s6, s16, 3
	s_mov_b32 s7, s3
	s_or_b64 s[4:5], s[4:5], s[6:7]
	s_or_b64 s[2:3], s[4:5], s[2:3]
	s_cmp_eq_u64 s[2:3], 0
	s_mov_b64 s[2:3], -1
	s_cbranch_scc1 .LBB118_21
; %bb.1:
	v_cmp_lt_i64_e64 s[2:3], s[14:15], 1
	s_and_b64 vcc, exec, s[2:3]
	s_cbranch_vccnz .LBB118_20
; %bb.2:
	s_load_dword s2, s[0:1], 0xc5c
	v_mov_b64_e32 v[2:3], 0x10000
	v_cmp_lt_i64_e32 vcc, s[14:15], v[2:3]
	s_and_b64 s[4:5], vcc, exec
	s_mov_b32 s3, 0
	s_cselect_b32 s5, s15, 0
	s_cselect_b32 s4, s14, 0x10000
	s_waitcnt lgkmcnt(0)
	s_and_b32 s2, s2, 0xffff
	v_cmp_lt_u64_e32 vcc, s[14:15], v[2:3]
	v_mov_b32_e32 v1, 0
	s_and_b64 s[6:7], vcc, exec
	s_mul_i32 s20, s2, 3
	s_mov_b32 s21, s3
	s_cselect_b32 s17, s15, 0
	s_cselect_b32 s16, s14, 0x10000
	v_lshlrev_b32_e32 v12, 2, v0
	v_mov_b32_e32 v13, v1
	v_lshl_add_u64 v[10:11], s[20:21], 0, v[0:1]
	s_lshl_b32 s20, s2, 3
	v_lshl_add_u64 v[18:19], v[0:1], 0, s[2:3]
	s_lshl_b32 s6, s2, 1
	s_mov_b32 s7, s3
	v_mad_u64_u32 v[8:9], s[22:23], s2, 12, v[12:13]
	v_lshl_add_u64 v[14:15], s[20:21], 0, v[12:13]
	v_lshlrev_b32_e32 v22, 2, v18
	v_mov_b32_e32 v23, v1
	s_lshl_b32 s25, s2, 2
	v_lshl_add_u64 v[2:3], s[8:9], 0, v[12:13]
	s_lshl_b32 s18, s2, 4
	s_mov_b32 s19, s3
	v_lshl_add_u64 v[4:5], s[10:11], 0, v[12:13]
	v_lshl_add_u64 v[6:7], s[8:9], 0, v[8:9]
	;; [unrolled: 1-line block ×8, first 2 shown]
	s_mov_b64 s[20:21], 0
	v_mov_b64_e32 v[24:25], s[4:5]
	s_branch .LBB118_4
.LBB118_3:                              ;   in Loop: Header=BB118_4 Depth=1
	s_or_b64 exec, exec, s[2:3]
	s_add_u32 s20, s20, s25
	s_addc_u32 s21, s21, 0
	v_cmp_lt_i64_e32 vcc, s[20:21], v[24:25]
	v_lshl_add_u64 v[2:3], v[2:3], 0, s[18:19]
	v_lshl_add_u64 v[4:5], v[4:5], 0, s[18:19]
	;; [unrolled: 1-line block ×8, first 2 shown]
	s_cbranch_vccz .LBB118_20
.LBB118_4:                              ; =>This Inner Loop Header: Depth=1
	s_waitcnt vmcnt(0)
	v_lshl_add_u64 v[26:27], v[0:1], 0, s[20:21]
	v_cmp_gt_u64_e32 vcc, s[16:17], v[26:27]
	v_mov_b32_e32 v27, 0
	s_and_saveexec_b64 s[2:3], vcc
	s_cbranch_execz .LBB118_6
; %bb.5:                                ;   in Loop: Header=BB118_4 Depth=1
	v_lshl_add_u64 v[26:27], v[2:3], 0, s[12:13]
	global_load_dword v27, v[26:27], off
.LBB118_6:                              ;   in Loop: Header=BB118_4 Depth=1
	s_or_b64 exec, exec, s[2:3]
	v_lshl_add_u64 v[28:29], v[18:19], 0, s[20:21]
	v_cmp_gt_u64_e64 s[2:3], s[16:17], v[28:29]
	v_mov_b32_e32 v26, 0
	v_mov_b32_e32 v28, 0
	s_and_saveexec_b64 s[4:5], s[2:3]
	s_cbranch_execz .LBB118_8
; %bb.7:                                ;   in Loop: Header=BB118_4 Depth=1
	v_lshl_add_u64 v[28:29], v[20:21], 0, s[12:13]
	global_load_dword v28, v[28:29], off
.LBB118_8:                              ;   in Loop: Header=BB118_4 Depth=1
	s_or_b64 exec, exec, s[4:5]
	v_lshl_add_u64 v[30:31], v[16:17], 0, s[20:21]
	v_cmp_gt_u64_e64 s[4:5], s[16:17], v[30:31]
	s_and_saveexec_b64 s[6:7], s[4:5]
	s_cbranch_execz .LBB118_10
; %bb.9:                                ;   in Loop: Header=BB118_4 Depth=1
	v_lshl_add_u64 v[30:31], v[12:13], 0, s[12:13]
	global_load_dword v26, v[30:31], off
.LBB118_10:                             ;   in Loop: Header=BB118_4 Depth=1
	s_or_b64 exec, exec, s[6:7]
	v_lshl_add_u64 v[30:31], v[10:11], 0, s[20:21]
	v_cmp_gt_u64_e64 s[6:7], s[16:17], v[30:31]
	v_mov_b32_e32 v29, 0
	s_and_saveexec_b64 s[22:23], s[6:7]
	s_cbranch_execnz .LBB118_15
; %bb.11:                               ;   in Loop: Header=BB118_4 Depth=1
	s_or_b64 exec, exec, s[22:23]
	s_and_saveexec_b64 s[22:23], vcc
	s_cbranch_execnz .LBB118_16
.LBB118_12:                             ;   in Loop: Header=BB118_4 Depth=1
	s_or_b64 exec, exec, s[22:23]
	s_and_saveexec_b64 s[22:23], s[2:3]
	s_cbranch_execnz .LBB118_17
.LBB118_13:                             ;   in Loop: Header=BB118_4 Depth=1
	s_or_b64 exec, exec, s[22:23]
	s_and_saveexec_b64 s[2:3], s[4:5]
	s_cbranch_execnz .LBB118_18
.LBB118_14:                             ;   in Loop: Header=BB118_4 Depth=1
	s_or_b64 exec, exec, s[2:3]
	s_and_saveexec_b64 s[2:3], s[6:7]
	s_cbranch_execz .LBB118_3
	s_branch .LBB118_19
.LBB118_15:                             ;   in Loop: Header=BB118_4 Depth=1
	v_lshl_add_u64 v[30:31], v[6:7], 0, s[12:13]
	global_load_dword v29, v[30:31], off
	s_or_b64 exec, exec, s[22:23]
	s_and_saveexec_b64 s[22:23], vcc
	s_cbranch_execz .LBB118_12
.LBB118_16:                             ;   in Loop: Header=BB118_4 Depth=1
	s_waitcnt vmcnt(0)
	v_min_i32_e32 v27, s24, v27
	v_lshl_add_u64 v[30:31], v[4:5], 0, s[12:13]
	global_store_dword v[30:31], v27, off
	s_or_b64 exec, exec, s[22:23]
	s_and_saveexec_b64 s[22:23], s[2:3]
	s_cbranch_execz .LBB118_13
.LBB118_17:                             ;   in Loop: Header=BB118_4 Depth=1
	s_waitcnt vmcnt(0)
	v_min_i32_e32 v27, s24, v28
	v_lshl_add_u64 v[30:31], v[22:23], 0, s[12:13]
	global_store_dword v[30:31], v27, off
	s_or_b64 exec, exec, s[22:23]
	s_and_saveexec_b64 s[2:3], s[4:5]
	s_cbranch_execz .LBB118_14
.LBB118_18:                             ;   in Loop: Header=BB118_4 Depth=1
	s_waitcnt vmcnt(0)
	v_min_i32_e32 v28, s24, v26
	v_lshl_add_u64 v[26:27], v[14:15], 0, s[12:13]
	global_store_dword v[26:27], v28, off
	s_or_b64 exec, exec, s[2:3]
	s_and_saveexec_b64 s[2:3], s[6:7]
	s_cbranch_execz .LBB118_3
.LBB118_19:                             ;   in Loop: Header=BB118_4 Depth=1
	s_waitcnt vmcnt(0)
	v_min_i32_e32 v28, s24, v29
	v_lshl_add_u64 v[26:27], v[8:9], 0, s[12:13]
	global_store_dword v[26:27], v28, off
	s_branch .LBB118_3
.LBB118_20:
	s_mov_b64 s[2:3], 0
.LBB118_21:
	s_andn2_b64 vcc, exec, s[2:3]
	s_cbranch_vccnz .LBB118_25
; %bb.22:
	v_mov_b64_e32 v[4:5], 0x10000
	v_cmp_lt_i64_e32 vcc, s[14:15], v[4:5]
	s_and_b64 s[4:5], vcc, exec
	v_mov_b32_e32 v3, 0
	s_cselect_b32 s5, s15, 0
	s_cselect_b32 s4, s14, 0x10000
	v_lshlrev_b32_e32 v2, 2, v0
	s_mov_b32 s3, 0
	v_cmp_gt_i64_e32 vcc, s[4:5], v[2:3]
	s_and_saveexec_b64 s[6:7], vcc
	s_cbranch_execz .LBB118_25
; %bb.23:
	s_load_dword s0, s[0:1], 0xc5c
	v_lshlrev_b32_e32 v2, 4, v0
	v_mov_b32_e32 v1, v3
	s_mov_b32 s14, s24
	s_mov_b32 s15, s24
	s_waitcnt lgkmcnt(0)
	s_and_b32 s2, s0, 0xffff
	s_mov_b32 s16, s24
	v_lshl_add_u64 v[2:3], s[12:13], 0, v[2:3]
	s_lshl_b32 s0, s2, 4
	s_mov_b32 s1, s3
	s_mov_b64 s[6:7], 0
.LBB118_24:                             ; =>This Inner Loop Header: Depth=1
	v_lshl_add_u64 v[4:5], s[8:9], 0, v[2:3]
	global_load_dwordx4 v[4:7], v[4:5], off
	v_lshl_add_u64 v[0:1], v[0:1], 0, s[2:3]
	v_lshlrev_b64 v[10:11], 2, v[0:1]
	v_cmp_le_i64_e32 vcc, s[4:5], v[10:11]
	v_lshl_add_u64 v[8:9], s[10:11], 0, v[2:3]
	v_lshl_add_u64 v[2:3], v[2:3], 0, s[0:1]
	s_or_b64 s[6:7], vcc, s[6:7]
	s_waitcnt vmcnt(0)
	v_min_i32_e32 v7, s16, v7
	v_min_i32_e32 v6, s15, v6
	;; [unrolled: 1-line block ×4, first 2 shown]
	global_store_dwordx4 v[8:9], v[4:7], off
	s_andn2_b64 exec, exec, s[6:7]
	s_cbranch_execnz .LBB118_24
.LBB118_25:
	s_endpgm
	.section	.rodata,"a",@progbits
	.p2align	6, 0x0
	.amdhsa_kernel _ZN2at6native12_GLOBAL__N_125multi_tensor_apply_kernelINS1_18TensorListMetadataILi2EEENS1_21BinaryOpScalarFunctorIiLi2ELi1ELi1EEEJNS0_7minimumIiEEiEEEvT_T0_DpT1_
		.amdhsa_group_segment_fixed_size 0
		.amdhsa_private_segment_fixed_size 0
		.amdhsa_kernarg_size 3408
		.amdhsa_user_sgpr_count 2
		.amdhsa_user_sgpr_dispatch_ptr 0
		.amdhsa_user_sgpr_queue_ptr 0
		.amdhsa_user_sgpr_kernarg_segment_ptr 1
		.amdhsa_user_sgpr_dispatch_id 0
		.amdhsa_user_sgpr_kernarg_preload_length 0
		.amdhsa_user_sgpr_kernarg_preload_offset 0
		.amdhsa_user_sgpr_private_segment_size 0
		.amdhsa_uses_dynamic_stack 0
		.amdhsa_enable_private_segment 0
		.amdhsa_system_sgpr_workgroup_id_x 1
		.amdhsa_system_sgpr_workgroup_id_y 0
		.amdhsa_system_sgpr_workgroup_id_z 0
		.amdhsa_system_sgpr_workgroup_info 0
		.amdhsa_system_vgpr_workitem_id 0
		.amdhsa_next_free_vgpr 32
		.amdhsa_next_free_sgpr 26
		.amdhsa_accum_offset 32
		.amdhsa_reserve_vcc 1
		.amdhsa_float_round_mode_32 0
		.amdhsa_float_round_mode_16_64 0
		.amdhsa_float_denorm_mode_32 3
		.amdhsa_float_denorm_mode_16_64 3
		.amdhsa_dx10_clamp 1
		.amdhsa_ieee_mode 1
		.amdhsa_fp16_overflow 0
		.amdhsa_tg_split 0
		.amdhsa_exception_fp_ieee_invalid_op 0
		.amdhsa_exception_fp_denorm_src 0
		.amdhsa_exception_fp_ieee_div_zero 0
		.amdhsa_exception_fp_ieee_overflow 0
		.amdhsa_exception_fp_ieee_underflow 0
		.amdhsa_exception_fp_ieee_inexact 0
		.amdhsa_exception_int_div_zero 0
	.end_amdhsa_kernel
	.section	.text._ZN2at6native12_GLOBAL__N_125multi_tensor_apply_kernelINS1_18TensorListMetadataILi2EEENS1_21BinaryOpScalarFunctorIiLi2ELi1ELi1EEEJNS0_7minimumIiEEiEEEvT_T0_DpT1_,"axG",@progbits,_ZN2at6native12_GLOBAL__N_125multi_tensor_apply_kernelINS1_18TensorListMetadataILi2EEENS1_21BinaryOpScalarFunctorIiLi2ELi1ELi1EEEJNS0_7minimumIiEEiEEEvT_T0_DpT1_,comdat
.Lfunc_end118:
	.size	_ZN2at6native12_GLOBAL__N_125multi_tensor_apply_kernelINS1_18TensorListMetadataILi2EEENS1_21BinaryOpScalarFunctorIiLi2ELi1ELi1EEEJNS0_7minimumIiEEiEEEvT_T0_DpT1_, .Lfunc_end118-_ZN2at6native12_GLOBAL__N_125multi_tensor_apply_kernelINS1_18TensorListMetadataILi2EEENS1_21BinaryOpScalarFunctorIiLi2ELi1ELi1EEEJNS0_7minimumIiEEiEEEvT_T0_DpT1_
                                        ; -- End function
	.set _ZN2at6native12_GLOBAL__N_125multi_tensor_apply_kernelINS1_18TensorListMetadataILi2EEENS1_21BinaryOpScalarFunctorIiLi2ELi1ELi1EEEJNS0_7minimumIiEEiEEEvT_T0_DpT1_.num_vgpr, 32
	.set _ZN2at6native12_GLOBAL__N_125multi_tensor_apply_kernelINS1_18TensorListMetadataILi2EEENS1_21BinaryOpScalarFunctorIiLi2ELi1ELi1EEEJNS0_7minimumIiEEiEEEvT_T0_DpT1_.num_agpr, 0
	.set _ZN2at6native12_GLOBAL__N_125multi_tensor_apply_kernelINS1_18TensorListMetadataILi2EEENS1_21BinaryOpScalarFunctorIiLi2ELi1ELi1EEEJNS0_7minimumIiEEiEEEvT_T0_DpT1_.numbered_sgpr, 26
	.set _ZN2at6native12_GLOBAL__N_125multi_tensor_apply_kernelINS1_18TensorListMetadataILi2EEENS1_21BinaryOpScalarFunctorIiLi2ELi1ELi1EEEJNS0_7minimumIiEEiEEEvT_T0_DpT1_.num_named_barrier, 0
	.set _ZN2at6native12_GLOBAL__N_125multi_tensor_apply_kernelINS1_18TensorListMetadataILi2EEENS1_21BinaryOpScalarFunctorIiLi2ELi1ELi1EEEJNS0_7minimumIiEEiEEEvT_T0_DpT1_.private_seg_size, 0
	.set _ZN2at6native12_GLOBAL__N_125multi_tensor_apply_kernelINS1_18TensorListMetadataILi2EEENS1_21BinaryOpScalarFunctorIiLi2ELi1ELi1EEEJNS0_7minimumIiEEiEEEvT_T0_DpT1_.uses_vcc, 1
	.set _ZN2at6native12_GLOBAL__N_125multi_tensor_apply_kernelINS1_18TensorListMetadataILi2EEENS1_21BinaryOpScalarFunctorIiLi2ELi1ELi1EEEJNS0_7minimumIiEEiEEEvT_T0_DpT1_.uses_flat_scratch, 0
	.set _ZN2at6native12_GLOBAL__N_125multi_tensor_apply_kernelINS1_18TensorListMetadataILi2EEENS1_21BinaryOpScalarFunctorIiLi2ELi1ELi1EEEJNS0_7minimumIiEEiEEEvT_T0_DpT1_.has_dyn_sized_stack, 0
	.set _ZN2at6native12_GLOBAL__N_125multi_tensor_apply_kernelINS1_18TensorListMetadataILi2EEENS1_21BinaryOpScalarFunctorIiLi2ELi1ELi1EEEJNS0_7minimumIiEEiEEEvT_T0_DpT1_.has_recursion, 0
	.set _ZN2at6native12_GLOBAL__N_125multi_tensor_apply_kernelINS1_18TensorListMetadataILi2EEENS1_21BinaryOpScalarFunctorIiLi2ELi1ELi1EEEJNS0_7minimumIiEEiEEEvT_T0_DpT1_.has_indirect_call, 0
	.section	.AMDGPU.csdata,"",@progbits
; Kernel info:
; codeLenInByte = 1112
; TotalNumSgprs: 32
; NumVgprs: 32
; NumAgprs: 0
; TotalNumVgprs: 32
; ScratchSize: 0
; MemoryBound: 0
; FloatMode: 240
; IeeeMode: 1
; LDSByteSize: 0 bytes/workgroup (compile time only)
; SGPRBlocks: 3
; VGPRBlocks: 3
; NumSGPRsForWavesPerEU: 32
; NumVGPRsForWavesPerEU: 32
; AccumOffset: 32
; Occupancy: 8
; WaveLimiterHint : 0
; COMPUTE_PGM_RSRC2:SCRATCH_EN: 0
; COMPUTE_PGM_RSRC2:USER_SGPR: 2
; COMPUTE_PGM_RSRC2:TRAP_HANDLER: 0
; COMPUTE_PGM_RSRC2:TGID_X_EN: 1
; COMPUTE_PGM_RSRC2:TGID_Y_EN: 0
; COMPUTE_PGM_RSRC2:TGID_Z_EN: 0
; COMPUTE_PGM_RSRC2:TIDIG_COMP_CNT: 0
; COMPUTE_PGM_RSRC3_GFX90A:ACCUM_OFFSET: 7
; COMPUTE_PGM_RSRC3_GFX90A:TG_SPLIT: 0
	.section	.text._ZN2at6native12_GLOBAL__N_125multi_tensor_apply_kernelINS1_18TensorListMetadataILi2EEENS1_21BinaryOpScalarFunctorIlLi2ELi1ELi1EEEJNS0_7minimumIlEElEEEvT_T0_DpT1_,"axG",@progbits,_ZN2at6native12_GLOBAL__N_125multi_tensor_apply_kernelINS1_18TensorListMetadataILi2EEENS1_21BinaryOpScalarFunctorIlLi2ELi1ELi1EEEJNS0_7minimumIlEElEEEvT_T0_DpT1_,comdat
	.globl	_ZN2at6native12_GLOBAL__N_125multi_tensor_apply_kernelINS1_18TensorListMetadataILi2EEENS1_21BinaryOpScalarFunctorIlLi2ELi1ELi1EEEJNS0_7minimumIlEElEEEvT_T0_DpT1_ ; -- Begin function _ZN2at6native12_GLOBAL__N_125multi_tensor_apply_kernelINS1_18TensorListMetadataILi2EEENS1_21BinaryOpScalarFunctorIlLi2ELi1ELi1EEEJNS0_7minimumIlEElEEEvT_T0_DpT1_
	.p2align	8
	.type	_ZN2at6native12_GLOBAL__N_125multi_tensor_apply_kernelINS1_18TensorListMetadataILi2EEENS1_21BinaryOpScalarFunctorIlLi2ELi1ELi1EEEJNS0_7minimumIlEElEEEvT_T0_DpT1_,@function
_ZN2at6native12_GLOBAL__N_125multi_tensor_apply_kernelINS1_18TensorListMetadataILi2EEENS1_21BinaryOpScalarFunctorIlLi2ELi1ELi1EEEJNS0_7minimumIlEElEEEvT_T0_DpT1_: ; @_ZN2at6native12_GLOBAL__N_125multi_tensor_apply_kernelINS1_18TensorListMetadataILi2EEENS1_21BinaryOpScalarFunctorIlLi2ELi1ELi1EEEJNS0_7minimumIlEElEEEvT_T0_DpT1_
; %bb.0:
	v_mov_b32_e32 v1, s2
	global_load_ubyte v1, v1, s[0:1] offset:1536
	s_add_u32 s4, s0, s2
	s_mul_hi_u32 s7, s2, 3
	s_mul_i32 s2, s2, 3
	s_addc_u32 s8, s1, 0
	s_add_u32 s6, s4, s2
	s_addc_u32 s7, s8, s7
	s_load_dword s6, s[6:7], 0x740
	s_mov_b32 s3, 0
	s_mov_b32 s5, s3
	s_waitcnt lgkmcnt(0)
	s_ashr_i32 s7, s6, 31
	s_lshl_b64 s[14:15], s[6:7], 19
	s_lshl_b64 s[6:7], s[6:7], 16
	s_waitcnt vmcnt(0)
	v_readfirstlane_b32 s2, v1
	s_lshl_b32 s2, s2, 3
	s_load_dwordx2 s[8:9], s[0:1], 0xc50
	s_load_dwordx2 s[18:19], s[0:1], s2 offset:0x400
	s_load_dwordx2 s[10:11], s[0:1], s2 offset:0x0
	s_load_dwordx2 s[12:13], s[0:1], s2 offset:0x200
	s_waitcnt lgkmcnt(0)
	s_add_u32 s2, s10, s14
	s_and_b32 s4, s12, 31
	s_and_b32 s2, s2, 31
	s_sub_u32 s16, s18, s6
	s_subb_u32 s17, s19, s7
	s_and_b32 s6, s18, 3
	s_mov_b32 s7, s3
	s_or_b64 s[4:5], s[4:5], s[6:7]
	s_or_b64 s[2:3], s[4:5], s[2:3]
	s_cmp_eq_u64 s[2:3], 0
	s_mov_b64 s[2:3], -1
	s_cbranch_scc1 .LBB119_21
; %bb.1:
	v_cmp_lt_i64_e64 s[2:3], s[16:17], 1
	s_and_b64 vcc, exec, s[2:3]
	s_cbranch_vccnz .LBB119_20
; %bb.2:
	s_load_dword s2, s[0:1], 0xc64
	v_mov_b64_e32 v[2:3], 0x10000
	v_cmp_lt_i64_e32 vcc, s[16:17], v[2:3]
	s_and_b64 s[4:5], vcc, exec
	s_mov_b32 s3, 0
	s_cselect_b32 s19, s17, 0
	s_cselect_b32 s18, s16, 0x10000
	s_waitcnt lgkmcnt(0)
	s_and_b32 s2, s2, 0xffff
	v_cmp_lt_u64_e32 vcc, s[16:17], v[2:3]
	v_mov_b32_e32 v1, 0
	s_and_b64 s[4:5], vcc, exec
	s_mul_i32 s6, s2, 3
	s_mov_b32 s7, s3
	s_cselect_b32 s21, s17, 0
	s_cselect_b32 s20, s16, 0x10000
	v_lshlrev_b32_e32 v12, 3, v0
	v_mov_b32_e32 v13, v1
	v_lshl_add_u64 v[10:11], s[6:7], 0, v[0:1]
	s_lshl_b32 s6, s2, 4
	v_lshl_add_u64 v[18:19], v[0:1], 0, s[2:3]
	s_lshl_b32 s4, s2, 1
	s_mov_b32 s5, s3
	v_mad_u64_u32 v[8:9], s[24:25], s2, 24, v[12:13]
	v_lshl_add_u64 v[14:15], s[6:7], 0, v[12:13]
	v_lshlrev_b32_e32 v22, 3, v18
	v_mov_b32_e32 v23, v1
	s_lshl_b32 s28, s2, 2
	v_lshl_add_u64 v[2:3], s[10:11], 0, v[12:13]
	s_lshl_b32 s22, s2, 5
	s_mov_b32 s23, s3
	v_lshl_add_u64 v[4:5], s[12:13], 0, v[12:13]
	v_lshl_add_u64 v[6:7], s[10:11], 0, v[8:9]
	;; [unrolled: 1-line block ×8, first 2 shown]
	s_mov_b64 s[24:25], 0
	s_branch .LBB119_4
.LBB119_3:                              ;   in Loop: Header=BB119_4 Depth=1
	s_or_b64 exec, exec, s[2:3]
	s_add_u32 s24, s24, s28
	s_addc_u32 s25, s25, 0
	s_waitcnt vmcnt(0)
	v_mov_b64_e32 v[24:25], s[18:19]
	v_cmp_lt_i64_e32 vcc, s[24:25], v[24:25]
	v_lshl_add_u64 v[2:3], v[2:3], 0, s[22:23]
	v_lshl_add_u64 v[4:5], v[4:5], 0, s[22:23]
	;; [unrolled: 1-line block ×8, first 2 shown]
	s_cbranch_vccz .LBB119_20
.LBB119_4:                              ; =>This Inner Loop Header: Depth=1
	v_lshl_add_u64 v[24:25], v[0:1], 0, s[24:25]
	v_cmp_gt_u64_e64 s[6:7], s[20:21], v[24:25]
	v_mov_b64_e32 v[26:27], 0
	v_mov_b64_e32 v[30:31], 0
	s_and_saveexec_b64 s[2:3], s[6:7]
	s_cbranch_execz .LBB119_6
; %bb.5:                                ;   in Loop: Header=BB119_4 Depth=1
	v_lshl_add_u64 v[24:25], v[2:3], 0, s[14:15]
	global_load_dwordx2 v[30:31], v[24:25], off
.LBB119_6:                              ;   in Loop: Header=BB119_4 Depth=1
	s_or_b64 exec, exec, s[2:3]
	v_lshl_add_u64 v[24:25], v[18:19], 0, s[24:25]
	v_cmp_gt_u64_e64 s[4:5], s[20:21], v[24:25]
	s_and_saveexec_b64 s[2:3], s[4:5]
	s_cbranch_execz .LBB119_8
; %bb.7:                                ;   in Loop: Header=BB119_4 Depth=1
	v_lshl_add_u64 v[24:25], v[20:21], 0, s[14:15]
	global_load_dwordx2 v[26:27], v[24:25], off
.LBB119_8:                              ;   in Loop: Header=BB119_4 Depth=1
	s_or_b64 exec, exec, s[2:3]
	v_lshl_add_u64 v[24:25], v[16:17], 0, s[24:25]
	v_cmp_gt_u64_e64 s[2:3], s[20:21], v[24:25]
	v_mov_b64_e32 v[24:25], 0
	v_mov_b64_e32 v[28:29], 0
	s_and_saveexec_b64 s[26:27], s[2:3]
	s_cbranch_execz .LBB119_10
; %bb.9:                                ;   in Loop: Header=BB119_4 Depth=1
	v_lshl_add_u64 v[28:29], v[12:13], 0, s[14:15]
	global_load_dwordx2 v[28:29], v[28:29], off
.LBB119_10:                             ;   in Loop: Header=BB119_4 Depth=1
	s_or_b64 exec, exec, s[26:27]
	v_lshl_add_u64 v[32:33], v[10:11], 0, s[24:25]
	v_cmp_gt_u64_e32 vcc, s[20:21], v[32:33]
	s_and_saveexec_b64 s[26:27], vcc
	s_cbranch_execnz .LBB119_15
; %bb.11:                               ;   in Loop: Header=BB119_4 Depth=1
	s_or_b64 exec, exec, s[26:27]
	s_and_saveexec_b64 s[26:27], s[6:7]
	s_cbranch_execnz .LBB119_16
.LBB119_12:                             ;   in Loop: Header=BB119_4 Depth=1
	s_or_b64 exec, exec, s[26:27]
	s_and_saveexec_b64 s[6:7], s[4:5]
	s_cbranch_execnz .LBB119_17
.LBB119_13:                             ;   in Loop: Header=BB119_4 Depth=1
	s_or_b64 exec, exec, s[6:7]
	s_and_saveexec_b64 s[4:5], s[2:3]
	s_cbranch_execnz .LBB119_18
.LBB119_14:                             ;   in Loop: Header=BB119_4 Depth=1
	s_or_b64 exec, exec, s[4:5]
	s_and_saveexec_b64 s[2:3], vcc
	s_cbranch_execz .LBB119_3
	s_branch .LBB119_19
.LBB119_15:                             ;   in Loop: Header=BB119_4 Depth=1
	v_lshl_add_u64 v[24:25], v[6:7], 0, s[14:15]
	global_load_dwordx2 v[24:25], v[24:25], off
	s_or_b64 exec, exec, s[26:27]
	s_and_saveexec_b64 s[26:27], s[6:7]
	s_cbranch_execz .LBB119_12
.LBB119_16:                             ;   in Loop: Header=BB119_4 Depth=1
	v_mov_b32_e32 v32, s9
	s_waitcnt vmcnt(0)
	v_cmp_gt_i64_e64 s[6:7], s[8:9], v[30:31]
	s_nop 1
	v_cndmask_b32_e64 v31, v32, v31, s[6:7]
	v_mov_b32_e32 v32, s8
	v_cndmask_b32_e64 v30, v32, v30, s[6:7]
	v_lshl_add_u64 v[32:33], v[4:5], 0, s[14:15]
	global_store_dwordx2 v[32:33], v[30:31], off
	s_or_b64 exec, exec, s[26:27]
	s_and_saveexec_b64 s[6:7], s[4:5]
	s_cbranch_execz .LBB119_13
.LBB119_17:                             ;   in Loop: Header=BB119_4 Depth=1
	s_waitcnt vmcnt(0)
	v_mov_b32_e32 v30, s9
	v_cmp_gt_i64_e64 s[4:5], s[8:9], v[26:27]
	s_nop 1
	v_cndmask_b32_e64 v27, v30, v27, s[4:5]
	v_mov_b32_e32 v30, s8
	v_cndmask_b32_e64 v26, v30, v26, s[4:5]
	v_lshl_add_u64 v[30:31], v[22:23], 0, s[14:15]
	global_store_dwordx2 v[30:31], v[26:27], off
	s_or_b64 exec, exec, s[6:7]
	s_and_saveexec_b64 s[4:5], s[2:3]
	s_cbranch_execz .LBB119_14
.LBB119_18:                             ;   in Loop: Header=BB119_4 Depth=1
	s_waitcnt vmcnt(0)
	v_mov_b32_e32 v26, s9
	v_cmp_gt_i64_e64 s[2:3], s[8:9], v[28:29]
	s_nop 1
	v_cndmask_b32_e64 v27, v26, v29, s[2:3]
	v_mov_b32_e32 v26, s8
	v_cndmask_b32_e64 v26, v26, v28, s[2:3]
	v_lshl_add_u64 v[28:29], v[14:15], 0, s[14:15]
	global_store_dwordx2 v[28:29], v[26:27], off
	s_or_b64 exec, exec, s[4:5]
	s_and_saveexec_b64 s[2:3], vcc
	s_cbranch_execz .LBB119_3
.LBB119_19:                             ;   in Loop: Header=BB119_4 Depth=1
	s_waitcnt vmcnt(0)
	v_mov_b32_e32 v26, s9
	v_cmp_gt_i64_e32 vcc, s[8:9], v[24:25]
	s_nop 1
	v_cndmask_b32_e32 v25, v26, v25, vcc
	v_mov_b32_e32 v26, s8
	v_cndmask_b32_e32 v24, v26, v24, vcc
	v_lshl_add_u64 v[26:27], v[8:9], 0, s[14:15]
	global_store_dwordx2 v[26:27], v[24:25], off
	s_branch .LBB119_3
.LBB119_20:
	s_mov_b64 s[2:3], 0
.LBB119_21:
	s_andn2_b64 vcc, exec, s[2:3]
	s_cbranch_vccnz .LBB119_25
; %bb.22:
	v_mov_b64_e32 v[4:5], 0x10000
	v_cmp_lt_i64_e32 vcc, s[16:17], v[4:5]
	s_and_b64 s[2:3], vcc, exec
	v_mov_b32_e32 v3, 0
	s_cselect_b32 s17, s17, 0
	s_cselect_b32 s16, s16, 0x10000
	v_lshlrev_b32_e32 v2, 2, v0
	s_mov_b32 s7, 0
	v_cmp_gt_i64_e32 vcc, s[16:17], v[2:3]
	s_and_saveexec_b64 s[2:3], vcc
	s_cbranch_execz .LBB119_25
; %bb.23:
	s_load_dword s0, s[0:1], 0xc64
	v_lshlrev_b32_e32 v2, 5, v0
	v_mov_b32_e32 v1, v3
	s_mov_b32 s19, s7
	v_lshl_add_u64 v[2:3], s[14:15], 0, v[2:3]
	s_waitcnt lgkmcnt(0)
	s_and_b32 s6, s0, 0xffff
	s_lshl_b32 s18, s6, 5
	s_mov_b64 s[14:15], 0
	v_mov_b32_e32 v4, s9
	v_mov_b32_e32 v5, s8
.LBB119_24:                             ; =>This Inner Loop Header: Depth=1
	v_lshl_add_u64 v[14:15], s[10:11], 0, v[2:3]
	global_load_dwordx4 v[6:9], v[14:15], off
	global_load_dwordx4 v[10:13], v[14:15], off offset:16
	v_lshl_add_u64 v[0:1], v[0:1], 0, s[6:7]
	v_lshlrev_b64 v[16:17], 2, v[0:1]
	v_cmp_le_i64_e32 vcc, s[16:17], v[16:17]
	s_or_b64 s[14:15], vcc, s[14:15]
	v_lshl_add_u64 v[14:15], s[12:13], 0, v[2:3]
	v_lshl_add_u64 v[2:3], v[2:3], 0, s[18:19]
	s_waitcnt vmcnt(1)
	v_cmp_gt_i64_e32 vcc, s[8:9], v[6:7]
	v_cmp_gt_i64_e64 s[0:1], s[8:9], v[8:9]
	s_nop 0
	v_cndmask_b32_e32 v7, v4, v7, vcc
	s_waitcnt vmcnt(0)
	v_cmp_gt_i64_e64 s[2:3], s[8:9], v[10:11]
	v_cndmask_b32_e64 v9, v4, v9, s[0:1]
	v_cmp_gt_i64_e64 s[4:5], s[8:9], v[12:13]
	v_cndmask_b32_e32 v6, v5, v6, vcc
	v_cndmask_b32_e64 v8, v5, v8, s[0:1]
	v_cndmask_b32_e64 v11, v4, v11, s[2:3]
	;; [unrolled: 1-line block ×5, first 2 shown]
	global_store_dwordx4 v[14:15], v[6:9], off
	global_store_dwordx4 v[14:15], v[10:13], off offset:16
	s_andn2_b64 exec, exec, s[14:15]
	s_cbranch_execnz .LBB119_24
.LBB119_25:
	s_endpgm
	.section	.rodata,"a",@progbits
	.p2align	6, 0x0
	.amdhsa_kernel _ZN2at6native12_GLOBAL__N_125multi_tensor_apply_kernelINS1_18TensorListMetadataILi2EEENS1_21BinaryOpScalarFunctorIlLi2ELi1ELi1EEEJNS0_7minimumIlEElEEEvT_T0_DpT1_
		.amdhsa_group_segment_fixed_size 0
		.amdhsa_private_segment_fixed_size 0
		.amdhsa_kernarg_size 3416
		.amdhsa_user_sgpr_count 2
		.amdhsa_user_sgpr_dispatch_ptr 0
		.amdhsa_user_sgpr_queue_ptr 0
		.amdhsa_user_sgpr_kernarg_segment_ptr 1
		.amdhsa_user_sgpr_dispatch_id 0
		.amdhsa_user_sgpr_kernarg_preload_length 0
		.amdhsa_user_sgpr_kernarg_preload_offset 0
		.amdhsa_user_sgpr_private_segment_size 0
		.amdhsa_uses_dynamic_stack 0
		.amdhsa_enable_private_segment 0
		.amdhsa_system_sgpr_workgroup_id_x 1
		.amdhsa_system_sgpr_workgroup_id_y 0
		.amdhsa_system_sgpr_workgroup_id_z 0
		.amdhsa_system_sgpr_workgroup_info 0
		.amdhsa_system_vgpr_workitem_id 0
		.amdhsa_next_free_vgpr 34
		.amdhsa_next_free_sgpr 29
		.amdhsa_accum_offset 36
		.amdhsa_reserve_vcc 1
		.amdhsa_float_round_mode_32 0
		.amdhsa_float_round_mode_16_64 0
		.amdhsa_float_denorm_mode_32 3
		.amdhsa_float_denorm_mode_16_64 3
		.amdhsa_dx10_clamp 1
		.amdhsa_ieee_mode 1
		.amdhsa_fp16_overflow 0
		.amdhsa_tg_split 0
		.amdhsa_exception_fp_ieee_invalid_op 0
		.amdhsa_exception_fp_denorm_src 0
		.amdhsa_exception_fp_ieee_div_zero 0
		.amdhsa_exception_fp_ieee_overflow 0
		.amdhsa_exception_fp_ieee_underflow 0
		.amdhsa_exception_fp_ieee_inexact 0
		.amdhsa_exception_int_div_zero 0
	.end_amdhsa_kernel
	.section	.text._ZN2at6native12_GLOBAL__N_125multi_tensor_apply_kernelINS1_18TensorListMetadataILi2EEENS1_21BinaryOpScalarFunctorIlLi2ELi1ELi1EEEJNS0_7minimumIlEElEEEvT_T0_DpT1_,"axG",@progbits,_ZN2at6native12_GLOBAL__N_125multi_tensor_apply_kernelINS1_18TensorListMetadataILi2EEENS1_21BinaryOpScalarFunctorIlLi2ELi1ELi1EEEJNS0_7minimumIlEElEEEvT_T0_DpT1_,comdat
.Lfunc_end119:
	.size	_ZN2at6native12_GLOBAL__N_125multi_tensor_apply_kernelINS1_18TensorListMetadataILi2EEENS1_21BinaryOpScalarFunctorIlLi2ELi1ELi1EEEJNS0_7minimumIlEElEEEvT_T0_DpT1_, .Lfunc_end119-_ZN2at6native12_GLOBAL__N_125multi_tensor_apply_kernelINS1_18TensorListMetadataILi2EEENS1_21BinaryOpScalarFunctorIlLi2ELi1ELi1EEEJNS0_7minimumIlEElEEEvT_T0_DpT1_
                                        ; -- End function
	.set _ZN2at6native12_GLOBAL__N_125multi_tensor_apply_kernelINS1_18TensorListMetadataILi2EEENS1_21BinaryOpScalarFunctorIlLi2ELi1ELi1EEEJNS0_7minimumIlEElEEEvT_T0_DpT1_.num_vgpr, 34
	.set _ZN2at6native12_GLOBAL__N_125multi_tensor_apply_kernelINS1_18TensorListMetadataILi2EEENS1_21BinaryOpScalarFunctorIlLi2ELi1ELi1EEEJNS0_7minimumIlEElEEEvT_T0_DpT1_.num_agpr, 0
	.set _ZN2at6native12_GLOBAL__N_125multi_tensor_apply_kernelINS1_18TensorListMetadataILi2EEENS1_21BinaryOpScalarFunctorIlLi2ELi1ELi1EEEJNS0_7minimumIlEElEEEvT_T0_DpT1_.numbered_sgpr, 29
	.set _ZN2at6native12_GLOBAL__N_125multi_tensor_apply_kernelINS1_18TensorListMetadataILi2EEENS1_21BinaryOpScalarFunctorIlLi2ELi1ELi1EEEJNS0_7minimumIlEElEEEvT_T0_DpT1_.num_named_barrier, 0
	.set _ZN2at6native12_GLOBAL__N_125multi_tensor_apply_kernelINS1_18TensorListMetadataILi2EEENS1_21BinaryOpScalarFunctorIlLi2ELi1ELi1EEEJNS0_7minimumIlEElEEEvT_T0_DpT1_.private_seg_size, 0
	.set _ZN2at6native12_GLOBAL__N_125multi_tensor_apply_kernelINS1_18TensorListMetadataILi2EEENS1_21BinaryOpScalarFunctorIlLi2ELi1ELi1EEEJNS0_7minimumIlEElEEEvT_T0_DpT1_.uses_vcc, 1
	.set _ZN2at6native12_GLOBAL__N_125multi_tensor_apply_kernelINS1_18TensorListMetadataILi2EEENS1_21BinaryOpScalarFunctorIlLi2ELi1ELi1EEEJNS0_7minimumIlEElEEEvT_T0_DpT1_.uses_flat_scratch, 0
	.set _ZN2at6native12_GLOBAL__N_125multi_tensor_apply_kernelINS1_18TensorListMetadataILi2EEENS1_21BinaryOpScalarFunctorIlLi2ELi1ELi1EEEJNS0_7minimumIlEElEEEvT_T0_DpT1_.has_dyn_sized_stack, 0
	.set _ZN2at6native12_GLOBAL__N_125multi_tensor_apply_kernelINS1_18TensorListMetadataILi2EEENS1_21BinaryOpScalarFunctorIlLi2ELi1ELi1EEEJNS0_7minimumIlEElEEEvT_T0_DpT1_.has_recursion, 0
	.set _ZN2at6native12_GLOBAL__N_125multi_tensor_apply_kernelINS1_18TensorListMetadataILi2EEENS1_21BinaryOpScalarFunctorIlLi2ELi1ELi1EEEJNS0_7minimumIlEElEEEvT_T0_DpT1_.has_indirect_call, 0
	.section	.AMDGPU.csdata,"",@progbits
; Kernel info:
; codeLenInByte = 1316
; TotalNumSgprs: 35
; NumVgprs: 34
; NumAgprs: 0
; TotalNumVgprs: 34
; ScratchSize: 0
; MemoryBound: 0
; FloatMode: 240
; IeeeMode: 1
; LDSByteSize: 0 bytes/workgroup (compile time only)
; SGPRBlocks: 4
; VGPRBlocks: 4
; NumSGPRsForWavesPerEU: 35
; NumVGPRsForWavesPerEU: 34
; AccumOffset: 36
; Occupancy: 8
; WaveLimiterHint : 0
; COMPUTE_PGM_RSRC2:SCRATCH_EN: 0
; COMPUTE_PGM_RSRC2:USER_SGPR: 2
; COMPUTE_PGM_RSRC2:TRAP_HANDLER: 0
; COMPUTE_PGM_RSRC2:TGID_X_EN: 1
; COMPUTE_PGM_RSRC2:TGID_Y_EN: 0
; COMPUTE_PGM_RSRC2:TGID_Z_EN: 0
; COMPUTE_PGM_RSRC2:TIDIG_COMP_CNT: 0
; COMPUTE_PGM_RSRC3_GFX90A:ACCUM_OFFSET: 8
; COMPUTE_PGM_RSRC3_GFX90A:TG_SPLIT: 0
	.section	.text._ZN2at6native12_GLOBAL__N_125multi_tensor_apply_kernelINS1_18TensorListMetadataILi2EEENS1_21BinaryOpScalarFunctorIsLi2ELi1ELi1EEEJNS0_7minimumIsEEsEEEvT_T0_DpT1_,"axG",@progbits,_ZN2at6native12_GLOBAL__N_125multi_tensor_apply_kernelINS1_18TensorListMetadataILi2EEENS1_21BinaryOpScalarFunctorIsLi2ELi1ELi1EEEJNS0_7minimumIsEEsEEEvT_T0_DpT1_,comdat
	.globl	_ZN2at6native12_GLOBAL__N_125multi_tensor_apply_kernelINS1_18TensorListMetadataILi2EEENS1_21BinaryOpScalarFunctorIsLi2ELi1ELi1EEEJNS0_7minimumIsEEsEEEvT_T0_DpT1_ ; -- Begin function _ZN2at6native12_GLOBAL__N_125multi_tensor_apply_kernelINS1_18TensorListMetadataILi2EEENS1_21BinaryOpScalarFunctorIsLi2ELi1ELi1EEEJNS0_7minimumIsEEsEEEvT_T0_DpT1_
	.p2align	8
	.type	_ZN2at6native12_GLOBAL__N_125multi_tensor_apply_kernelINS1_18TensorListMetadataILi2EEENS1_21BinaryOpScalarFunctorIsLi2ELi1ELi1EEEJNS0_7minimumIsEEsEEEvT_T0_DpT1_,@function
_ZN2at6native12_GLOBAL__N_125multi_tensor_apply_kernelINS1_18TensorListMetadataILi2EEENS1_21BinaryOpScalarFunctorIsLi2ELi1ELi1EEEJNS0_7minimumIsEEsEEEvT_T0_DpT1_: ; @_ZN2at6native12_GLOBAL__N_125multi_tensor_apply_kernelINS1_18TensorListMetadataILi2EEENS1_21BinaryOpScalarFunctorIsLi2ELi1ELi1EEEJNS0_7minimumIsEEsEEEvT_T0_DpT1_
; %bb.0:
	v_mov_b32_e32 v1, s2
	global_load_ubyte v1, v1, s[0:1] offset:1536
	s_load_dword s4, s[0:1], 0xc48
	s_mul_hi_u32 s7, s2, 3
	s_mul_i32 s6, s2, 3
	s_mov_b32 s3, 0
	s_mov_b32 s5, s3
	s_waitcnt lgkmcnt(0)
	s_lshr_b32 s26, s4, 16
	s_add_u32 s2, s0, s2
	s_addc_u32 s4, s1, 0
	s_add_u32 s6, s2, s6
	s_addc_u32 s7, s4, s7
	s_load_dword s6, s[6:7], 0x740
	s_waitcnt lgkmcnt(0)
	s_ashr_i32 s7, s6, 31
	s_lshl_b64 s[12:13], s[6:7], 17
	s_lshl_b64 s[6:7], s[6:7], 16
	s_waitcnt vmcnt(0)
	v_readfirstlane_b32 s2, v1
	s_lshl_b32 s2, s2, 3
	s_load_dwordx2 s[16:17], s[0:1], s2 offset:0x400
	s_load_dwordx2 s[8:9], s[0:1], s2 offset:0x0
	;; [unrolled: 1-line block ×3, first 2 shown]
	s_waitcnt lgkmcnt(0)
	s_add_u32 s2, s8, s12
	s_and_b32 s4, s10, 7
	s_and_b32 s2, s2, 7
	s_sub_u32 s14, s16, s6
	s_subb_u32 s15, s17, s7
	s_and_b32 s6, s16, 3
	s_mov_b32 s7, s3
	s_or_b64 s[4:5], s[4:5], s[6:7]
	s_or_b64 s[2:3], s[4:5], s[2:3]
	s_cmp_eq_u64 s[2:3], 0
	s_mov_b64 s[2:3], -1
	s_cbranch_scc1 .LBB120_21
; %bb.1:
	v_cmp_lt_i64_e64 s[2:3], s[14:15], 1
	s_and_b64 vcc, exec, s[2:3]
	s_cbranch_vccnz .LBB120_20
; %bb.2:
	s_load_dword s2, s[0:1], 0xc5c
	v_mov_b64_e32 v[2:3], 0x10000
	v_cmp_lt_i64_e32 vcc, s[14:15], v[2:3]
	s_and_b64 s[4:5], vcc, exec
	s_cselect_b32 s5, s15, 0
	s_cselect_b32 s4, s14, 0x10000
	s_waitcnt lgkmcnt(0)
	s_and_b32 s2, s2, 0xffff
	v_cmp_lt_u64_e32 vcc, s[14:15], v[2:3]
	s_mov_b32 s3, 0
	v_mov_b32_e32 v1, 0
	s_and_b64 s[6:7], vcc, exec
	s_cselect_b32 s17, s15, 0
	s_cselect_b32 s16, s14, 0x10000
	s_lshl_b32 s18, s2, 2
	s_mov_b32 s19, s3
	v_lshlrev_b32_e32 v12, 1, v0
	v_mov_b32_e32 v13, v1
	v_lshl_add_u64 v[18:19], v[0:1], 0, s[2:3]
	s_lshl_b32 s6, s2, 1
	s_mov_b32 s7, s3
	s_mul_i32 s22, s2, 3
	s_mov_b32 s23, s3
	v_mad_u64_u32 v[8:9], s[24:25], s2, 6, v[12:13]
	v_lshl_add_u64 v[14:15], s[18:19], 0, v[12:13]
	v_lshlrev_b32_e32 v22, 1, v18
	v_mov_b32_e32 v23, v1
	v_lshl_add_u64 v[2:3], s[8:9], 0, v[12:13]
	s_lshl_b32 s20, s2, 3
	s_mov_b32 s21, s3
	v_lshl_add_u64 v[4:5], s[10:11], 0, v[12:13]
	v_lshl_add_u64 v[6:7], s[8:9], 0, v[8:9]
	;; [unrolled: 1-line block ×9, first 2 shown]
	s_mov_b64 s[22:23], 0
	v_mov_b64_e32 v[24:25], s[4:5]
	s_branch .LBB120_4
.LBB120_3:                              ;   in Loop: Header=BB120_4 Depth=1
	s_or_b64 exec, exec, s[2:3]
	s_add_u32 s22, s22, s18
	s_addc_u32 s23, s23, 0
	v_cmp_lt_i64_e32 vcc, s[22:23], v[24:25]
	v_lshl_add_u64 v[2:3], v[2:3], 0, s[20:21]
	v_lshl_add_u64 v[4:5], v[4:5], 0, s[20:21]
	;; [unrolled: 1-line block ×8, first 2 shown]
	s_cbranch_vccz .LBB120_20
.LBB120_4:                              ; =>This Inner Loop Header: Depth=1
	s_waitcnt vmcnt(0)
	v_lshl_add_u64 v[26:27], v[0:1], 0, s[22:23]
	v_cmp_gt_u64_e32 vcc, s[16:17], v[26:27]
	v_mov_b32_e32 v27, 0
	s_and_saveexec_b64 s[2:3], vcc
	s_cbranch_execz .LBB120_6
; %bb.5:                                ;   in Loop: Header=BB120_4 Depth=1
	v_lshl_add_u64 v[26:27], v[2:3], 0, s[12:13]
	global_load_ushort v27, v[26:27], off
.LBB120_6:                              ;   in Loop: Header=BB120_4 Depth=1
	s_or_b64 exec, exec, s[2:3]
	v_lshl_add_u64 v[28:29], v[18:19], 0, s[22:23]
	v_cmp_gt_u64_e64 s[2:3], s[16:17], v[28:29]
	v_mov_b32_e32 v26, 0
	v_mov_b32_e32 v28, 0
	s_and_saveexec_b64 s[4:5], s[2:3]
	s_cbranch_execz .LBB120_8
; %bb.7:                                ;   in Loop: Header=BB120_4 Depth=1
	v_lshl_add_u64 v[28:29], v[20:21], 0, s[12:13]
	global_load_ushort v28, v[28:29], off
.LBB120_8:                              ;   in Loop: Header=BB120_4 Depth=1
	s_or_b64 exec, exec, s[4:5]
	v_lshl_add_u64 v[30:31], v[16:17], 0, s[22:23]
	v_cmp_gt_u64_e64 s[4:5], s[16:17], v[30:31]
	s_and_saveexec_b64 s[6:7], s[4:5]
	s_cbranch_execz .LBB120_10
; %bb.9:                                ;   in Loop: Header=BB120_4 Depth=1
	v_lshl_add_u64 v[30:31], v[12:13], 0, s[12:13]
	global_load_ushort v26, v[30:31], off
.LBB120_10:                             ;   in Loop: Header=BB120_4 Depth=1
	s_or_b64 exec, exec, s[6:7]
	v_lshl_add_u64 v[30:31], v[10:11], 0, s[22:23]
	v_cmp_gt_u64_e64 s[6:7], s[16:17], v[30:31]
	v_mov_b32_e32 v29, 0
	s_and_saveexec_b64 s[24:25], s[6:7]
	s_cbranch_execnz .LBB120_15
; %bb.11:                               ;   in Loop: Header=BB120_4 Depth=1
	s_or_b64 exec, exec, s[24:25]
	s_and_saveexec_b64 s[24:25], vcc
	s_cbranch_execnz .LBB120_16
.LBB120_12:                             ;   in Loop: Header=BB120_4 Depth=1
	s_or_b64 exec, exec, s[24:25]
	s_and_saveexec_b64 s[24:25], s[2:3]
	s_cbranch_execnz .LBB120_17
.LBB120_13:                             ;   in Loop: Header=BB120_4 Depth=1
	s_or_b64 exec, exec, s[24:25]
	s_and_saveexec_b64 s[2:3], s[4:5]
	s_cbranch_execnz .LBB120_18
.LBB120_14:                             ;   in Loop: Header=BB120_4 Depth=1
	s_or_b64 exec, exec, s[2:3]
	s_and_saveexec_b64 s[2:3], s[6:7]
	s_cbranch_execz .LBB120_3
	s_branch .LBB120_19
.LBB120_15:                             ;   in Loop: Header=BB120_4 Depth=1
	v_lshl_add_u64 v[30:31], v[6:7], 0, s[12:13]
	global_load_ushort v29, v[30:31], off
	s_or_b64 exec, exec, s[24:25]
	s_and_saveexec_b64 s[24:25], vcc
	s_cbranch_execz .LBB120_12
.LBB120_16:                             ;   in Loop: Header=BB120_4 Depth=1
	s_waitcnt vmcnt(0)
	v_min_i16_e32 v27, s26, v27
	v_lshl_add_u64 v[30:31], v[4:5], 0, s[12:13]
	global_store_short v[30:31], v27, off
	s_or_b64 exec, exec, s[24:25]
	s_and_saveexec_b64 s[24:25], s[2:3]
	s_cbranch_execz .LBB120_13
.LBB120_17:                             ;   in Loop: Header=BB120_4 Depth=1
	s_waitcnt vmcnt(0)
	v_min_i16_e32 v27, s26, v28
	v_lshl_add_u64 v[30:31], v[22:23], 0, s[12:13]
	global_store_short v[30:31], v27, off
	s_or_b64 exec, exec, s[24:25]
	s_and_saveexec_b64 s[2:3], s[4:5]
	s_cbranch_execz .LBB120_14
.LBB120_18:                             ;   in Loop: Header=BB120_4 Depth=1
	s_waitcnt vmcnt(0)
	v_min_i16_e32 v28, s26, v26
	v_lshl_add_u64 v[26:27], v[14:15], 0, s[12:13]
	global_store_short v[26:27], v28, off
	s_or_b64 exec, exec, s[2:3]
	s_and_saveexec_b64 s[2:3], s[6:7]
	s_cbranch_execz .LBB120_3
.LBB120_19:                             ;   in Loop: Header=BB120_4 Depth=1
	s_waitcnt vmcnt(0)
	v_min_i16_e32 v28, s26, v29
	v_lshl_add_u64 v[26:27], v[8:9], 0, s[12:13]
	global_store_short v[26:27], v28, off
	s_branch .LBB120_3
.LBB120_20:
	s_mov_b64 s[2:3], 0
.LBB120_21:
	s_andn2_b64 vcc, exec, s[2:3]
	s_cbranch_vccnz .LBB120_25
; %bb.22:
	v_mov_b64_e32 v[4:5], 0x10000
	v_cmp_lt_i64_e32 vcc, s[14:15], v[4:5]
	s_and_b64 s[4:5], vcc, exec
	v_mov_b32_e32 v3, 0
	s_cselect_b32 s5, s15, 0
	s_cselect_b32 s4, s14, 0x10000
	v_lshlrev_b32_e32 v2, 2, v0
	s_mov_b32 s3, 0
	v_cmp_gt_i64_e32 vcc, s[4:5], v[2:3]
	s_and_saveexec_b64 s[6:7], vcc
	s_cbranch_execz .LBB120_25
; %bb.23:
	s_load_dword s0, s[0:1], 0xc5c
	v_lshlrev_b32_e32 v2, 3, v0
	v_mov_b32_e32 v1, v3
	s_mov_b32 s14, 0xffff
	s_pack_ll_b32_b16 s15, s26, s26
	s_waitcnt lgkmcnt(0)
	s_and_b32 s2, s0, 0xffff
	v_lshl_add_u64 v[2:3], s[12:13], 0, v[2:3]
	s_lshl_b32 s0, s2, 3
	s_mov_b32 s1, s3
	s_mov_b64 s[6:7], 0
.LBB120_24:                             ; =>This Inner Loop Header: Depth=1
	v_lshl_add_u64 v[4:5], s[8:9], 0, v[2:3]
	global_load_dwordx2 v[4:5], v[4:5], off
	v_lshl_add_u64 v[0:1], v[0:1], 0, s[2:3]
	v_lshlrev_b64 v[8:9], 2, v[0:1]
	v_cmp_le_i64_e32 vcc, s[4:5], v[8:9]
	v_lshl_add_u64 v[6:7], s[10:11], 0, v[2:3]
	v_lshl_add_u64 v[2:3], v[2:3], 0, s[0:1]
	s_or_b64 s[6:7], vcc, s[6:7]
	s_waitcnt vmcnt(0)
	v_bfi_b32 v4, s14, v4, v4
	v_pk_min_i16 v5, v5, s15
	v_pk_min_i16 v4, v4, s15
	global_store_dwordx2 v[6:7], v[4:5], off
	s_andn2_b64 exec, exec, s[6:7]
	s_cbranch_execnz .LBB120_24
.LBB120_25:
	s_endpgm
	.section	.rodata,"a",@progbits
	.p2align	6, 0x0
	.amdhsa_kernel _ZN2at6native12_GLOBAL__N_125multi_tensor_apply_kernelINS1_18TensorListMetadataILi2EEENS1_21BinaryOpScalarFunctorIsLi2ELi1ELi1EEEJNS0_7minimumIsEEsEEEvT_T0_DpT1_
		.amdhsa_group_segment_fixed_size 0
		.amdhsa_private_segment_fixed_size 0
		.amdhsa_kernarg_size 3408
		.amdhsa_user_sgpr_count 2
		.amdhsa_user_sgpr_dispatch_ptr 0
		.amdhsa_user_sgpr_queue_ptr 0
		.amdhsa_user_sgpr_kernarg_segment_ptr 1
		.amdhsa_user_sgpr_dispatch_id 0
		.amdhsa_user_sgpr_kernarg_preload_length 0
		.amdhsa_user_sgpr_kernarg_preload_offset 0
		.amdhsa_user_sgpr_private_segment_size 0
		.amdhsa_uses_dynamic_stack 0
		.amdhsa_enable_private_segment 0
		.amdhsa_system_sgpr_workgroup_id_x 1
		.amdhsa_system_sgpr_workgroup_id_y 0
		.amdhsa_system_sgpr_workgroup_id_z 0
		.amdhsa_system_sgpr_workgroup_info 0
		.amdhsa_system_vgpr_workitem_id 0
		.amdhsa_next_free_vgpr 32
		.amdhsa_next_free_sgpr 27
		.amdhsa_accum_offset 32
		.amdhsa_reserve_vcc 1
		.amdhsa_float_round_mode_32 0
		.amdhsa_float_round_mode_16_64 0
		.amdhsa_float_denorm_mode_32 3
		.amdhsa_float_denorm_mode_16_64 3
		.amdhsa_dx10_clamp 1
		.amdhsa_ieee_mode 1
		.amdhsa_fp16_overflow 0
		.amdhsa_tg_split 0
		.amdhsa_exception_fp_ieee_invalid_op 0
		.amdhsa_exception_fp_denorm_src 0
		.amdhsa_exception_fp_ieee_div_zero 0
		.amdhsa_exception_fp_ieee_overflow 0
		.amdhsa_exception_fp_ieee_underflow 0
		.amdhsa_exception_fp_ieee_inexact 0
		.amdhsa_exception_int_div_zero 0
	.end_amdhsa_kernel
	.section	.text._ZN2at6native12_GLOBAL__N_125multi_tensor_apply_kernelINS1_18TensorListMetadataILi2EEENS1_21BinaryOpScalarFunctorIsLi2ELi1ELi1EEEJNS0_7minimumIsEEsEEEvT_T0_DpT1_,"axG",@progbits,_ZN2at6native12_GLOBAL__N_125multi_tensor_apply_kernelINS1_18TensorListMetadataILi2EEENS1_21BinaryOpScalarFunctorIsLi2ELi1ELi1EEEJNS0_7minimumIsEEsEEEvT_T0_DpT1_,comdat
.Lfunc_end120:
	.size	_ZN2at6native12_GLOBAL__N_125multi_tensor_apply_kernelINS1_18TensorListMetadataILi2EEENS1_21BinaryOpScalarFunctorIsLi2ELi1ELi1EEEJNS0_7minimumIsEEsEEEvT_T0_DpT1_, .Lfunc_end120-_ZN2at6native12_GLOBAL__N_125multi_tensor_apply_kernelINS1_18TensorListMetadataILi2EEENS1_21BinaryOpScalarFunctorIsLi2ELi1ELi1EEEJNS0_7minimumIsEEsEEEvT_T0_DpT1_
                                        ; -- End function
	.set _ZN2at6native12_GLOBAL__N_125multi_tensor_apply_kernelINS1_18TensorListMetadataILi2EEENS1_21BinaryOpScalarFunctorIsLi2ELi1ELi1EEEJNS0_7minimumIsEEsEEEvT_T0_DpT1_.num_vgpr, 32
	.set _ZN2at6native12_GLOBAL__N_125multi_tensor_apply_kernelINS1_18TensorListMetadataILi2EEENS1_21BinaryOpScalarFunctorIsLi2ELi1ELi1EEEJNS0_7minimumIsEEsEEEvT_T0_DpT1_.num_agpr, 0
	.set _ZN2at6native12_GLOBAL__N_125multi_tensor_apply_kernelINS1_18TensorListMetadataILi2EEENS1_21BinaryOpScalarFunctorIsLi2ELi1ELi1EEEJNS0_7minimumIsEEsEEEvT_T0_DpT1_.numbered_sgpr, 27
	.set _ZN2at6native12_GLOBAL__N_125multi_tensor_apply_kernelINS1_18TensorListMetadataILi2EEENS1_21BinaryOpScalarFunctorIsLi2ELi1ELi1EEEJNS0_7minimumIsEEsEEEvT_T0_DpT1_.num_named_barrier, 0
	.set _ZN2at6native12_GLOBAL__N_125multi_tensor_apply_kernelINS1_18TensorListMetadataILi2EEENS1_21BinaryOpScalarFunctorIsLi2ELi1ELi1EEEJNS0_7minimumIsEEsEEEvT_T0_DpT1_.private_seg_size, 0
	.set _ZN2at6native12_GLOBAL__N_125multi_tensor_apply_kernelINS1_18TensorListMetadataILi2EEENS1_21BinaryOpScalarFunctorIsLi2ELi1ELi1EEEJNS0_7minimumIsEEsEEEvT_T0_DpT1_.uses_vcc, 1
	.set _ZN2at6native12_GLOBAL__N_125multi_tensor_apply_kernelINS1_18TensorListMetadataILi2EEENS1_21BinaryOpScalarFunctorIsLi2ELi1ELi1EEEJNS0_7minimumIsEEsEEEvT_T0_DpT1_.uses_flat_scratch, 0
	.set _ZN2at6native12_GLOBAL__N_125multi_tensor_apply_kernelINS1_18TensorListMetadataILi2EEENS1_21BinaryOpScalarFunctorIsLi2ELi1ELi1EEEJNS0_7minimumIsEEsEEEvT_T0_DpT1_.has_dyn_sized_stack, 0
	.set _ZN2at6native12_GLOBAL__N_125multi_tensor_apply_kernelINS1_18TensorListMetadataILi2EEENS1_21BinaryOpScalarFunctorIsLi2ELi1ELi1EEEJNS0_7minimumIsEEsEEEvT_T0_DpT1_.has_recursion, 0
	.set _ZN2at6native12_GLOBAL__N_125multi_tensor_apply_kernelINS1_18TensorListMetadataILi2EEENS1_21BinaryOpScalarFunctorIsLi2ELi1ELi1EEEJNS0_7minimumIsEEsEEEvT_T0_DpT1_.has_indirect_call, 0
	.section	.AMDGPU.csdata,"",@progbits
; Kernel info:
; codeLenInByte = 1128
; TotalNumSgprs: 33
; NumVgprs: 32
; NumAgprs: 0
; TotalNumVgprs: 32
; ScratchSize: 0
; MemoryBound: 0
; FloatMode: 240
; IeeeMode: 1
; LDSByteSize: 0 bytes/workgroup (compile time only)
; SGPRBlocks: 4
; VGPRBlocks: 3
; NumSGPRsForWavesPerEU: 33
; NumVGPRsForWavesPerEU: 32
; AccumOffset: 32
; Occupancy: 8
; WaveLimiterHint : 0
; COMPUTE_PGM_RSRC2:SCRATCH_EN: 0
; COMPUTE_PGM_RSRC2:USER_SGPR: 2
; COMPUTE_PGM_RSRC2:TRAP_HANDLER: 0
; COMPUTE_PGM_RSRC2:TGID_X_EN: 1
; COMPUTE_PGM_RSRC2:TGID_Y_EN: 0
; COMPUTE_PGM_RSRC2:TGID_Z_EN: 0
; COMPUTE_PGM_RSRC2:TIDIG_COMP_CNT: 0
; COMPUTE_PGM_RSRC3_GFX90A:ACCUM_OFFSET: 7
; COMPUTE_PGM_RSRC3_GFX90A:TG_SPLIT: 0
	.section	.text._ZN2at6native12_GLOBAL__N_125multi_tensor_apply_kernelINS1_18TensorListMetadataILi2EEENS1_21BinaryOpScalarFunctorIdLi2ELi1ELi1EEEJNS0_7minimumIdEEdEEEvT_T0_DpT1_,"axG",@progbits,_ZN2at6native12_GLOBAL__N_125multi_tensor_apply_kernelINS1_18TensorListMetadataILi2EEENS1_21BinaryOpScalarFunctorIdLi2ELi1ELi1EEEJNS0_7minimumIdEEdEEEvT_T0_DpT1_,comdat
	.globl	_ZN2at6native12_GLOBAL__N_125multi_tensor_apply_kernelINS1_18TensorListMetadataILi2EEENS1_21BinaryOpScalarFunctorIdLi2ELi1ELi1EEEJNS0_7minimumIdEEdEEEvT_T0_DpT1_ ; -- Begin function _ZN2at6native12_GLOBAL__N_125multi_tensor_apply_kernelINS1_18TensorListMetadataILi2EEENS1_21BinaryOpScalarFunctorIdLi2ELi1ELi1EEEJNS0_7minimumIdEEdEEEvT_T0_DpT1_
	.p2align	8
	.type	_ZN2at6native12_GLOBAL__N_125multi_tensor_apply_kernelINS1_18TensorListMetadataILi2EEENS1_21BinaryOpScalarFunctorIdLi2ELi1ELi1EEEJNS0_7minimumIdEEdEEEvT_T0_DpT1_,@function
_ZN2at6native12_GLOBAL__N_125multi_tensor_apply_kernelINS1_18TensorListMetadataILi2EEENS1_21BinaryOpScalarFunctorIdLi2ELi1ELi1EEEJNS0_7minimumIdEEdEEEvT_T0_DpT1_: ; @_ZN2at6native12_GLOBAL__N_125multi_tensor_apply_kernelINS1_18TensorListMetadataILi2EEENS1_21BinaryOpScalarFunctorIdLi2ELi1ELi1EEEJNS0_7minimumIdEEdEEEvT_T0_DpT1_
; %bb.0:
	v_mov_b32_e32 v1, s2
	global_load_ubyte v1, v1, s[0:1] offset:1536
	s_add_u32 s4, s0, s2
	s_mul_hi_u32 s7, s2, 3
	s_mul_i32 s2, s2, 3
	s_addc_u32 s8, s1, 0
	s_add_u32 s6, s4, s2
	s_addc_u32 s7, s8, s7
	s_load_dword s6, s[6:7], 0x740
	s_mov_b32 s3, 0
	s_mov_b32 s5, s3
	s_waitcnt lgkmcnt(0)
	s_ashr_i32 s7, s6, 31
	s_lshl_b64 s[10:11], s[6:7], 19
	s_lshl_b64 s[6:7], s[6:7], 16
	s_waitcnt vmcnt(0)
	v_readfirstlane_b32 s2, v1
	s_lshl_b32 s2, s2, 3
	s_load_dwordx2 s[16:17], s[0:1], 0xc50
	s_load_dwordx2 s[8:9], s[0:1], s2 offset:0x400
	s_load_dwordx2 s[18:19], s[0:1], s2 offset:0x0
	s_load_dwordx2 s[20:21], s[0:1], s2 offset:0x200
	s_waitcnt lgkmcnt(0)
	s_add_u32 s2, s18, s10
	s_and_b32 s4, s20, 31
	s_and_b32 s2, s2, 31
	s_sub_u32 s12, s8, s6
	s_subb_u32 s13, s9, s7
	s_and_b32 s6, s8, 3
	s_mov_b32 s7, s3
	s_or_b64 s[4:5], s[4:5], s[6:7]
	s_or_b64 s[2:3], s[4:5], s[2:3]
	s_cmp_eq_u64 s[2:3], 0
	s_mov_b64 s[2:3], -1
	s_cbranch_scc1 .LBB121_21
; %bb.1:
	v_cmp_lt_i64_e64 s[2:3], s[12:13], 1
	s_and_b64 vcc, exec, s[2:3]
	s_cbranch_vccnz .LBB121_20
; %bb.2:
	s_load_dword s2, s[0:1], 0xc64
	v_mov_b64_e32 v[2:3], 0x10000
	v_cmp_lt_i64_e32 vcc, s[12:13], v[2:3]
	s_and_b64 s[4:5], vcc, exec
	s_mov_b32 s3, 0
	s_cselect_b32 s15, s13, 0
	s_cselect_b32 s14, s12, 0x10000
	s_waitcnt lgkmcnt(0)
	s_and_b32 s2, s2, 0xffff
	v_cmp_lt_u64_e32 vcc, s[12:13], v[2:3]
	v_mov_b32_e32 v1, 0
	s_and_b64 s[4:5], vcc, exec
	s_mul_i32 s6, s2, 3
	s_mov_b32 s7, s3
	s_cselect_b32 s23, s13, 0
	s_cselect_b32 s22, s12, 0x10000
	v_lshlrev_b32_e32 v12, 3, v0
	v_mov_b32_e32 v13, v1
	v_lshl_add_u64 v[10:11], s[6:7], 0, v[0:1]
	s_lshl_b32 s6, s2, 4
	v_lshl_add_u64 v[18:19], v[0:1], 0, s[2:3]
	s_lshl_b32 s4, s2, 1
	s_mov_b32 s5, s3
	v_mad_u64_u32 v[8:9], s[8:9], s2, 24, v[12:13]
	v_lshl_add_u64 v[14:15], s[6:7], 0, v[12:13]
	v_lshlrev_b32_e32 v22, 3, v18
	v_mov_b32_e32 v23, v1
	s_lshl_b32 s30, s2, 2
	v_lshl_add_u64 v[2:3], s[18:19], 0, v[12:13]
	s_lshl_b32 s24, s2, 5
	s_mov_b32 s25, s3
	v_lshl_add_u64 v[4:5], s[20:21], 0, v[12:13]
	v_lshl_add_u64 v[6:7], s[18:19], 0, v[8:9]
	;; [unrolled: 1-line block ×8, first 2 shown]
	s_mov_b64 s[26:27], 0
	s_branch .LBB121_4
.LBB121_3:                              ;   in Loop: Header=BB121_4 Depth=1
	s_or_b64 exec, exec, s[4:5]
	s_add_u32 s26, s26, s30
	s_addc_u32 s27, s27, 0
	s_waitcnt vmcnt(0)
	v_mov_b64_e32 v[24:25], s[14:15]
	v_cmp_lt_i64_e32 vcc, s[26:27], v[24:25]
	v_lshl_add_u64 v[2:3], v[2:3], 0, s[24:25]
	v_lshl_add_u64 v[4:5], v[4:5], 0, s[24:25]
	;; [unrolled: 1-line block ×8, first 2 shown]
	s_cbranch_vccz .LBB121_20
.LBB121_4:                              ; =>This Inner Loop Header: Depth=1
	v_lshl_add_u64 v[24:25], v[0:1], 0, s[26:27]
	v_cmp_gt_u64_e64 s[6:7], s[22:23], v[24:25]
	v_mov_b64_e32 v[26:27], 0
	v_mov_b64_e32 v[30:31], 0
	s_and_saveexec_b64 s[2:3], s[6:7]
	s_cbranch_execz .LBB121_6
; %bb.5:                                ;   in Loop: Header=BB121_4 Depth=1
	v_lshl_add_u64 v[24:25], v[2:3], 0, s[10:11]
	global_load_dwordx2 v[30:31], v[24:25], off
.LBB121_6:                              ;   in Loop: Header=BB121_4 Depth=1
	s_or_b64 exec, exec, s[2:3]
	v_lshl_add_u64 v[24:25], v[18:19], 0, s[26:27]
	v_cmp_gt_u64_e64 s[4:5], s[22:23], v[24:25]
	s_and_saveexec_b64 s[2:3], s[4:5]
	s_cbranch_execz .LBB121_8
; %bb.7:                                ;   in Loop: Header=BB121_4 Depth=1
	v_lshl_add_u64 v[24:25], v[20:21], 0, s[10:11]
	global_load_dwordx2 v[26:27], v[24:25], off
.LBB121_8:                              ;   in Loop: Header=BB121_4 Depth=1
	s_or_b64 exec, exec, s[2:3]
	v_lshl_add_u64 v[24:25], v[16:17], 0, s[26:27]
	v_cmp_gt_u64_e64 s[2:3], s[22:23], v[24:25]
	v_mov_b64_e32 v[24:25], 0
	v_mov_b64_e32 v[28:29], 0
	s_and_saveexec_b64 s[8:9], s[2:3]
	s_cbranch_execz .LBB121_10
; %bb.9:                                ;   in Loop: Header=BB121_4 Depth=1
	v_lshl_add_u64 v[28:29], v[12:13], 0, s[10:11]
	global_load_dwordx2 v[28:29], v[28:29], off
.LBB121_10:                             ;   in Loop: Header=BB121_4 Depth=1
	s_or_b64 exec, exec, s[8:9]
	v_lshl_add_u64 v[32:33], v[10:11], 0, s[26:27]
	v_cmp_gt_u64_e32 vcc, s[22:23], v[32:33]
	s_and_saveexec_b64 s[8:9], vcc
	s_cbranch_execnz .LBB121_15
; %bb.11:                               ;   in Loop: Header=BB121_4 Depth=1
	s_or_b64 exec, exec, s[8:9]
	s_and_saveexec_b64 s[28:29], s[6:7]
	s_cbranch_execnz .LBB121_16
.LBB121_12:                             ;   in Loop: Header=BB121_4 Depth=1
	s_or_b64 exec, exec, s[28:29]
	s_and_saveexec_b64 s[8:9], s[4:5]
	s_cbranch_execnz .LBB121_17
.LBB121_13:                             ;   in Loop: Header=BB121_4 Depth=1
	s_or_b64 exec, exec, s[8:9]
	s_and_saveexec_b64 s[6:7], s[2:3]
	s_cbranch_execnz .LBB121_18
.LBB121_14:                             ;   in Loop: Header=BB121_4 Depth=1
	s_or_b64 exec, exec, s[6:7]
	s_and_saveexec_b64 s[4:5], vcc
	s_cbranch_execz .LBB121_3
	s_branch .LBB121_19
.LBB121_15:                             ;   in Loop: Header=BB121_4 Depth=1
	v_lshl_add_u64 v[24:25], v[6:7], 0, s[10:11]
	global_load_dwordx2 v[24:25], v[24:25], off
	s_or_b64 exec, exec, s[8:9]
	s_and_saveexec_b64 s[28:29], s[6:7]
	s_cbranch_execz .LBB121_12
.LBB121_16:                             ;   in Loop: Header=BB121_4 Depth=1
	s_waitcnt vmcnt(0)
	v_cmp_u_f64_e64 s[6:7], v[30:31], v[30:31]
	v_cmp_gt_f64_e64 s[8:9], s[16:17], v[30:31]
	v_mov_b32_e32 v32, s17
	s_or_b64 s[6:7], s[6:7], s[8:9]
	v_cndmask_b32_e64 v31, v32, v31, s[6:7]
	v_mov_b32_e32 v32, s16
	v_cndmask_b32_e64 v30, v32, v30, s[6:7]
	v_lshl_add_u64 v[32:33], v[4:5], 0, s[10:11]
	global_store_dwordx2 v[32:33], v[30:31], off
	s_or_b64 exec, exec, s[28:29]
	s_and_saveexec_b64 s[8:9], s[4:5]
	s_cbranch_execz .LBB121_13
.LBB121_17:                             ;   in Loop: Header=BB121_4 Depth=1
	s_waitcnt vmcnt(0)
	v_cmp_u_f64_e64 s[4:5], v[26:27], v[26:27]
	v_cmp_gt_f64_e64 s[6:7], s[16:17], v[26:27]
	v_mov_b32_e32 v30, s17
	s_or_b64 s[4:5], s[4:5], s[6:7]
	v_cndmask_b32_e64 v27, v30, v27, s[4:5]
	v_mov_b32_e32 v30, s16
	v_cndmask_b32_e64 v26, v30, v26, s[4:5]
	v_lshl_add_u64 v[30:31], v[22:23], 0, s[10:11]
	global_store_dwordx2 v[30:31], v[26:27], off
	s_or_b64 exec, exec, s[8:9]
	s_and_saveexec_b64 s[6:7], s[2:3]
	s_cbranch_execz .LBB121_14
.LBB121_18:                             ;   in Loop: Header=BB121_4 Depth=1
	s_waitcnt vmcnt(0)
	v_cmp_u_f64_e64 s[2:3], v[28:29], v[28:29]
	v_cmp_gt_f64_e64 s[4:5], s[16:17], v[28:29]
	v_mov_b32_e32 v26, s17
	s_or_b64 s[2:3], s[2:3], s[4:5]
	v_cndmask_b32_e64 v27, v26, v29, s[2:3]
	v_mov_b32_e32 v26, s16
	v_cndmask_b32_e64 v26, v26, v28, s[2:3]
	v_lshl_add_u64 v[28:29], v[14:15], 0, s[10:11]
	global_store_dwordx2 v[28:29], v[26:27], off
	s_or_b64 exec, exec, s[6:7]
	s_and_saveexec_b64 s[4:5], vcc
	s_cbranch_execz .LBB121_3
.LBB121_19:                             ;   in Loop: Header=BB121_4 Depth=1
	s_waitcnt vmcnt(0)
	v_cmp_u_f64_e32 vcc, v[24:25], v[24:25]
	v_cmp_gt_f64_e64 s[2:3], s[16:17], v[24:25]
	v_mov_b32_e32 v26, s17
	s_or_b64 vcc, vcc, s[2:3]
	v_cndmask_b32_e32 v25, v26, v25, vcc
	v_mov_b32_e32 v26, s16
	v_cndmask_b32_e32 v24, v26, v24, vcc
	v_lshl_add_u64 v[26:27], v[8:9], 0, s[10:11]
	global_store_dwordx2 v[26:27], v[24:25], off
	s_branch .LBB121_3
.LBB121_20:
	s_mov_b64 s[2:3], 0
.LBB121_21:
	s_andn2_b64 vcc, exec, s[2:3]
	s_cbranch_vccnz .LBB121_25
; %bb.22:
	v_mov_b64_e32 v[4:5], 0x10000
	v_cmp_lt_i64_e32 vcc, s[12:13], v[4:5]
	s_and_b64 s[2:3], vcc, exec
	v_mov_b32_e32 v3, 0
	s_cselect_b32 s25, s13, 0
	s_cselect_b32 s24, s12, 0x10000
	v_lshlrev_b32_e32 v2, 2, v0
	s_mov_b32 s23, 0
	v_cmp_gt_i64_e32 vcc, s[24:25], v[2:3]
	s_and_saveexec_b64 s[2:3], vcc
	s_cbranch_execz .LBB121_25
; %bb.23:
	s_load_dword s0, s[0:1], 0xc64
	v_lshlrev_b32_e32 v2, 5, v0
	v_mov_b32_e32 v1, v3
	s_mov_b32 s27, s23
	v_lshl_add_u64 v[2:3], s[10:11], 0, v[2:3]
	s_waitcnt lgkmcnt(0)
	s_and_b32 s22, s0, 0xffff
	s_lshl_b32 s26, s22, 5
	s_mov_b64 s[28:29], 0
	v_mov_b32_e32 v4, s17
	v_mov_b32_e32 v5, s16
.LBB121_24:                             ; =>This Inner Loop Header: Depth=1
	v_lshl_add_u64 v[14:15], s[18:19], 0, v[2:3]
	global_load_dwordx4 v[6:9], v[14:15], off
	global_load_dwordx4 v[10:13], v[14:15], off offset:16
	v_lshl_add_u64 v[0:1], v[0:1], 0, s[22:23]
	v_lshlrev_b64 v[16:17], 2, v[0:1]
	v_cmp_le_i64_e32 vcc, s[24:25], v[16:17]
	v_lshl_add_u64 v[14:15], s[20:21], 0, v[2:3]
	v_lshl_add_u64 v[2:3], v[2:3], 0, s[26:27]
	s_waitcnt vmcnt(1)
	v_cmp_u_f64_e64 s[0:1], v[6:7], v[6:7]
	v_cmp_gt_f64_e64 s[2:3], s[16:17], v[6:7]
	v_cmp_u_f64_e64 s[4:5], v[8:9], v[8:9]
	v_cmp_gt_f64_e64 s[6:7], s[16:17], v[8:9]
	s_waitcnt vmcnt(0)
	v_cmp_u_f64_e64 s[8:9], v[10:11], v[10:11]
	v_cmp_gt_f64_e64 s[10:11], s[16:17], v[10:11]
	v_cmp_u_f64_e64 s[12:13], v[12:13], v[12:13]
	v_cmp_gt_f64_e64 s[14:15], s[16:17], v[12:13]
	s_or_b64 s[0:1], s[0:1], s[2:3]
	s_or_b64 s[2:3], s[4:5], s[6:7]
	;; [unrolled: 1-line block ×4, first 2 shown]
	v_cndmask_b32_e64 v7, v4, v7, s[0:1]
	v_cndmask_b32_e64 v9, v4, v9, s[2:3]
	;; [unrolled: 1-line block ×4, first 2 shown]
	s_or_b64 s[28:29], vcc, s[28:29]
	v_cndmask_b32_e64 v11, v4, v11, s[4:5]
	v_cndmask_b32_e64 v13, v4, v13, s[6:7]
	;; [unrolled: 1-line block ×4, first 2 shown]
	global_store_dwordx4 v[14:15], v[6:9], off
	global_store_dwordx4 v[14:15], v[10:13], off offset:16
	s_andn2_b64 exec, exec, s[28:29]
	s_cbranch_execnz .LBB121_24
.LBB121_25:
	s_endpgm
	.section	.rodata,"a",@progbits
	.p2align	6, 0x0
	.amdhsa_kernel _ZN2at6native12_GLOBAL__N_125multi_tensor_apply_kernelINS1_18TensorListMetadataILi2EEENS1_21BinaryOpScalarFunctorIdLi2ELi1ELi1EEEJNS0_7minimumIdEEdEEEvT_T0_DpT1_
		.amdhsa_group_segment_fixed_size 0
		.amdhsa_private_segment_fixed_size 0
		.amdhsa_kernarg_size 3416
		.amdhsa_user_sgpr_count 2
		.amdhsa_user_sgpr_dispatch_ptr 0
		.amdhsa_user_sgpr_queue_ptr 0
		.amdhsa_user_sgpr_kernarg_segment_ptr 1
		.amdhsa_user_sgpr_dispatch_id 0
		.amdhsa_user_sgpr_kernarg_preload_length 0
		.amdhsa_user_sgpr_kernarg_preload_offset 0
		.amdhsa_user_sgpr_private_segment_size 0
		.amdhsa_uses_dynamic_stack 0
		.amdhsa_enable_private_segment 0
		.amdhsa_system_sgpr_workgroup_id_x 1
		.amdhsa_system_sgpr_workgroup_id_y 0
		.amdhsa_system_sgpr_workgroup_id_z 0
		.amdhsa_system_sgpr_workgroup_info 0
		.amdhsa_system_vgpr_workitem_id 0
		.amdhsa_next_free_vgpr 34
		.amdhsa_next_free_sgpr 31
		.amdhsa_accum_offset 36
		.amdhsa_reserve_vcc 1
		.amdhsa_float_round_mode_32 0
		.amdhsa_float_round_mode_16_64 0
		.amdhsa_float_denorm_mode_32 3
		.amdhsa_float_denorm_mode_16_64 3
		.amdhsa_dx10_clamp 1
		.amdhsa_ieee_mode 1
		.amdhsa_fp16_overflow 0
		.amdhsa_tg_split 0
		.amdhsa_exception_fp_ieee_invalid_op 0
		.amdhsa_exception_fp_denorm_src 0
		.amdhsa_exception_fp_ieee_div_zero 0
		.amdhsa_exception_fp_ieee_overflow 0
		.amdhsa_exception_fp_ieee_underflow 0
		.amdhsa_exception_fp_ieee_inexact 0
		.amdhsa_exception_int_div_zero 0
	.end_amdhsa_kernel
	.section	.text._ZN2at6native12_GLOBAL__N_125multi_tensor_apply_kernelINS1_18TensorListMetadataILi2EEENS1_21BinaryOpScalarFunctorIdLi2ELi1ELi1EEEJNS0_7minimumIdEEdEEEvT_T0_DpT1_,"axG",@progbits,_ZN2at6native12_GLOBAL__N_125multi_tensor_apply_kernelINS1_18TensorListMetadataILi2EEENS1_21BinaryOpScalarFunctorIdLi2ELi1ELi1EEEJNS0_7minimumIdEEdEEEvT_T0_DpT1_,comdat
.Lfunc_end121:
	.size	_ZN2at6native12_GLOBAL__N_125multi_tensor_apply_kernelINS1_18TensorListMetadataILi2EEENS1_21BinaryOpScalarFunctorIdLi2ELi1ELi1EEEJNS0_7minimumIdEEdEEEvT_T0_DpT1_, .Lfunc_end121-_ZN2at6native12_GLOBAL__N_125multi_tensor_apply_kernelINS1_18TensorListMetadataILi2EEENS1_21BinaryOpScalarFunctorIdLi2ELi1ELi1EEEJNS0_7minimumIdEEdEEEvT_T0_DpT1_
                                        ; -- End function
	.set _ZN2at6native12_GLOBAL__N_125multi_tensor_apply_kernelINS1_18TensorListMetadataILi2EEENS1_21BinaryOpScalarFunctorIdLi2ELi1ELi1EEEJNS0_7minimumIdEEdEEEvT_T0_DpT1_.num_vgpr, 34
	.set _ZN2at6native12_GLOBAL__N_125multi_tensor_apply_kernelINS1_18TensorListMetadataILi2EEENS1_21BinaryOpScalarFunctorIdLi2ELi1ELi1EEEJNS0_7minimumIdEEdEEEvT_T0_DpT1_.num_agpr, 0
	.set _ZN2at6native12_GLOBAL__N_125multi_tensor_apply_kernelINS1_18TensorListMetadataILi2EEENS1_21BinaryOpScalarFunctorIdLi2ELi1ELi1EEEJNS0_7minimumIdEEdEEEvT_T0_DpT1_.numbered_sgpr, 31
	.set _ZN2at6native12_GLOBAL__N_125multi_tensor_apply_kernelINS1_18TensorListMetadataILi2EEENS1_21BinaryOpScalarFunctorIdLi2ELi1ELi1EEEJNS0_7minimumIdEEdEEEvT_T0_DpT1_.num_named_barrier, 0
	.set _ZN2at6native12_GLOBAL__N_125multi_tensor_apply_kernelINS1_18TensorListMetadataILi2EEENS1_21BinaryOpScalarFunctorIdLi2ELi1ELi1EEEJNS0_7minimumIdEEdEEEvT_T0_DpT1_.private_seg_size, 0
	.set _ZN2at6native12_GLOBAL__N_125multi_tensor_apply_kernelINS1_18TensorListMetadataILi2EEENS1_21BinaryOpScalarFunctorIdLi2ELi1ELi1EEEJNS0_7minimumIdEEdEEEvT_T0_DpT1_.uses_vcc, 1
	.set _ZN2at6native12_GLOBAL__N_125multi_tensor_apply_kernelINS1_18TensorListMetadataILi2EEENS1_21BinaryOpScalarFunctorIdLi2ELi1ELi1EEEJNS0_7minimumIdEEdEEEvT_T0_DpT1_.uses_flat_scratch, 0
	.set _ZN2at6native12_GLOBAL__N_125multi_tensor_apply_kernelINS1_18TensorListMetadataILi2EEENS1_21BinaryOpScalarFunctorIdLi2ELi1ELi1EEEJNS0_7minimumIdEEdEEEvT_T0_DpT1_.has_dyn_sized_stack, 0
	.set _ZN2at6native12_GLOBAL__N_125multi_tensor_apply_kernelINS1_18TensorListMetadataILi2EEENS1_21BinaryOpScalarFunctorIdLi2ELi1ELi1EEEJNS0_7minimumIdEEdEEEvT_T0_DpT1_.has_recursion, 0
	.set _ZN2at6native12_GLOBAL__N_125multi_tensor_apply_kernelINS1_18TensorListMetadataILi2EEENS1_21BinaryOpScalarFunctorIdLi2ELi1ELi1EEEJNS0_7minimumIdEEdEEEvT_T0_DpT1_.has_indirect_call, 0
	.section	.AMDGPU.csdata,"",@progbits
; Kernel info:
; codeLenInByte = 1404
; TotalNumSgprs: 37
; NumVgprs: 34
; NumAgprs: 0
; TotalNumVgprs: 34
; ScratchSize: 0
; MemoryBound: 0
; FloatMode: 240
; IeeeMode: 1
; LDSByteSize: 0 bytes/workgroup (compile time only)
; SGPRBlocks: 4
; VGPRBlocks: 4
; NumSGPRsForWavesPerEU: 37
; NumVGPRsForWavesPerEU: 34
; AccumOffset: 36
; Occupancy: 8
; WaveLimiterHint : 0
; COMPUTE_PGM_RSRC2:SCRATCH_EN: 0
; COMPUTE_PGM_RSRC2:USER_SGPR: 2
; COMPUTE_PGM_RSRC2:TRAP_HANDLER: 0
; COMPUTE_PGM_RSRC2:TGID_X_EN: 1
; COMPUTE_PGM_RSRC2:TGID_Y_EN: 0
; COMPUTE_PGM_RSRC2:TGID_Z_EN: 0
; COMPUTE_PGM_RSRC2:TIDIG_COMP_CNT: 0
; COMPUTE_PGM_RSRC3_GFX90A:ACCUM_OFFSET: 8
; COMPUTE_PGM_RSRC3_GFX90A:TG_SPLIT: 0
	.section	.text._ZN2at6native12_GLOBAL__N_125multi_tensor_apply_kernelINS1_18TensorListMetadataILi2EEENS1_21BinaryOpScalarFunctorIfLi2ELi1ELi1EEEJNS0_7minimumIfEEfEEEvT_T0_DpT1_,"axG",@progbits,_ZN2at6native12_GLOBAL__N_125multi_tensor_apply_kernelINS1_18TensorListMetadataILi2EEENS1_21BinaryOpScalarFunctorIfLi2ELi1ELi1EEEJNS0_7minimumIfEEfEEEvT_T0_DpT1_,comdat
	.globl	_ZN2at6native12_GLOBAL__N_125multi_tensor_apply_kernelINS1_18TensorListMetadataILi2EEENS1_21BinaryOpScalarFunctorIfLi2ELi1ELi1EEEJNS0_7minimumIfEEfEEEvT_T0_DpT1_ ; -- Begin function _ZN2at6native12_GLOBAL__N_125multi_tensor_apply_kernelINS1_18TensorListMetadataILi2EEENS1_21BinaryOpScalarFunctorIfLi2ELi1ELi1EEEJNS0_7minimumIfEEfEEEvT_T0_DpT1_
	.p2align	8
	.type	_ZN2at6native12_GLOBAL__N_125multi_tensor_apply_kernelINS1_18TensorListMetadataILi2EEENS1_21BinaryOpScalarFunctorIfLi2ELi1ELi1EEEJNS0_7minimumIfEEfEEEvT_T0_DpT1_,@function
_ZN2at6native12_GLOBAL__N_125multi_tensor_apply_kernelINS1_18TensorListMetadataILi2EEENS1_21BinaryOpScalarFunctorIfLi2ELi1ELi1EEEJNS0_7minimumIfEEfEEEvT_T0_DpT1_: ; @_ZN2at6native12_GLOBAL__N_125multi_tensor_apply_kernelINS1_18TensorListMetadataILi2EEENS1_21BinaryOpScalarFunctorIfLi2ELi1ELi1EEEJNS0_7minimumIfEEfEEEvT_T0_DpT1_
; %bb.0:
	v_mov_b32_e32 v1, s2
	global_load_ubyte v1, v1, s[0:1] offset:1536
	s_add_u32 s4, s0, s2
	s_mul_hi_u32 s7, s2, 3
	s_mul_i32 s2, s2, 3
	s_addc_u32 s8, s1, 0
	s_add_u32 s6, s4, s2
	s_addc_u32 s7, s8, s7
	s_load_dword s6, s[6:7], 0x740
	s_mov_b32 s3, 0
	s_mov_b32 s5, s3
	s_waitcnt lgkmcnt(0)
	s_ashr_i32 s7, s6, 31
	s_lshl_b64 s[12:13], s[6:7], 18
	s_lshl_b64 s[6:7], s[6:7], 16
	s_waitcnt vmcnt(0)
	v_readfirstlane_b32 s2, v1
	s_lshl_b32 s2, s2, 3
	s_load_dword s28, s[0:1], 0xc4c
	s_load_dwordx2 s[8:9], s[0:1], s2 offset:0x400
	s_load_dwordx2 s[10:11], s[0:1], s2 offset:0x0
	;; [unrolled: 1-line block ×3, first 2 shown]
	s_waitcnt lgkmcnt(0)
	s_add_u32 s2, s10, s12
	s_and_b32 s4, s16, 15
	s_and_b32 s2, s2, 15
	s_sub_u32 s14, s8, s6
	s_subb_u32 s15, s9, s7
	s_and_b32 s6, s8, 3
	s_mov_b32 s7, s3
	s_or_b64 s[4:5], s[4:5], s[6:7]
	s_or_b64 s[2:3], s[4:5], s[2:3]
	s_cmp_eq_u64 s[2:3], 0
	s_mov_b64 s[2:3], -1
	s_cbranch_scc1 .LBB122_21
; %bb.1:
	v_cmp_lt_i64_e64 s[2:3], s[14:15], 1
	s_and_b64 vcc, exec, s[2:3]
	s_cbranch_vccnz .LBB122_20
; %bb.2:
	s_load_dword s2, s[0:1], 0xc5c
	v_mov_b64_e32 v[2:3], 0x10000
	v_cmp_lt_i64_e32 vcc, s[14:15], v[2:3]
	s_and_b64 s[4:5], vcc, exec
	s_mov_b32 s3, 0
	s_cselect_b32 s5, s15, 0
	s_cselect_b32 s4, s14, 0x10000
	s_waitcnt lgkmcnt(0)
	s_and_b32 s2, s2, 0xffff
	v_cmp_lt_u64_e32 vcc, s[14:15], v[2:3]
	v_mov_b32_e32 v1, 0
	s_and_b64 s[6:7], vcc, exec
	s_mul_i32 s8, s2, 3
	s_mov_b32 s9, s3
	s_cselect_b32 s19, s15, 0
	s_cselect_b32 s18, s14, 0x10000
	v_lshlrev_b32_e32 v12, 2, v0
	v_mov_b32_e32 v13, v1
	v_lshl_add_u64 v[10:11], s[8:9], 0, v[0:1]
	s_lshl_b32 s8, s2, 3
	v_lshl_add_u64 v[18:19], v[0:1], 0, s[2:3]
	s_lshl_b32 s6, s2, 1
	s_mov_b32 s7, s3
	v_mad_u64_u32 v[8:9], s[22:23], s2, 12, v[12:13]
	v_lshl_add_u64 v[14:15], s[8:9], 0, v[12:13]
	v_lshlrev_b32_e32 v22, 2, v18
	v_mov_b32_e32 v23, v1
	s_lshl_b32 s26, s2, 2
	v_lshl_add_u64 v[2:3], s[10:11], 0, v[12:13]
	s_lshl_b32 s20, s2, 4
	s_mov_b32 s21, s3
	v_lshl_add_u64 v[4:5], s[16:17], 0, v[12:13]
	v_lshl_add_u64 v[6:7], s[10:11], 0, v[8:9]
	;; [unrolled: 1-line block ×8, first 2 shown]
	s_mov_b64 s[22:23], 0
	v_mov_b64_e32 v[24:25], s[4:5]
	s_branch .LBB122_4
.LBB122_3:                              ;   in Loop: Header=BB122_4 Depth=1
	s_or_b64 exec, exec, s[4:5]
	s_add_u32 s22, s22, s26
	s_addc_u32 s23, s23, 0
	v_cmp_lt_i64_e32 vcc, s[22:23], v[24:25]
	v_lshl_add_u64 v[2:3], v[2:3], 0, s[20:21]
	v_lshl_add_u64 v[4:5], v[4:5], 0, s[20:21]
	v_lshl_add_u64 v[6:7], v[6:7], 0, s[20:21]
	v_lshl_add_u64 v[8:9], v[8:9], 0, s[20:21]
	v_lshl_add_u64 v[12:13], v[12:13], 0, s[20:21]
	v_lshl_add_u64 v[14:15], v[14:15], 0, s[20:21]
	v_lshl_add_u64 v[20:21], v[20:21], 0, s[20:21]
	v_lshl_add_u64 v[22:23], v[22:23], 0, s[20:21]
	s_cbranch_vccz .LBB122_20
.LBB122_4:                              ; =>This Inner Loop Header: Depth=1
	s_waitcnt vmcnt(0)
	v_lshl_add_u64 v[26:27], v[0:1], 0, s[22:23]
	v_cmp_gt_u64_e64 s[6:7], s[18:19], v[26:27]
	v_mov_b32_e32 v28, 0
	s_and_saveexec_b64 s[2:3], s[6:7]
	s_cbranch_execz .LBB122_6
; %bb.5:                                ;   in Loop: Header=BB122_4 Depth=1
	v_lshl_add_u64 v[26:27], v[2:3], 0, s[12:13]
	global_load_dword v28, v[26:27], off
.LBB122_6:                              ;   in Loop: Header=BB122_4 Depth=1
	s_or_b64 exec, exec, s[2:3]
	v_lshl_add_u64 v[26:27], v[18:19], 0, s[22:23]
	v_cmp_gt_u64_e64 s[2:3], s[18:19], v[26:27]
	v_mov_b32_e32 v26, 0
	v_mov_b32_e32 v29, 0
	s_and_saveexec_b64 s[4:5], s[2:3]
	s_cbranch_execz .LBB122_8
; %bb.7:                                ;   in Loop: Header=BB122_4 Depth=1
	v_lshl_add_u64 v[30:31], v[20:21], 0, s[12:13]
	global_load_dword v29, v[30:31], off
.LBB122_8:                              ;   in Loop: Header=BB122_4 Depth=1
	s_or_b64 exec, exec, s[4:5]
	v_lshl_add_u64 v[30:31], v[16:17], 0, s[22:23]
	v_cmp_gt_u64_e64 s[4:5], s[18:19], v[30:31]
	s_and_saveexec_b64 s[8:9], s[4:5]
	s_cbranch_execz .LBB122_10
; %bb.9:                                ;   in Loop: Header=BB122_4 Depth=1
	v_lshl_add_u64 v[26:27], v[12:13], 0, s[12:13]
	global_load_dword v26, v[26:27], off
.LBB122_10:                             ;   in Loop: Header=BB122_4 Depth=1
	s_or_b64 exec, exec, s[8:9]
	v_lshl_add_u64 v[30:31], v[10:11], 0, s[22:23]
	v_cmp_gt_u64_e32 vcc, s[18:19], v[30:31]
	v_mov_b32_e32 v27, 0
	s_and_saveexec_b64 s[8:9], vcc
	s_cbranch_execnz .LBB122_15
; %bb.11:                               ;   in Loop: Header=BB122_4 Depth=1
	s_or_b64 exec, exec, s[8:9]
	s_and_saveexec_b64 s[24:25], s[6:7]
	s_cbranch_execnz .LBB122_16
.LBB122_12:                             ;   in Loop: Header=BB122_4 Depth=1
	s_or_b64 exec, exec, s[24:25]
	s_and_saveexec_b64 s[8:9], s[2:3]
	s_cbranch_execnz .LBB122_17
.LBB122_13:                             ;   in Loop: Header=BB122_4 Depth=1
	s_or_b64 exec, exec, s[8:9]
	s_and_saveexec_b64 s[6:7], s[4:5]
	s_cbranch_execnz .LBB122_18
.LBB122_14:                             ;   in Loop: Header=BB122_4 Depth=1
	s_or_b64 exec, exec, s[6:7]
	s_and_saveexec_b64 s[4:5], vcc
	s_cbranch_execz .LBB122_3
	s_branch .LBB122_19
.LBB122_15:                             ;   in Loop: Header=BB122_4 Depth=1
	v_lshl_add_u64 v[30:31], v[6:7], 0, s[12:13]
	global_load_dword v27, v[30:31], off
	s_or_b64 exec, exec, s[8:9]
	s_and_saveexec_b64 s[24:25], s[6:7]
	s_cbranch_execz .LBB122_12
.LBB122_16:                             ;   in Loop: Header=BB122_4 Depth=1
	s_waitcnt vmcnt(0)
	v_cmp_u_f32_e64 s[6:7], v28, v28
	v_cmp_gt_f32_e64 s[8:9], s28, v28
	v_mov_b32_e32 v30, s28
	s_or_b64 s[6:7], s[6:7], s[8:9]
	v_cndmask_b32_e64 v28, v30, v28, s[6:7]
	v_lshl_add_u64 v[30:31], v[4:5], 0, s[12:13]
	global_store_dword v[30:31], v28, off
	s_or_b64 exec, exec, s[24:25]
	s_and_saveexec_b64 s[8:9], s[2:3]
	s_cbranch_execz .LBB122_13
.LBB122_17:                             ;   in Loop: Header=BB122_4 Depth=1
	s_waitcnt vmcnt(0)
	v_cmp_u_f32_e64 s[2:3], v29, v29
	v_cmp_gt_f32_e64 s[6:7], s28, v29
	v_mov_b32_e32 v28, s28
	s_or_b64 s[2:3], s[2:3], s[6:7]
	v_cndmask_b32_e64 v30, v28, v29, s[2:3]
	v_lshl_add_u64 v[28:29], v[22:23], 0, s[12:13]
	global_store_dword v[28:29], v30, off
	s_or_b64 exec, exec, s[8:9]
	s_and_saveexec_b64 s[6:7], s[4:5]
	s_cbranch_execz .LBB122_14
.LBB122_18:                             ;   in Loop: Header=BB122_4 Depth=1
	s_waitcnt vmcnt(0)
	v_cmp_u_f32_e64 s[2:3], v26, v26
	v_cmp_gt_f32_e64 s[4:5], s28, v26
	v_mov_b32_e32 v28, s28
	s_or_b64 s[2:3], s[2:3], s[4:5]
	v_cndmask_b32_e64 v26, v28, v26, s[2:3]
	v_lshl_add_u64 v[28:29], v[14:15], 0, s[12:13]
	global_store_dword v[28:29], v26, off
	s_or_b64 exec, exec, s[6:7]
	s_and_saveexec_b64 s[4:5], vcc
	s_cbranch_execz .LBB122_3
.LBB122_19:                             ;   in Loop: Header=BB122_4 Depth=1
	s_waitcnt vmcnt(0)
	v_cmp_u_f32_e32 vcc, v27, v27
	v_cmp_gt_f32_e64 s[2:3], s28, v27
	v_mov_b32_e32 v26, s28
	s_or_b64 vcc, vcc, s[2:3]
	v_cndmask_b32_e32 v28, v26, v27, vcc
	v_lshl_add_u64 v[26:27], v[8:9], 0, s[12:13]
	global_store_dword v[26:27], v28, off
	s_branch .LBB122_3
.LBB122_20:
	s_mov_b64 s[2:3], 0
.LBB122_21:
	s_andn2_b64 vcc, exec, s[2:3]
	s_cbranch_vccnz .LBB122_25
; %bb.22:
	v_mov_b64_e32 v[4:5], 0x10000
	v_cmp_lt_i64_e32 vcc, s[14:15], v[4:5]
	s_and_b64 s[2:3], vcc, exec
	v_mov_b32_e32 v3, 0
	s_cselect_b32 s21, s15, 0
	s_cselect_b32 s20, s14, 0x10000
	v_lshlrev_b32_e32 v2, 2, v0
	s_mov_b32 s19, 0
	v_cmp_gt_i64_e32 vcc, s[20:21], v[2:3]
	s_and_saveexec_b64 s[2:3], vcc
	s_cbranch_execz .LBB122_25
; %bb.23:
	s_load_dword s0, s[0:1], 0xc5c
	v_lshlrev_b32_e32 v2, 4, v0
	v_mov_b32_e32 v1, v3
	s_mov_b32 s29, s28
	v_lshl_add_u64 v[2:3], s[12:13], 0, v[2:3]
	s_waitcnt lgkmcnt(0)
	s_and_b32 s18, s0, 0xffff
	s_lshl_b32 s22, s18, 4
	s_add_u32 s24, s10, 8
	s_mov_b32 s23, s19
	s_addc_u32 s25, s11, 0
	s_mov_b64 s[26:27], 0
	v_mov_b32_e32 v4, s28
	v_mov_b32_e32 v5, s28
.LBB122_24:                             ; =>This Inner Loop Header: Depth=1
	v_lshl_add_u64 v[6:7], s[24:25], 0, v[2:3]
	global_load_dwordx4 v[6:9], v[6:7], off offset:-8
	v_lshl_add_u64 v[0:1], v[0:1], 0, s[18:19]
	v_lshlrev_b64 v[12:13], 2, v[0:1]
	v_cmp_le_i64_e32 vcc, s[20:21], v[12:13]
	v_lshl_add_u64 v[10:11], s[16:17], 0, v[2:3]
	v_lshl_add_u64 v[2:3], v[2:3], 0, s[22:23]
	s_waitcnt vmcnt(0)
	v_cmp_u_f32_e64 s[0:1], v7, v7
	v_cmp_gt_f32_e64 s[4:5], s29, v7
	v_cmp_u_f32_e64 s[2:3], v6, v6
	v_cmp_gt_f32_e64 s[6:7], s28, v6
	s_or_b64 s[0:1], s[0:1], s[4:5]
	v_cmp_u_f32_e64 s[8:9], v9, v9
	v_cmp_gt_f32_e64 s[12:13], s29, v9
	v_cndmask_b32_e64 v7, v4, v7, s[0:1]
	s_or_b64 s[0:1], s[2:3], s[6:7]
	v_cmp_u_f32_e64 s[10:11], v8, v8
	v_cmp_gt_f32_e64 s[14:15], s28, v8
	v_cndmask_b32_e64 v6, v5, v6, s[0:1]
	s_or_b64 s[0:1], s[8:9], s[12:13]
	v_cndmask_b32_e64 v9, v4, v9, s[0:1]
	s_or_b64 s[0:1], s[10:11], s[14:15]
	v_cndmask_b32_e64 v8, v5, v8, s[0:1]
	s_or_b64 s[26:27], vcc, s[26:27]
	global_store_dwordx4 v[10:11], v[6:9], off
	s_andn2_b64 exec, exec, s[26:27]
	s_cbranch_execnz .LBB122_24
.LBB122_25:
	s_endpgm
	.section	.rodata,"a",@progbits
	.p2align	6, 0x0
	.amdhsa_kernel _ZN2at6native12_GLOBAL__N_125multi_tensor_apply_kernelINS1_18TensorListMetadataILi2EEENS1_21BinaryOpScalarFunctorIfLi2ELi1ELi1EEEJNS0_7minimumIfEEfEEEvT_T0_DpT1_
		.amdhsa_group_segment_fixed_size 0
		.amdhsa_private_segment_fixed_size 0
		.amdhsa_kernarg_size 3408
		.amdhsa_user_sgpr_count 2
		.amdhsa_user_sgpr_dispatch_ptr 0
		.amdhsa_user_sgpr_queue_ptr 0
		.amdhsa_user_sgpr_kernarg_segment_ptr 1
		.amdhsa_user_sgpr_dispatch_id 0
		.amdhsa_user_sgpr_kernarg_preload_length 0
		.amdhsa_user_sgpr_kernarg_preload_offset 0
		.amdhsa_user_sgpr_private_segment_size 0
		.amdhsa_uses_dynamic_stack 0
		.amdhsa_enable_private_segment 0
		.amdhsa_system_sgpr_workgroup_id_x 1
		.amdhsa_system_sgpr_workgroup_id_y 0
		.amdhsa_system_sgpr_workgroup_id_z 0
		.amdhsa_system_sgpr_workgroup_info 0
		.amdhsa_system_vgpr_workitem_id 0
		.amdhsa_next_free_vgpr 32
		.amdhsa_next_free_sgpr 30
		.amdhsa_accum_offset 32
		.amdhsa_reserve_vcc 1
		.amdhsa_float_round_mode_32 0
		.amdhsa_float_round_mode_16_64 0
		.amdhsa_float_denorm_mode_32 3
		.amdhsa_float_denorm_mode_16_64 3
		.amdhsa_dx10_clamp 1
		.amdhsa_ieee_mode 1
		.amdhsa_fp16_overflow 0
		.amdhsa_tg_split 0
		.amdhsa_exception_fp_ieee_invalid_op 0
		.amdhsa_exception_fp_denorm_src 0
		.amdhsa_exception_fp_ieee_div_zero 0
		.amdhsa_exception_fp_ieee_overflow 0
		.amdhsa_exception_fp_ieee_underflow 0
		.amdhsa_exception_fp_ieee_inexact 0
		.amdhsa_exception_int_div_zero 0
	.end_amdhsa_kernel
	.section	.text._ZN2at6native12_GLOBAL__N_125multi_tensor_apply_kernelINS1_18TensorListMetadataILi2EEENS1_21BinaryOpScalarFunctorIfLi2ELi1ELi1EEEJNS0_7minimumIfEEfEEEvT_T0_DpT1_,"axG",@progbits,_ZN2at6native12_GLOBAL__N_125multi_tensor_apply_kernelINS1_18TensorListMetadataILi2EEENS1_21BinaryOpScalarFunctorIfLi2ELi1ELi1EEEJNS0_7minimumIfEEfEEEvT_T0_DpT1_,comdat
.Lfunc_end122:
	.size	_ZN2at6native12_GLOBAL__N_125multi_tensor_apply_kernelINS1_18TensorListMetadataILi2EEENS1_21BinaryOpScalarFunctorIfLi2ELi1ELi1EEEJNS0_7minimumIfEEfEEEvT_T0_DpT1_, .Lfunc_end122-_ZN2at6native12_GLOBAL__N_125multi_tensor_apply_kernelINS1_18TensorListMetadataILi2EEENS1_21BinaryOpScalarFunctorIfLi2ELi1ELi1EEEJNS0_7minimumIfEEfEEEvT_T0_DpT1_
                                        ; -- End function
	.set _ZN2at6native12_GLOBAL__N_125multi_tensor_apply_kernelINS1_18TensorListMetadataILi2EEENS1_21BinaryOpScalarFunctorIfLi2ELi1ELi1EEEJNS0_7minimumIfEEfEEEvT_T0_DpT1_.num_vgpr, 32
	.set _ZN2at6native12_GLOBAL__N_125multi_tensor_apply_kernelINS1_18TensorListMetadataILi2EEENS1_21BinaryOpScalarFunctorIfLi2ELi1ELi1EEEJNS0_7minimumIfEEfEEEvT_T0_DpT1_.num_agpr, 0
	.set _ZN2at6native12_GLOBAL__N_125multi_tensor_apply_kernelINS1_18TensorListMetadataILi2EEENS1_21BinaryOpScalarFunctorIfLi2ELi1ELi1EEEJNS0_7minimumIfEEfEEEvT_T0_DpT1_.numbered_sgpr, 30
	.set _ZN2at6native12_GLOBAL__N_125multi_tensor_apply_kernelINS1_18TensorListMetadataILi2EEENS1_21BinaryOpScalarFunctorIfLi2ELi1ELi1EEEJNS0_7minimumIfEEfEEEvT_T0_DpT1_.num_named_barrier, 0
	.set _ZN2at6native12_GLOBAL__N_125multi_tensor_apply_kernelINS1_18TensorListMetadataILi2EEENS1_21BinaryOpScalarFunctorIfLi2ELi1ELi1EEEJNS0_7minimumIfEEfEEEvT_T0_DpT1_.private_seg_size, 0
	.set _ZN2at6native12_GLOBAL__N_125multi_tensor_apply_kernelINS1_18TensorListMetadataILi2EEENS1_21BinaryOpScalarFunctorIfLi2ELi1ELi1EEEJNS0_7minimumIfEEfEEEvT_T0_DpT1_.uses_vcc, 1
	.set _ZN2at6native12_GLOBAL__N_125multi_tensor_apply_kernelINS1_18TensorListMetadataILi2EEENS1_21BinaryOpScalarFunctorIfLi2ELi1ELi1EEEJNS0_7minimumIfEEfEEEvT_T0_DpT1_.uses_flat_scratch, 0
	.set _ZN2at6native12_GLOBAL__N_125multi_tensor_apply_kernelINS1_18TensorListMetadataILi2EEENS1_21BinaryOpScalarFunctorIfLi2ELi1ELi1EEEJNS0_7minimumIfEEfEEEvT_T0_DpT1_.has_dyn_sized_stack, 0
	.set _ZN2at6native12_GLOBAL__N_125multi_tensor_apply_kernelINS1_18TensorListMetadataILi2EEENS1_21BinaryOpScalarFunctorIfLi2ELi1ELi1EEEJNS0_7minimumIfEEfEEEvT_T0_DpT1_.has_recursion, 0
	.set _ZN2at6native12_GLOBAL__N_125multi_tensor_apply_kernelINS1_18TensorListMetadataILi2EEENS1_21BinaryOpScalarFunctorIfLi2ELi1ELi1EEEJNS0_7minimumIfEEfEEEvT_T0_DpT1_.has_indirect_call, 0
	.section	.AMDGPU.csdata,"",@progbits
; Kernel info:
; codeLenInByte = 1320
; TotalNumSgprs: 36
; NumVgprs: 32
; NumAgprs: 0
; TotalNumVgprs: 32
; ScratchSize: 0
; MemoryBound: 0
; FloatMode: 240
; IeeeMode: 1
; LDSByteSize: 0 bytes/workgroup (compile time only)
; SGPRBlocks: 4
; VGPRBlocks: 3
; NumSGPRsForWavesPerEU: 36
; NumVGPRsForWavesPerEU: 32
; AccumOffset: 32
; Occupancy: 8
; WaveLimiterHint : 0
; COMPUTE_PGM_RSRC2:SCRATCH_EN: 0
; COMPUTE_PGM_RSRC2:USER_SGPR: 2
; COMPUTE_PGM_RSRC2:TRAP_HANDLER: 0
; COMPUTE_PGM_RSRC2:TGID_X_EN: 1
; COMPUTE_PGM_RSRC2:TGID_Y_EN: 0
; COMPUTE_PGM_RSRC2:TGID_Z_EN: 0
; COMPUTE_PGM_RSRC2:TIDIG_COMP_CNT: 0
; COMPUTE_PGM_RSRC3_GFX90A:ACCUM_OFFSET: 7
; COMPUTE_PGM_RSRC3_GFX90A:TG_SPLIT: 0
	.section	.text._ZN2at6native12_GLOBAL__N_125multi_tensor_apply_kernelINS1_18TensorListMetadataILi2EEENS1_21BinaryOpScalarFunctorIN3c104HalfELi2ELi1ELi1EEEJNS0_7minimumIfEEfEEEvT_T0_DpT1_,"axG",@progbits,_ZN2at6native12_GLOBAL__N_125multi_tensor_apply_kernelINS1_18TensorListMetadataILi2EEENS1_21BinaryOpScalarFunctorIN3c104HalfELi2ELi1ELi1EEEJNS0_7minimumIfEEfEEEvT_T0_DpT1_,comdat
	.globl	_ZN2at6native12_GLOBAL__N_125multi_tensor_apply_kernelINS1_18TensorListMetadataILi2EEENS1_21BinaryOpScalarFunctorIN3c104HalfELi2ELi1ELi1EEEJNS0_7minimumIfEEfEEEvT_T0_DpT1_ ; -- Begin function _ZN2at6native12_GLOBAL__N_125multi_tensor_apply_kernelINS1_18TensorListMetadataILi2EEENS1_21BinaryOpScalarFunctorIN3c104HalfELi2ELi1ELi1EEEJNS0_7minimumIfEEfEEEvT_T0_DpT1_
	.p2align	8
	.type	_ZN2at6native12_GLOBAL__N_125multi_tensor_apply_kernelINS1_18TensorListMetadataILi2EEENS1_21BinaryOpScalarFunctorIN3c104HalfELi2ELi1ELi1EEEJNS0_7minimumIfEEfEEEvT_T0_DpT1_,@function
_ZN2at6native12_GLOBAL__N_125multi_tensor_apply_kernelINS1_18TensorListMetadataILi2EEENS1_21BinaryOpScalarFunctorIN3c104HalfELi2ELi1ELi1EEEJNS0_7minimumIfEEfEEEvT_T0_DpT1_: ; @_ZN2at6native12_GLOBAL__N_125multi_tensor_apply_kernelINS1_18TensorListMetadataILi2EEENS1_21BinaryOpScalarFunctorIN3c104HalfELi2ELi1ELi1EEEJNS0_7minimumIfEEfEEEvT_T0_DpT1_
; %bb.0:
	v_mov_b32_e32 v1, s2
	global_load_ubyte v1, v1, s[0:1] offset:1536
	s_add_u32 s4, s0, s2
	s_mul_hi_u32 s7, s2, 3
	s_mul_i32 s2, s2, 3
	s_addc_u32 s8, s1, 0
	s_add_u32 s6, s4, s2
	s_addc_u32 s7, s8, s7
	s_load_dword s6, s[6:7], 0x740
	s_mov_b32 s3, 0
	s_mov_b32 s5, s3
	s_waitcnt lgkmcnt(0)
	s_ashr_i32 s7, s6, 31
	s_lshl_b64 s[10:11], s[6:7], 17
	s_lshl_b64 s[6:7], s[6:7], 16
	s_waitcnt vmcnt(0)
	v_readfirstlane_b32 s2, v1
	s_lshl_b32 s2, s2, 3
	s_load_dword s28, s[0:1], 0xc4c
	s_load_dwordx2 s[8:9], s[0:1], s2 offset:0x400
	s_load_dwordx2 s[16:17], s[0:1], s2 offset:0x0
	;; [unrolled: 1-line block ×3, first 2 shown]
	s_waitcnt lgkmcnt(0)
	s_add_u32 s2, s16, s10
	s_and_b32 s4, s18, 7
	s_and_b32 s2, s2, 7
	s_sub_u32 s12, s8, s6
	s_subb_u32 s13, s9, s7
	s_and_b32 s6, s8, 3
	s_mov_b32 s7, s3
	s_or_b64 s[4:5], s[4:5], s[6:7]
	s_or_b64 s[2:3], s[4:5], s[2:3]
	s_cmp_eq_u64 s[2:3], 0
	s_mov_b64 s[2:3], -1
	s_cbranch_scc1 .LBB123_21
; %bb.1:
	v_cmp_lt_i64_e64 s[2:3], s[12:13], 1
	s_and_b64 vcc, exec, s[2:3]
	s_cbranch_vccnz .LBB123_20
; %bb.2:
	s_load_dword s2, s[0:1], 0xc5c
	v_mov_b64_e32 v[2:3], 0x10000
	v_cmp_lt_i64_e32 vcc, s[12:13], v[2:3]
	s_and_b64 s[4:5], vcc, exec
	s_cselect_b32 s5, s13, 0
	s_cselect_b32 s4, s12, 0x10000
	s_waitcnt lgkmcnt(0)
	s_and_b32 s2, s2, 0xffff
	v_cmp_lt_u64_e32 vcc, s[12:13], v[2:3]
	s_mov_b32 s3, 0
	v_mov_b32_e32 v1, 0
	s_and_b64 s[6:7], vcc, exec
	v_cvt_f16_f32_e32 v26, s28
	s_cselect_b32 s15, s13, 0
	s_cselect_b32 s14, s12, 0x10000
	s_lshl_b32 s20, s2, 2
	s_mov_b32 s21, s3
	v_lshlrev_b32_e32 v12, 1, v0
	v_mov_b32_e32 v13, v1
	v_lshl_add_u64 v[18:19], v[0:1], 0, s[2:3]
	s_lshl_b32 s6, s2, 1
	s_mov_b32 s7, s3
	s_mul_i32 s8, s2, 3
	s_mov_b32 s9, s3
	v_mad_u64_u32 v[8:9], s[24:25], s2, 6, v[12:13]
	v_lshl_add_u64 v[14:15], s[20:21], 0, v[12:13]
	v_lshlrev_b32_e32 v22, 1, v18
	v_mov_b32_e32 v23, v1
	v_lshl_add_u64 v[2:3], s[16:17], 0, v[12:13]
	s_lshl_b32 s22, s2, 3
	s_mov_b32 s23, s3
	v_lshl_add_u64 v[4:5], s[18:19], 0, v[12:13]
	v_lshl_add_u64 v[6:7], s[16:17], 0, v[8:9]
	;; [unrolled: 1-line block ×9, first 2 shown]
	s_mov_b64 s[24:25], 0
	v_mov_b64_e32 v[24:25], s[4:5]
	s_branch .LBB123_4
.LBB123_3:                              ;   in Loop: Header=BB123_4 Depth=1
	s_or_b64 exec, exec, s[4:5]
	s_add_u32 s24, s24, s20
	s_addc_u32 s25, s25, 0
	v_cmp_lt_i64_e32 vcc, s[24:25], v[24:25]
	v_lshl_add_u64 v[2:3], v[2:3], 0, s[22:23]
	v_lshl_add_u64 v[4:5], v[4:5], 0, s[22:23]
	;; [unrolled: 1-line block ×8, first 2 shown]
	s_cbranch_vccz .LBB123_20
.LBB123_4:                              ; =>This Inner Loop Header: Depth=1
	s_waitcnt vmcnt(0)
	v_lshl_add_u64 v[28:29], v[0:1], 0, s[24:25]
	v_cmp_gt_u64_e64 s[2:3], s[14:15], v[28:29]
	v_mov_b32_e32 v28, 0
	s_and_saveexec_b64 s[4:5], s[2:3]
	s_cbranch_execz .LBB123_6
; %bb.5:                                ;   in Loop: Header=BB123_4 Depth=1
	v_lshl_add_u64 v[28:29], v[2:3], 0, s[10:11]
	global_load_ushort v28, v[28:29], off
.LBB123_6:                              ;   in Loop: Header=BB123_4 Depth=1
	s_or_b64 exec, exec, s[4:5]
	v_lshl_add_u64 v[30:31], v[18:19], 0, s[24:25]
	v_cmp_gt_u64_e32 vcc, s[14:15], v[30:31]
	v_mov_b32_e32 v27, 0
	v_mov_b32_e32 v29, 0
	s_and_saveexec_b64 s[4:5], vcc
	s_cbranch_execz .LBB123_8
; %bb.7:                                ;   in Loop: Header=BB123_4 Depth=1
	v_lshl_add_u64 v[30:31], v[20:21], 0, s[10:11]
	global_load_ushort v29, v[30:31], off
.LBB123_8:                              ;   in Loop: Header=BB123_4 Depth=1
	s_or_b64 exec, exec, s[4:5]
	v_lshl_add_u64 v[30:31], v[16:17], 0, s[24:25]
	v_cmp_gt_u64_e64 s[4:5], s[14:15], v[30:31]
	s_and_saveexec_b64 s[6:7], s[4:5]
	s_cbranch_execz .LBB123_10
; %bb.9:                                ;   in Loop: Header=BB123_4 Depth=1
	v_lshl_add_u64 v[30:31], v[12:13], 0, s[10:11]
	global_load_ushort v27, v[30:31], off
.LBB123_10:                             ;   in Loop: Header=BB123_4 Depth=1
	s_or_b64 exec, exec, s[6:7]
	v_lshl_add_u64 v[30:31], v[10:11], 0, s[24:25]
	v_cmp_gt_u64_e64 s[6:7], s[14:15], v[30:31]
	v_mov_b32_e32 v30, 0
	s_and_saveexec_b64 s[8:9], s[6:7]
	s_cbranch_execnz .LBB123_15
; %bb.11:                               ;   in Loop: Header=BB123_4 Depth=1
	s_or_b64 exec, exec, s[8:9]
	s_and_saveexec_b64 s[26:27], s[2:3]
	s_cbranch_execnz .LBB123_16
.LBB123_12:                             ;   in Loop: Header=BB123_4 Depth=1
	s_or_b64 exec, exec, s[26:27]
	s_and_saveexec_b64 s[8:9], vcc
	s_cbranch_execnz .LBB123_17
.LBB123_13:                             ;   in Loop: Header=BB123_4 Depth=1
	s_or_b64 exec, exec, s[8:9]
	s_and_saveexec_b64 s[8:9], s[4:5]
	s_cbranch_execnz .LBB123_18
.LBB123_14:                             ;   in Loop: Header=BB123_4 Depth=1
	s_or_b64 exec, exec, s[8:9]
	s_and_saveexec_b64 s[4:5], s[6:7]
	s_cbranch_execz .LBB123_3
	s_branch .LBB123_19
.LBB123_15:                             ;   in Loop: Header=BB123_4 Depth=1
	v_lshl_add_u64 v[30:31], v[6:7], 0, s[10:11]
	global_load_ushort v30, v[30:31], off
	s_or_b64 exec, exec, s[8:9]
	s_and_saveexec_b64 s[26:27], s[2:3]
	s_cbranch_execz .LBB123_12
.LBB123_16:                             ;   in Loop: Header=BB123_4 Depth=1
	s_waitcnt vmcnt(0)
	v_cvt_f32_f16_e32 v31, v28
	v_cmp_u_f16_e64 s[2:3], v28, v28
	v_lshl_add_u64 v[32:33], v[4:5], 0, s[10:11]
	v_cmp_gt_f32_e64 s[8:9], s28, v31
	s_or_b64 s[2:3], s[2:3], s[8:9]
	v_cndmask_b32_e64 v28, v26, v28, s[2:3]
	global_store_short v[32:33], v28, off
	s_or_b64 exec, exec, s[26:27]
	s_and_saveexec_b64 s[8:9], vcc
	s_cbranch_execz .LBB123_13
.LBB123_17:                             ;   in Loop: Header=BB123_4 Depth=1
	s_waitcnt vmcnt(0)
	v_cvt_f32_f16_e32 v28, v29
	v_cmp_u_f16_e32 vcc, v29, v29
	v_cmp_gt_f32_e64 s[2:3], s28, v28
	s_or_b64 vcc, vcc, s[2:3]
	v_cndmask_b32_e32 v31, v26, v29, vcc
	v_lshl_add_u64 v[28:29], v[22:23], 0, s[10:11]
	global_store_short v[28:29], v31, off
	s_or_b64 exec, exec, s[8:9]
	s_and_saveexec_b64 s[8:9], s[4:5]
	s_cbranch_execz .LBB123_14
.LBB123_18:                             ;   in Loop: Header=BB123_4 Depth=1
	s_waitcnt vmcnt(0)
	v_cvt_f32_f16_e32 v28, v27
	v_cmp_u_f16_e32 vcc, v27, v27
	v_cmp_gt_f32_e64 s[2:3], s28, v28
	s_or_b64 vcc, vcc, s[2:3]
	v_cndmask_b32_e32 v27, v26, v27, vcc
	v_lshl_add_u64 v[28:29], v[14:15], 0, s[10:11]
	global_store_short v[28:29], v27, off
	s_or_b64 exec, exec, s[8:9]
	s_and_saveexec_b64 s[4:5], s[6:7]
	s_cbranch_execz .LBB123_3
.LBB123_19:                             ;   in Loop: Header=BB123_4 Depth=1
	s_waitcnt vmcnt(0)
	v_cvt_f32_f16_e32 v27, v30
	v_cmp_u_f16_e32 vcc, v30, v30
	v_lshl_add_u64 v[28:29], v[8:9], 0, s[10:11]
	v_cmp_gt_f32_e64 s[2:3], s28, v27
	s_or_b64 vcc, vcc, s[2:3]
	v_cndmask_b32_e32 v27, v26, v30, vcc
	global_store_short v[28:29], v27, off
	s_branch .LBB123_3
.LBB123_20:
	s_mov_b64 s[2:3], 0
.LBB123_21:
	s_andn2_b64 vcc, exec, s[2:3]
	s_cbranch_vccnz .LBB123_25
; %bb.22:
	v_mov_b64_e32 v[4:5], 0x10000
	v_cmp_lt_i64_e32 vcc, s[12:13], v[4:5]
	s_and_b64 s[2:3], vcc, exec
	v_mov_b32_e32 v3, 0
	s_cselect_b32 s23, s13, 0
	s_cselect_b32 s22, s12, 0x10000
	v_lshlrev_b32_e32 v2, 2, v0
	s_mov_b32 s21, 0
	v_cmp_gt_i64_e32 vcc, s[22:23], v[2:3]
	s_and_saveexec_b64 s[2:3], vcc
	s_cbranch_execz .LBB123_25
; %bb.23:
	s_load_dword s0, s[0:1], 0xc5c
	v_cvt_f16_f32_e32 v2, s28
	v_mov_b32_e32 v1, v3
	s_mov_b32 s29, s28
	s_mov_b32 s30, s28
	s_waitcnt lgkmcnt(0)
	s_and_b32 s20, s0, 0xffff
	v_lshl_or_b32 v4, v2, 16, v2
	v_lshlrev_b32_e32 v2, 3, v0
	s_mov_b32 s31, s28
	v_lshl_add_u64 v[2:3], s[10:11], 0, v[2:3]
	s_lshl_b32 s24, s20, 3
	s_mov_b32 s25, s21
	s_mov_b64 s[26:27], 0
	v_lshrrev_b32_e32 v5, 16, v4
	s_mov_b32 s33, 0x5040100
.LBB123_24:                             ; =>This Inner Loop Header: Depth=1
	v_lshl_add_u64 v[6:7], s[16:17], 0, v[2:3]
	global_load_dwordx2 v[6:7], v[6:7], off
	v_lshl_add_u64 v[0:1], v[0:1], 0, s[20:21]
	v_lshlrev_b64 v[10:11], 2, v[0:1]
	v_cmp_le_i64_e32 vcc, s[22:23], v[10:11]
	v_lshl_add_u64 v[8:9], s[18:19], 0, v[2:3]
	v_lshl_add_u64 v[2:3], v[2:3], 0, s[24:25]
	s_waitcnt vmcnt(0)
	v_cvt_f32_f16_e32 v13, v7
	v_cvt_f32_f16_e32 v11, v6
	v_lshrrev_b32_e32 v12, 16, v7
	v_lshrrev_b32_e32 v10, 16, v6
	v_cvt_f32_f16_e32 v15, v12
	v_cvt_f32_f16_e32 v14, v10
	v_cmp_u_f16_e64 s[0:1], v7, v7
	v_cmp_gt_f32_e64 s[8:9], s30, v13
	v_cmp_u_f16_e64 s[2:3], v6, v6
	v_cmp_gt_f32_e64 s[10:11], s28, v11
	s_or_b64 s[0:1], s[0:1], s[8:9]
	v_cmp_u_f16_e64 s[4:5], v12, v12
	v_cmp_gt_f32_e64 s[12:13], s31, v15
	v_cndmask_b32_e64 v7, v4, v7, s[0:1]
	s_or_b64 s[0:1], s[2:3], s[10:11]
	v_cmp_u_f16_e64 s[6:7], v10, v10
	v_cmp_gt_f32_e64 s[14:15], s29, v14
	v_cndmask_b32_e64 v6, v4, v6, s[0:1]
	s_or_b64 s[0:1], s[4:5], s[12:13]
	v_cndmask_b32_e64 v11, v5, v12, s[0:1]
	s_or_b64 s[0:1], s[6:7], s[14:15]
	v_cndmask_b32_e64 v10, v5, v10, s[0:1]
	v_perm_b32 v7, v11, v7, s33
	v_perm_b32 v6, v10, v6, s33
	s_or_b64 s[26:27], vcc, s[26:27]
	global_store_dwordx2 v[8:9], v[6:7], off
	s_andn2_b64 exec, exec, s[26:27]
	s_cbranch_execnz .LBB123_24
.LBB123_25:
	s_endpgm
	.section	.rodata,"a",@progbits
	.p2align	6, 0x0
	.amdhsa_kernel _ZN2at6native12_GLOBAL__N_125multi_tensor_apply_kernelINS1_18TensorListMetadataILi2EEENS1_21BinaryOpScalarFunctorIN3c104HalfELi2ELi1ELi1EEEJNS0_7minimumIfEEfEEEvT_T0_DpT1_
		.amdhsa_group_segment_fixed_size 0
		.amdhsa_private_segment_fixed_size 0
		.amdhsa_kernarg_size 3408
		.amdhsa_user_sgpr_count 2
		.amdhsa_user_sgpr_dispatch_ptr 0
		.amdhsa_user_sgpr_queue_ptr 0
		.amdhsa_user_sgpr_kernarg_segment_ptr 1
		.amdhsa_user_sgpr_dispatch_id 0
		.amdhsa_user_sgpr_kernarg_preload_length 0
		.amdhsa_user_sgpr_kernarg_preload_offset 0
		.amdhsa_user_sgpr_private_segment_size 0
		.amdhsa_uses_dynamic_stack 0
		.amdhsa_enable_private_segment 0
		.amdhsa_system_sgpr_workgroup_id_x 1
		.amdhsa_system_sgpr_workgroup_id_y 0
		.amdhsa_system_sgpr_workgroup_id_z 0
		.amdhsa_system_sgpr_workgroup_info 0
		.amdhsa_system_vgpr_workitem_id 0
		.amdhsa_next_free_vgpr 34
		.amdhsa_next_free_sgpr 34
		.amdhsa_accum_offset 36
		.amdhsa_reserve_vcc 1
		.amdhsa_float_round_mode_32 0
		.amdhsa_float_round_mode_16_64 0
		.amdhsa_float_denorm_mode_32 3
		.amdhsa_float_denorm_mode_16_64 3
		.amdhsa_dx10_clamp 1
		.amdhsa_ieee_mode 1
		.amdhsa_fp16_overflow 0
		.amdhsa_tg_split 0
		.amdhsa_exception_fp_ieee_invalid_op 0
		.amdhsa_exception_fp_denorm_src 0
		.amdhsa_exception_fp_ieee_div_zero 0
		.amdhsa_exception_fp_ieee_overflow 0
		.amdhsa_exception_fp_ieee_underflow 0
		.amdhsa_exception_fp_ieee_inexact 0
		.amdhsa_exception_int_div_zero 0
	.end_amdhsa_kernel
	.section	.text._ZN2at6native12_GLOBAL__N_125multi_tensor_apply_kernelINS1_18TensorListMetadataILi2EEENS1_21BinaryOpScalarFunctorIN3c104HalfELi2ELi1ELi1EEEJNS0_7minimumIfEEfEEEvT_T0_DpT1_,"axG",@progbits,_ZN2at6native12_GLOBAL__N_125multi_tensor_apply_kernelINS1_18TensorListMetadataILi2EEENS1_21BinaryOpScalarFunctorIN3c104HalfELi2ELi1ELi1EEEJNS0_7minimumIfEEfEEEvT_T0_DpT1_,comdat
.Lfunc_end123:
	.size	_ZN2at6native12_GLOBAL__N_125multi_tensor_apply_kernelINS1_18TensorListMetadataILi2EEENS1_21BinaryOpScalarFunctorIN3c104HalfELi2ELi1ELi1EEEJNS0_7minimumIfEEfEEEvT_T0_DpT1_, .Lfunc_end123-_ZN2at6native12_GLOBAL__N_125multi_tensor_apply_kernelINS1_18TensorListMetadataILi2EEENS1_21BinaryOpScalarFunctorIN3c104HalfELi2ELi1ELi1EEEJNS0_7minimumIfEEfEEEvT_T0_DpT1_
                                        ; -- End function
	.set _ZN2at6native12_GLOBAL__N_125multi_tensor_apply_kernelINS1_18TensorListMetadataILi2EEENS1_21BinaryOpScalarFunctorIN3c104HalfELi2ELi1ELi1EEEJNS0_7minimumIfEEfEEEvT_T0_DpT1_.num_vgpr, 34
	.set _ZN2at6native12_GLOBAL__N_125multi_tensor_apply_kernelINS1_18TensorListMetadataILi2EEENS1_21BinaryOpScalarFunctorIN3c104HalfELi2ELi1ELi1EEEJNS0_7minimumIfEEfEEEvT_T0_DpT1_.num_agpr, 0
	.set _ZN2at6native12_GLOBAL__N_125multi_tensor_apply_kernelINS1_18TensorListMetadataILi2EEENS1_21BinaryOpScalarFunctorIN3c104HalfELi2ELi1ELi1EEEJNS0_7minimumIfEEfEEEvT_T0_DpT1_.numbered_sgpr, 34
	.set _ZN2at6native12_GLOBAL__N_125multi_tensor_apply_kernelINS1_18TensorListMetadataILi2EEENS1_21BinaryOpScalarFunctorIN3c104HalfELi2ELi1ELi1EEEJNS0_7minimumIfEEfEEEvT_T0_DpT1_.num_named_barrier, 0
	.set _ZN2at6native12_GLOBAL__N_125multi_tensor_apply_kernelINS1_18TensorListMetadataILi2EEENS1_21BinaryOpScalarFunctorIN3c104HalfELi2ELi1ELi1EEEJNS0_7minimumIfEEfEEEvT_T0_DpT1_.private_seg_size, 0
	.set _ZN2at6native12_GLOBAL__N_125multi_tensor_apply_kernelINS1_18TensorListMetadataILi2EEENS1_21BinaryOpScalarFunctorIN3c104HalfELi2ELi1ELi1EEEJNS0_7minimumIfEEfEEEvT_T0_DpT1_.uses_vcc, 1
	.set _ZN2at6native12_GLOBAL__N_125multi_tensor_apply_kernelINS1_18TensorListMetadataILi2EEENS1_21BinaryOpScalarFunctorIN3c104HalfELi2ELi1ELi1EEEJNS0_7minimumIfEEfEEEvT_T0_DpT1_.uses_flat_scratch, 0
	.set _ZN2at6native12_GLOBAL__N_125multi_tensor_apply_kernelINS1_18TensorListMetadataILi2EEENS1_21BinaryOpScalarFunctorIN3c104HalfELi2ELi1ELi1EEEJNS0_7minimumIfEEfEEEvT_T0_DpT1_.has_dyn_sized_stack, 0
	.set _ZN2at6native12_GLOBAL__N_125multi_tensor_apply_kernelINS1_18TensorListMetadataILi2EEENS1_21BinaryOpScalarFunctorIN3c104HalfELi2ELi1ELi1EEEJNS0_7minimumIfEEfEEEvT_T0_DpT1_.has_recursion, 0
	.set _ZN2at6native12_GLOBAL__N_125multi_tensor_apply_kernelINS1_18TensorListMetadataILi2EEENS1_21BinaryOpScalarFunctorIN3c104HalfELi2ELi1ELi1EEEJNS0_7minimumIfEEfEEEvT_T0_DpT1_.has_indirect_call, 0
	.section	.AMDGPU.csdata,"",@progbits
; Kernel info:
; codeLenInByte = 1364
; TotalNumSgprs: 40
; NumVgprs: 34
; NumAgprs: 0
; TotalNumVgprs: 34
; ScratchSize: 0
; MemoryBound: 0
; FloatMode: 240
; IeeeMode: 1
; LDSByteSize: 0 bytes/workgroup (compile time only)
; SGPRBlocks: 4
; VGPRBlocks: 4
; NumSGPRsForWavesPerEU: 40
; NumVGPRsForWavesPerEU: 34
; AccumOffset: 36
; Occupancy: 8
; WaveLimiterHint : 0
; COMPUTE_PGM_RSRC2:SCRATCH_EN: 0
; COMPUTE_PGM_RSRC2:USER_SGPR: 2
; COMPUTE_PGM_RSRC2:TRAP_HANDLER: 0
; COMPUTE_PGM_RSRC2:TGID_X_EN: 1
; COMPUTE_PGM_RSRC2:TGID_Y_EN: 0
; COMPUTE_PGM_RSRC2:TGID_Z_EN: 0
; COMPUTE_PGM_RSRC2:TIDIG_COMP_CNT: 0
; COMPUTE_PGM_RSRC3_GFX90A:ACCUM_OFFSET: 8
; COMPUTE_PGM_RSRC3_GFX90A:TG_SPLIT: 0
	.section	.text._ZN2at6native12_GLOBAL__N_125multi_tensor_apply_kernelINS1_18TensorListMetadataILi2EEENS1_21BinaryOpScalarFunctorIN3c108BFloat16ELi2ELi1ELi1EEEJNS0_7minimumIfEEfEEEvT_T0_DpT1_,"axG",@progbits,_ZN2at6native12_GLOBAL__N_125multi_tensor_apply_kernelINS1_18TensorListMetadataILi2EEENS1_21BinaryOpScalarFunctorIN3c108BFloat16ELi2ELi1ELi1EEEJNS0_7minimumIfEEfEEEvT_T0_DpT1_,comdat
	.globl	_ZN2at6native12_GLOBAL__N_125multi_tensor_apply_kernelINS1_18TensorListMetadataILi2EEENS1_21BinaryOpScalarFunctorIN3c108BFloat16ELi2ELi1ELi1EEEJNS0_7minimumIfEEfEEEvT_T0_DpT1_ ; -- Begin function _ZN2at6native12_GLOBAL__N_125multi_tensor_apply_kernelINS1_18TensorListMetadataILi2EEENS1_21BinaryOpScalarFunctorIN3c108BFloat16ELi2ELi1ELi1EEEJNS0_7minimumIfEEfEEEvT_T0_DpT1_
	.p2align	8
	.type	_ZN2at6native12_GLOBAL__N_125multi_tensor_apply_kernelINS1_18TensorListMetadataILi2EEENS1_21BinaryOpScalarFunctorIN3c108BFloat16ELi2ELi1ELi1EEEJNS0_7minimumIfEEfEEEvT_T0_DpT1_,@function
_ZN2at6native12_GLOBAL__N_125multi_tensor_apply_kernelINS1_18TensorListMetadataILi2EEENS1_21BinaryOpScalarFunctorIN3c108BFloat16ELi2ELi1ELi1EEEJNS0_7minimumIfEEfEEEvT_T0_DpT1_: ; @_ZN2at6native12_GLOBAL__N_125multi_tensor_apply_kernelINS1_18TensorListMetadataILi2EEENS1_21BinaryOpScalarFunctorIN3c108BFloat16ELi2ELi1ELi1EEEJNS0_7minimumIfEEfEEEvT_T0_DpT1_
; %bb.0:
	v_mov_b32_e32 v1, s2
	global_load_ubyte v1, v1, s[0:1] offset:1536
	s_add_u32 s4, s0, s2
	s_mul_hi_u32 s7, s2, 3
	s_mul_i32 s2, s2, 3
	s_addc_u32 s8, s1, 0
	s_add_u32 s6, s4, s2
	s_addc_u32 s7, s8, s7
	s_load_dword s6, s[6:7], 0x740
	s_mov_b32 s3, 0
	s_mov_b32 s5, s3
	s_waitcnt lgkmcnt(0)
	s_ashr_i32 s7, s6, 31
	s_lshl_b64 s[10:11], s[6:7], 17
	s_lshl_b64 s[6:7], s[6:7], 16
	s_waitcnt vmcnt(0)
	v_readfirstlane_b32 s2, v1
	s_lshl_b32 s2, s2, 3
	s_load_dword s30, s[0:1], 0xc4c
	s_load_dwordx2 s[8:9], s[0:1], s2 offset:0x400
	s_load_dwordx2 s[12:13], s[0:1], s2 offset:0x0
	;; [unrolled: 1-line block ×3, first 2 shown]
	s_waitcnt lgkmcnt(0)
	s_add_u32 s2, s12, s10
	s_and_b32 s4, s14, 7
	s_and_b32 s2, s2, 7
	s_sub_u32 s16, s8, s6
	s_subb_u32 s17, s9, s7
	s_and_b32 s6, s8, 3
	s_mov_b32 s7, s3
	s_or_b64 s[4:5], s[4:5], s[6:7]
	s_or_b64 s[2:3], s[4:5], s[2:3]
	s_cmp_eq_u64 s[2:3], 0
	s_mov_b64 s[2:3], -1
	s_cbranch_scc1 .LBB124_21
; %bb.1:
	v_cmp_lt_i64_e64 s[2:3], s[16:17], 1
	s_and_b64 vcc, exec, s[2:3]
	s_cbranch_vccnz .LBB124_20
; %bb.2:
	s_load_dword s2, s[0:1], 0xc5c
	v_mov_b64_e32 v[2:3], 0x10000
	v_cmp_lt_i64_e32 vcc, s[16:17], v[2:3]
	s_and_b64 s[4:5], vcc, exec
	s_cselect_b32 s19, s17, 0
	s_cselect_b32 s18, s16, 0x10000
	s_waitcnt lgkmcnt(0)
	s_and_b32 s2, s2, 0xffff
	v_cmp_lt_u64_e32 vcc, s[16:17], v[2:3]
	s_mov_b32 s3, 0
	v_mov_b32_e32 v1, 0
	s_and_b64 s[4:5], vcc, exec
	s_cselect_b32 s21, s17, 0
	s_cselect_b32 s20, s16, 0x10000
	s_lshl_b32 s22, s2, 2
	s_mov_b32 s23, s3
	v_lshlrev_b32_e32 v12, 1, v0
	v_mov_b32_e32 v13, v1
	v_lshl_add_u64 v[18:19], v[0:1], 0, s[2:3]
	s_lshl_b32 s4, s2, 1
	s_mov_b32 s5, s3
	s_mul_i32 s6, s2, 3
	s_mov_b32 s7, s3
	v_mad_u64_u32 v[8:9], s[8:9], s2, 6, v[12:13]
	v_lshl_add_u64 v[14:15], s[22:23], 0, v[12:13]
	v_lshlrev_b32_e32 v22, 1, v18
	v_mov_b32_e32 v23, v1
	v_lshl_add_u64 v[2:3], s[12:13], 0, v[12:13]
	s_lshl_b32 s24, s2, 3
	s_mov_b32 s25, s3
	v_lshl_add_u64 v[4:5], s[14:15], 0, v[12:13]
	v_lshl_add_u64 v[6:7], s[12:13], 0, v[8:9]
	;; [unrolled: 1-line block ×9, first 2 shown]
	s_mov_b64 s[26:27], 0
	s_movk_i32 s23, 0x7fff
	v_mov_b32_e32 v24, 0x7fc0
	s_branch .LBB124_4
.LBB124_3:                              ;   in Loop: Header=BB124_4 Depth=1
	s_or_b64 exec, exec, s[4:5]
	s_add_u32 s26, s26, s22
	s_addc_u32 s27, s27, 0
	v_mov_b64_e32 v[26:27], s[18:19]
	v_cmp_lt_i64_e32 vcc, s[26:27], v[26:27]
	v_lshl_add_u64 v[2:3], v[2:3], 0, s[24:25]
	v_lshl_add_u64 v[4:5], v[4:5], 0, s[24:25]
	;; [unrolled: 1-line block ×8, first 2 shown]
	s_cbranch_vccz .LBB124_20
.LBB124_4:                              ; =>This Inner Loop Header: Depth=1
	v_lshl_add_u64 v[26:27], v[0:1], 0, s[26:27]
	v_cmp_gt_u64_e32 vcc, s[20:21], v[26:27]
	v_mov_b32_e32 v28, 0
	s_and_saveexec_b64 s[2:3], vcc
	s_cbranch_execz .LBB124_6
; %bb.5:                                ;   in Loop: Header=BB124_4 Depth=1
	v_lshl_add_u64 v[26:27], v[2:3], 0, s[10:11]
	global_load_ushort v25, v[26:27], off
	s_waitcnt vmcnt(0)
	v_lshlrev_b32_e32 v28, 16, v25
.LBB124_6:                              ;   in Loop: Header=BB124_4 Depth=1
	s_or_b64 exec, exec, s[2:3]
	v_lshl_add_u64 v[26:27], v[18:19], 0, s[26:27]
	v_cmp_gt_u64_e64 s[6:7], s[20:21], v[26:27]
	v_mov_b32_e32 v25, 0
	v_mov_b32_e32 v27, 0
	s_and_saveexec_b64 s[2:3], s[6:7]
	s_cbranch_execz .LBB124_8
; %bb.7:                                ;   in Loop: Header=BB124_4 Depth=1
	v_lshl_add_u64 v[26:27], v[20:21], 0, s[10:11]
	global_load_ushort v26, v[26:27], off
	s_waitcnt vmcnt(0)
	v_lshlrev_b32_e32 v27, 16, v26
.LBB124_8:                              ;   in Loop: Header=BB124_4 Depth=1
	s_or_b64 exec, exec, s[2:3]
	v_lshl_add_u64 v[30:31], v[16:17], 0, s[26:27]
	v_cmp_gt_u64_e64 s[4:5], s[20:21], v[30:31]
	s_and_saveexec_b64 s[2:3], s[4:5]
	s_cbranch_execz .LBB124_10
; %bb.9:                                ;   in Loop: Header=BB124_4 Depth=1
	v_lshl_add_u64 v[30:31], v[12:13], 0, s[10:11]
	global_load_ushort v25, v[30:31], off
	s_waitcnt vmcnt(0)
	v_lshlrev_b32_e32 v25, 16, v25
.LBB124_10:                             ;   in Loop: Header=BB124_4 Depth=1
	s_or_b64 exec, exec, s[2:3]
	v_lshl_add_u64 v[30:31], v[10:11], 0, s[26:27]
	v_cmp_gt_u64_e64 s[2:3], s[20:21], v[30:31]
	v_mov_b32_e32 v26, 0
	s_and_saveexec_b64 s[8:9], s[2:3]
	s_cbranch_execnz .LBB124_15
; %bb.11:                               ;   in Loop: Header=BB124_4 Depth=1
	s_or_b64 exec, exec, s[8:9]
	s_and_saveexec_b64 s[28:29], vcc
	s_cbranch_execnz .LBB124_16
.LBB124_12:                             ;   in Loop: Header=BB124_4 Depth=1
	s_or_b64 exec, exec, s[28:29]
	s_and_saveexec_b64 s[8:9], s[6:7]
	s_cbranch_execnz .LBB124_17
.LBB124_13:                             ;   in Loop: Header=BB124_4 Depth=1
	s_or_b64 exec, exec, s[8:9]
	s_and_saveexec_b64 s[6:7], s[4:5]
	s_cbranch_execnz .LBB124_18
.LBB124_14:                             ;   in Loop: Header=BB124_4 Depth=1
	s_or_b64 exec, exec, s[6:7]
	s_and_saveexec_b64 s[4:5], s[2:3]
	s_cbranch_execz .LBB124_3
	s_branch .LBB124_19
.LBB124_15:                             ;   in Loop: Header=BB124_4 Depth=1
	v_lshl_add_u64 v[30:31], v[6:7], 0, s[10:11]
	global_load_ushort v26, v[30:31], off
	s_waitcnt vmcnt(0)
	v_lshlrev_b32_e32 v26, 16, v26
	s_or_b64 exec, exec, s[8:9]
	s_and_saveexec_b64 s[28:29], vcc
	s_cbranch_execz .LBB124_12
.LBB124_16:                             ;   in Loop: Header=BB124_4 Depth=1
	v_cmp_u_f32_e32 vcc, v28, v28
	v_cmp_gt_f32_e64 s[8:9], s30, v28
	v_mov_b32_e32 v29, s30
	s_or_b64 vcc, vcc, s[8:9]
	v_cndmask_b32_e32 v28, v29, v28, vcc
	v_bfe_u32 v29, v28, 16, 1
	v_add3_u32 v29, v28, v29, s23
	v_cmp_o_f32_e32 vcc, v28, v28
	v_lshl_add_u64 v[30:31], v[4:5], 0, s[10:11]
	s_nop 0
	v_cndmask_b32_sdwa v28, v24, v29, vcc dst_sel:DWORD dst_unused:UNUSED_PAD src0_sel:DWORD src1_sel:WORD_1
	global_store_short v[30:31], v28, off
	s_or_b64 exec, exec, s[28:29]
	s_and_saveexec_b64 s[8:9], s[6:7]
	s_cbranch_execz .LBB124_13
.LBB124_17:                             ;   in Loop: Header=BB124_4 Depth=1
	v_cmp_u_f32_e32 vcc, v27, v27
	v_cmp_gt_f32_e64 s[6:7], s30, v27
	v_mov_b32_e32 v28, s30
	s_or_b64 vcc, vcc, s[6:7]
	v_cndmask_b32_e32 v27, v28, v27, vcc
	v_bfe_u32 v28, v27, 16, 1
	v_add3_u32 v28, v27, v28, s23
	v_cmp_o_f32_e32 vcc, v27, v27
	s_nop 1
	v_cndmask_b32_sdwa v27, v24, v28, vcc dst_sel:DWORD dst_unused:UNUSED_PAD src0_sel:DWORD src1_sel:WORD_1
	v_lshl_add_u64 v[28:29], v[22:23], 0, s[10:11]
	global_store_short v[28:29], v27, off
	s_or_b64 exec, exec, s[8:9]
	s_and_saveexec_b64 s[6:7], s[4:5]
	s_cbranch_execz .LBB124_14
.LBB124_18:                             ;   in Loop: Header=BB124_4 Depth=1
	v_cmp_u_f32_e32 vcc, v25, v25
	v_cmp_gt_f32_e64 s[4:5], s30, v25
	v_mov_b32_e32 v27, s30
	s_or_b64 vcc, vcc, s[4:5]
	v_cndmask_b32_e32 v25, v27, v25, vcc
	v_bfe_u32 v27, v25, 16, 1
	v_add3_u32 v27, v25, v27, s23
	v_cmp_o_f32_e32 vcc, v25, v25
	v_lshl_add_u64 v[28:29], v[14:15], 0, s[10:11]
	s_nop 0
	v_cndmask_b32_sdwa v25, v24, v27, vcc dst_sel:DWORD dst_unused:UNUSED_PAD src0_sel:DWORD src1_sel:WORD_1
	global_store_short v[28:29], v25, off
	s_or_b64 exec, exec, s[6:7]
	s_and_saveexec_b64 s[4:5], s[2:3]
	s_cbranch_execz .LBB124_3
.LBB124_19:                             ;   in Loop: Header=BB124_4 Depth=1
	v_cmp_u_f32_e32 vcc, v26, v26
	v_cmp_gt_f32_e64 s[2:3], s30, v26
	v_mov_b32_e32 v25, s30
	s_or_b64 vcc, vcc, s[2:3]
	v_cndmask_b32_e32 v25, v25, v26, vcc
	v_bfe_u32 v26, v25, 16, 1
	v_add3_u32 v26, v25, v26, s23
	v_cmp_o_f32_e32 vcc, v25, v25
	s_nop 1
	v_cndmask_b32_sdwa v25, v24, v26, vcc dst_sel:DWORD dst_unused:UNUSED_PAD src0_sel:DWORD src1_sel:WORD_1
	v_lshl_add_u64 v[26:27], v[8:9], 0, s[10:11]
	global_store_short v[26:27], v25, off
	s_branch .LBB124_3
.LBB124_20:
	s_mov_b64 s[2:3], 0
.LBB124_21:
	s_andn2_b64 vcc, exec, s[2:3]
	s_cbranch_vccnz .LBB124_25
; %bb.22:
	v_mov_b64_e32 v[4:5], 0x10000
	v_cmp_lt_i64_e32 vcc, s[16:17], v[4:5]
	s_and_b64 s[2:3], vcc, exec
	v_mov_b32_e32 v3, 0
	s_cselect_b32 s17, s17, 0
	s_cselect_b32 s16, s16, 0x10000
	v_lshlrev_b32_e32 v2, 2, v0
	s_mov_b32 s19, 0
	v_cmp_gt_i64_e32 vcc, s[16:17], v[2:3]
	s_and_saveexec_b64 s[2:3], vcc
	s_cbranch_execz .LBB124_25
; %bb.23:
	s_load_dword s0, s[0:1], 0xc5c
	v_lshlrev_b32_e32 v2, 3, v0
	v_mov_b32_e32 v1, v3
	s_mov_b32 s21, s19
	v_lshl_add_u64 v[2:3], s[10:11], 0, v[2:3]
	s_waitcnt lgkmcnt(0)
	s_and_b32 s18, s0, 0xffff
	s_lshl_b32 s20, s18, 3
	s_mov_b64 s[22:23], 0
	v_mov_b32_e32 v4, s30
	s_movk_i32 s24, 0x7fff
	v_mov_b32_e32 v5, 0x7fc00000
	v_mov_b32_e32 v6, 0x7fc0
.LBB124_24:                             ; =>This Inner Loop Header: Depth=1
	v_lshl_add_u64 v[8:9], s[12:13], 0, v[2:3]
	global_load_dwordx2 v[8:9], v[8:9], off
	v_lshl_add_u64 v[0:1], v[0:1], 0, s[18:19]
	v_lshlrev_b64 v[12:13], 2, v[0:1]
	v_cmp_le_i64_e32 vcc, s[16:17], v[12:13]
	v_lshl_add_u64 v[10:11], s[14:15], 0, v[2:3]
	v_lshl_add_u64 v[2:3], v[2:3], 0, s[20:21]
	s_waitcnt vmcnt(0)
	v_lshlrev_b32_e32 v7, 16, v8
	v_and_b32_e32 v12, 0xffff0000, v8
	v_cmp_u_f32_e64 s[0:1], v7, v7
	v_cmp_gt_f32_e64 s[2:3], s30, v7
	v_alignbit_b32 v8, v9, v8, 16
	v_and_b32_e32 v9, 0xffff0000, v9
	v_cmp_u_f32_e64 s[4:5], v12, v12
	v_cmp_gt_f32_e64 s[6:7], s30, v12
	s_or_b64 s[0:1], s[0:1], s[2:3]
	v_and_b32_e32 v8, 0xffff0000, v8
	v_cmp_u_f32_e64 s[8:9], v9, v9
	v_cmp_gt_f32_e64 s[10:11], s30, v9
	v_cndmask_b32_e64 v7, v4, v7, s[0:1]
	s_or_b64 s[0:1], s[4:5], s[6:7]
	v_cndmask_b32_e64 v12, v4, v12, s[0:1]
	v_cmp_u_f32_e64 s[0:1], v8, v8
	v_cmp_gt_f32_e64 s[2:3], s30, v8
	s_or_b64 s[4:5], s[8:9], s[10:11]
	v_cndmask_b32_e64 v9, v4, v9, s[4:5]
	s_or_b64 s[0:1], s[0:1], s[2:3]
	v_bfe_u32 v13, v7, 16, 1
	v_bfe_u32 v14, v12, 16, 1
	v_cndmask_b32_e64 v8, v4, v8, s[0:1]
	v_bfe_u32 v15, v9, 16, 1
	v_add3_u32 v13, v7, v13, s24
	v_add3_u32 v14, v12, v14, s24
	v_bfe_u32 v16, v8, 16, 1
	v_add3_u32 v15, v9, v15, s24
	s_or_b64 s[22:23], vcc, s[22:23]
	v_lshrrev_b32_e32 v13, 16, v13
	v_and_b32_e32 v14, 0xffff0000, v14
	v_add3_u32 v16, v8, v16, s24
	v_and_b32_e32 v15, 0xffff0000, v15
	v_cmp_o_f32_e32 vcc, v9, v9
	v_cmp_o_f32_e64 s[0:1], v12, v12
	v_cmp_o_f32_e64 s[2:3], v7, v7
	v_lshrrev_b32_e32 v7, 16, v16
	v_cndmask_b32_e32 v9, v5, v15, vcc
	v_cndmask_b32_e64 v12, v5, v14, s[0:1]
	v_cndmask_b32_e64 v13, v6, v13, s[2:3]
	v_cmp_o_f32_e32 vcc, v8, v8
	v_or_b32_e32 v8, v13, v12
	v_or3_b32 v8, v8, 0, 0
	v_cndmask_b32_e32 v7, v6, v7, vcc
	v_or3_b32 v9, 0, v7, v9
	global_store_dwordx2 v[10:11], v[8:9], off
	s_andn2_b64 exec, exec, s[22:23]
	s_cbranch_execnz .LBB124_24
.LBB124_25:
	s_endpgm
	.section	.rodata,"a",@progbits
	.p2align	6, 0x0
	.amdhsa_kernel _ZN2at6native12_GLOBAL__N_125multi_tensor_apply_kernelINS1_18TensorListMetadataILi2EEENS1_21BinaryOpScalarFunctorIN3c108BFloat16ELi2ELi1ELi1EEEJNS0_7minimumIfEEfEEEvT_T0_DpT1_
		.amdhsa_group_segment_fixed_size 0
		.amdhsa_private_segment_fixed_size 0
		.amdhsa_kernarg_size 3408
		.amdhsa_user_sgpr_count 2
		.amdhsa_user_sgpr_dispatch_ptr 0
		.amdhsa_user_sgpr_queue_ptr 0
		.amdhsa_user_sgpr_kernarg_segment_ptr 1
		.amdhsa_user_sgpr_dispatch_id 0
		.amdhsa_user_sgpr_kernarg_preload_length 0
		.amdhsa_user_sgpr_kernarg_preload_offset 0
		.amdhsa_user_sgpr_private_segment_size 0
		.amdhsa_uses_dynamic_stack 0
		.amdhsa_enable_private_segment 0
		.amdhsa_system_sgpr_workgroup_id_x 1
		.amdhsa_system_sgpr_workgroup_id_y 0
		.amdhsa_system_sgpr_workgroup_id_z 0
		.amdhsa_system_sgpr_workgroup_info 0
		.amdhsa_system_vgpr_workitem_id 0
		.amdhsa_next_free_vgpr 32
		.amdhsa_next_free_sgpr 31
		.amdhsa_accum_offset 32
		.amdhsa_reserve_vcc 1
		.amdhsa_float_round_mode_32 0
		.amdhsa_float_round_mode_16_64 0
		.amdhsa_float_denorm_mode_32 3
		.amdhsa_float_denorm_mode_16_64 3
		.amdhsa_dx10_clamp 1
		.amdhsa_ieee_mode 1
		.amdhsa_fp16_overflow 0
		.amdhsa_tg_split 0
		.amdhsa_exception_fp_ieee_invalid_op 0
		.amdhsa_exception_fp_denorm_src 0
		.amdhsa_exception_fp_ieee_div_zero 0
		.amdhsa_exception_fp_ieee_overflow 0
		.amdhsa_exception_fp_ieee_underflow 0
		.amdhsa_exception_fp_ieee_inexact 0
		.amdhsa_exception_int_div_zero 0
	.end_amdhsa_kernel
	.section	.text._ZN2at6native12_GLOBAL__N_125multi_tensor_apply_kernelINS1_18TensorListMetadataILi2EEENS1_21BinaryOpScalarFunctorIN3c108BFloat16ELi2ELi1ELi1EEEJNS0_7minimumIfEEfEEEvT_T0_DpT1_,"axG",@progbits,_ZN2at6native12_GLOBAL__N_125multi_tensor_apply_kernelINS1_18TensorListMetadataILi2EEENS1_21BinaryOpScalarFunctorIN3c108BFloat16ELi2ELi1ELi1EEEJNS0_7minimumIfEEfEEEvT_T0_DpT1_,comdat
.Lfunc_end124:
	.size	_ZN2at6native12_GLOBAL__N_125multi_tensor_apply_kernelINS1_18TensorListMetadataILi2EEENS1_21BinaryOpScalarFunctorIN3c108BFloat16ELi2ELi1ELi1EEEJNS0_7minimumIfEEfEEEvT_T0_DpT1_, .Lfunc_end124-_ZN2at6native12_GLOBAL__N_125multi_tensor_apply_kernelINS1_18TensorListMetadataILi2EEENS1_21BinaryOpScalarFunctorIN3c108BFloat16ELi2ELi1ELi1EEEJNS0_7minimumIfEEfEEEvT_T0_DpT1_
                                        ; -- End function
	.set _ZN2at6native12_GLOBAL__N_125multi_tensor_apply_kernelINS1_18TensorListMetadataILi2EEENS1_21BinaryOpScalarFunctorIN3c108BFloat16ELi2ELi1ELi1EEEJNS0_7minimumIfEEfEEEvT_T0_DpT1_.num_vgpr, 32
	.set _ZN2at6native12_GLOBAL__N_125multi_tensor_apply_kernelINS1_18TensorListMetadataILi2EEENS1_21BinaryOpScalarFunctorIN3c108BFloat16ELi2ELi1ELi1EEEJNS0_7minimumIfEEfEEEvT_T0_DpT1_.num_agpr, 0
	.set _ZN2at6native12_GLOBAL__N_125multi_tensor_apply_kernelINS1_18TensorListMetadataILi2EEENS1_21BinaryOpScalarFunctorIN3c108BFloat16ELi2ELi1ELi1EEEJNS0_7minimumIfEEfEEEvT_T0_DpT1_.numbered_sgpr, 31
	.set _ZN2at6native12_GLOBAL__N_125multi_tensor_apply_kernelINS1_18TensorListMetadataILi2EEENS1_21BinaryOpScalarFunctorIN3c108BFloat16ELi2ELi1ELi1EEEJNS0_7minimumIfEEfEEEvT_T0_DpT1_.num_named_barrier, 0
	.set _ZN2at6native12_GLOBAL__N_125multi_tensor_apply_kernelINS1_18TensorListMetadataILi2EEENS1_21BinaryOpScalarFunctorIN3c108BFloat16ELi2ELi1ELi1EEEJNS0_7minimumIfEEfEEEvT_T0_DpT1_.private_seg_size, 0
	.set _ZN2at6native12_GLOBAL__N_125multi_tensor_apply_kernelINS1_18TensorListMetadataILi2EEENS1_21BinaryOpScalarFunctorIN3c108BFloat16ELi2ELi1ELi1EEEJNS0_7minimumIfEEfEEEvT_T0_DpT1_.uses_vcc, 1
	.set _ZN2at6native12_GLOBAL__N_125multi_tensor_apply_kernelINS1_18TensorListMetadataILi2EEENS1_21BinaryOpScalarFunctorIN3c108BFloat16ELi2ELi1ELi1EEEJNS0_7minimumIfEEfEEEvT_T0_DpT1_.uses_flat_scratch, 0
	.set _ZN2at6native12_GLOBAL__N_125multi_tensor_apply_kernelINS1_18TensorListMetadataILi2EEENS1_21BinaryOpScalarFunctorIN3c108BFloat16ELi2ELi1ELi1EEEJNS0_7minimumIfEEfEEEvT_T0_DpT1_.has_dyn_sized_stack, 0
	.set _ZN2at6native12_GLOBAL__N_125multi_tensor_apply_kernelINS1_18TensorListMetadataILi2EEENS1_21BinaryOpScalarFunctorIN3c108BFloat16ELi2ELi1ELi1EEEJNS0_7minimumIfEEfEEEvT_T0_DpT1_.has_recursion, 0
	.set _ZN2at6native12_GLOBAL__N_125multi_tensor_apply_kernelINS1_18TensorListMetadataILi2EEENS1_21BinaryOpScalarFunctorIN3c108BFloat16ELi2ELi1ELi1EEEJNS0_7minimumIfEEfEEEvT_T0_DpT1_.has_indirect_call, 0
	.section	.AMDGPU.csdata,"",@progbits
; Kernel info:
; codeLenInByte = 1644
; TotalNumSgprs: 37
; NumVgprs: 32
; NumAgprs: 0
; TotalNumVgprs: 32
; ScratchSize: 0
; MemoryBound: 0
; FloatMode: 240
; IeeeMode: 1
; LDSByteSize: 0 bytes/workgroup (compile time only)
; SGPRBlocks: 4
; VGPRBlocks: 3
; NumSGPRsForWavesPerEU: 37
; NumVGPRsForWavesPerEU: 32
; AccumOffset: 32
; Occupancy: 8
; WaveLimiterHint : 0
; COMPUTE_PGM_RSRC2:SCRATCH_EN: 0
; COMPUTE_PGM_RSRC2:USER_SGPR: 2
; COMPUTE_PGM_RSRC2:TRAP_HANDLER: 0
; COMPUTE_PGM_RSRC2:TGID_X_EN: 1
; COMPUTE_PGM_RSRC2:TGID_Y_EN: 0
; COMPUTE_PGM_RSRC2:TGID_Z_EN: 0
; COMPUTE_PGM_RSRC2:TIDIG_COMP_CNT: 0
; COMPUTE_PGM_RSRC3_GFX90A:ACCUM_OFFSET: 7
; COMPUTE_PGM_RSRC3_GFX90A:TG_SPLIT: 0
	.section	.text._ZN2at6native12_GLOBAL__N_125multi_tensor_apply_kernelINS1_18TensorListMetadataILi1EEENS1_21BinaryOpScalarFunctorIhLi1ELi1ELi0EEEJNS0_7maximumIhEEhEEEvT_T0_DpT1_,"axG",@progbits,_ZN2at6native12_GLOBAL__N_125multi_tensor_apply_kernelINS1_18TensorListMetadataILi1EEENS1_21BinaryOpScalarFunctorIhLi1ELi1ELi0EEEJNS0_7maximumIhEEhEEEvT_T0_DpT1_,comdat
	.globl	_ZN2at6native12_GLOBAL__N_125multi_tensor_apply_kernelINS1_18TensorListMetadataILi1EEENS1_21BinaryOpScalarFunctorIhLi1ELi1ELi0EEEJNS0_7maximumIhEEhEEEvT_T0_DpT1_ ; -- Begin function _ZN2at6native12_GLOBAL__N_125multi_tensor_apply_kernelINS1_18TensorListMetadataILi1EEENS1_21BinaryOpScalarFunctorIhLi1ELi1ELi0EEEJNS0_7maximumIhEEhEEEvT_T0_DpT1_
	.p2align	8
	.type	_ZN2at6native12_GLOBAL__N_125multi_tensor_apply_kernelINS1_18TensorListMetadataILi1EEENS1_21BinaryOpScalarFunctorIhLi1ELi1ELi0EEEJNS0_7maximumIhEEhEEEvT_T0_DpT1_,@function
_ZN2at6native12_GLOBAL__N_125multi_tensor_apply_kernelINS1_18TensorListMetadataILi1EEENS1_21BinaryOpScalarFunctorIhLi1ELi1ELi0EEEJNS0_7maximumIhEEhEEEvT_T0_DpT1_: ; @_ZN2at6native12_GLOBAL__N_125multi_tensor_apply_kernelINS1_18TensorListMetadataILi1EEENS1_21BinaryOpScalarFunctorIhLi1ELi1ELi0EEEJNS0_7maximumIhEEhEEEvT_T0_DpT1_
; %bb.0:
	v_mov_b32_e32 v1, s2
	global_load_ubyte v1, v1, s[0:1] offset:1760
	s_load_dword s3, s[0:1], 0xd28
	s_mul_hi_u32 s4, s2, 3
	s_mul_i32 s5, s2, 3
	s_waitcnt lgkmcnt(0)
	s_lshr_b32 s20, s3, 16
	s_add_u32 s2, s0, s2
	s_addc_u32 s3, s1, 0
	s_add_u32 s2, s2, s5
	s_addc_u32 s3, s3, s4
	s_load_dword s2, s[2:3], 0x820
	s_waitcnt vmcnt(0)
	v_readfirstlane_b32 s3, v1
	s_lshl_b32 s3, s3, 3
	s_load_dwordx2 s[4:5], s[0:1], s3 offset:0x370
	s_load_dwordx2 s[8:9], s[0:1], s3 offset:0x0
	s_waitcnt lgkmcnt(0)
	s_ashr_i32 s3, s2, 31
	s_lshl_b64 s[10:11], s[2:3], 16
	s_sub_u32 s12, s4, s10
	s_subb_u32 s13, s5, s11
	s_or_b32 s2, s4, s8
	s_and_b32 s2, s2, 3
	s_cmp_eq_u32 s2, 0
	s_cbranch_scc1 .LBB125_21
; %bb.1:
	v_cmp_lt_i64_e64 s[2:3], s[12:13], 1
	s_and_b64 vcc, exec, s[2:3]
	s_cbranch_vccnz .LBB125_20
; %bb.2:
	s_load_dword s2, s[0:1], 0xd3c
	v_mov_b64_e32 v[2:3], 0x10000
	v_cmp_lt_i64_e32 vcc, s[12:13], v[2:3]
	s_and_b64 s[4:5], vcc, exec
	s_cselect_b32 s5, s13, 0
	s_cselect_b32 s4, s12, 0x10000
	s_waitcnt lgkmcnt(0)
	s_and_b32 s2, s2, 0xffff
	v_cmp_lt_u64_e32 vcc, s[12:13], v[2:3]
	s_and_b64 s[6:7], vcc, exec
	s_cselect_b32 s15, s13, 0
	s_cselect_b32 s14, s12, 0x10000
	s_lshl_b32 s6, s2, 1
	s_mul_i32 s16, s2, 3
	s_lshl_b32 s21, s2, 2
	s_add_u32 s18, s10, s16
	s_addc_u32 s19, s11, 0
	s_mov_b32 s3, 0
	s_add_u32 s18, s8, s18
	v_mov_b32_e32 v1, 0
	s_mov_b32 s17, s3
	s_addc_u32 s19, s9, s19
	v_lshl_add_u64 v[6:7], s[16:17], 0, v[0:1]
	s_add_u32 s16, s10, s6
	s_addc_u32 s17, s11, 0
	s_add_u32 s16, s8, s16
	s_mov_b32 s7, s3
	s_addc_u32 s17, s9, s17
	v_lshl_add_u64 v[10:11], s[6:7], 0, v[0:1]
	s_add_u32 s6, s8, s2
	v_lshl_add_u64 v[12:13], s[10:11], 0, v[0:1]
	s_addc_u32 s7, s9, 0
	v_lshl_add_u64 v[2:3], s[8:9], 0, v[12:13]
	v_lshl_add_u64 v[4:5], s[18:19], 0, v[0:1]
	;; [unrolled: 1-line block ×5, first 2 shown]
	s_mov_b64 s[16:17], 0
	v_mov_b64_e32 v[16:17], s[4:5]
	s_and_b32 s22, s20, 0xff
	s_branch .LBB125_4
.LBB125_3:                              ;   in Loop: Header=BB125_4 Depth=1
	s_or_b64 exec, exec, s[2:3]
	s_add_u32 s16, s16, s21
	s_addc_u32 s17, s17, 0
	v_cmp_lt_i64_e32 vcc, s[16:17], v[16:17]
	s_cbranch_vccz .LBB125_20
.LBB125_4:                              ; =>This Inner Loop Header: Depth=1
	v_lshl_add_u64 v[18:19], v[0:1], 0, s[16:17]
	v_cmp_gt_u64_e32 vcc, s[14:15], v[18:19]
	v_mov_b32_e32 v26, s20
	v_lshl_add_u64 v[18:19], v[2:3], 0, s[16:17]
	s_and_saveexec_b64 s[2:3], vcc
	s_cbranch_execz .LBB125_6
; %bb.5:                                ;   in Loop: Header=BB125_4 Depth=1
	global_load_ubyte v20, v[18:19], off
	s_waitcnt vmcnt(0)
	v_max_u16_e32 v26, s22, v20
.LBB125_6:                              ;   in Loop: Header=BB125_4 Depth=1
	s_or_b64 exec, exec, s[2:3]
	v_lshl_add_u64 v[20:21], v[14:15], 0, s[16:17]
	v_cmp_gt_u64_e64 s[2:3], s[14:15], v[20:21]
	v_mov_b32_e32 v27, s20
	v_lshl_add_u64 v[20:21], v[12:13], 0, s[16:17]
	s_and_saveexec_b64 s[4:5], s[2:3]
	s_cbranch_execz .LBB125_8
; %bb.7:                                ;   in Loop: Header=BB125_4 Depth=1
	global_load_ubyte v22, v[20:21], off
	s_waitcnt vmcnt(0)
	v_max_u16_e32 v27, s22, v22
.LBB125_8:                              ;   in Loop: Header=BB125_4 Depth=1
	s_or_b64 exec, exec, s[4:5]
	v_lshl_add_u64 v[22:23], v[10:11], 0, s[16:17]
	v_cmp_gt_u64_e64 s[4:5], s[14:15], v[22:23]
	v_mov_b32_e32 v28, s20
	v_lshl_add_u64 v[22:23], v[8:9], 0, s[16:17]
	s_and_saveexec_b64 s[6:7], s[4:5]
	s_cbranch_execz .LBB125_10
; %bb.9:                                ;   in Loop: Header=BB125_4 Depth=1
	global_load_ubyte v24, v[22:23], off
	s_waitcnt vmcnt(0)
	v_max_u16_e32 v28, s22, v24
.LBB125_10:                             ;   in Loop: Header=BB125_4 Depth=1
	s_or_b64 exec, exec, s[6:7]
	v_lshl_add_u64 v[24:25], v[6:7], 0, s[16:17]
	v_cmp_gt_u64_e64 s[6:7], s[14:15], v[24:25]
	v_mov_b32_e32 v29, s20
	v_lshl_add_u64 v[24:25], v[4:5], 0, s[16:17]
	s_and_saveexec_b64 s[18:19], s[6:7]
	s_cbranch_execnz .LBB125_15
; %bb.11:                               ;   in Loop: Header=BB125_4 Depth=1
	s_or_b64 exec, exec, s[18:19]
	s_and_saveexec_b64 s[18:19], vcc
	s_cbranch_execnz .LBB125_16
.LBB125_12:                             ;   in Loop: Header=BB125_4 Depth=1
	s_or_b64 exec, exec, s[18:19]
	s_and_saveexec_b64 s[18:19], s[2:3]
	s_cbranch_execnz .LBB125_17
.LBB125_13:                             ;   in Loop: Header=BB125_4 Depth=1
	s_or_b64 exec, exec, s[18:19]
	s_and_saveexec_b64 s[2:3], s[4:5]
	s_cbranch_execnz .LBB125_18
.LBB125_14:                             ;   in Loop: Header=BB125_4 Depth=1
	s_or_b64 exec, exec, s[2:3]
	s_and_saveexec_b64 s[2:3], s[6:7]
	s_cbranch_execz .LBB125_3
	s_branch .LBB125_19
.LBB125_15:                             ;   in Loop: Header=BB125_4 Depth=1
	global_load_ubyte v29, v[24:25], off
	s_waitcnt vmcnt(0)
	v_max_u16_e32 v29, s22, v29
	s_or_b64 exec, exec, s[18:19]
	s_and_saveexec_b64 s[18:19], vcc
	s_cbranch_execz .LBB125_12
.LBB125_16:                             ;   in Loop: Header=BB125_4 Depth=1
	global_store_byte v[18:19], v26, off
	s_or_b64 exec, exec, s[18:19]
	s_and_saveexec_b64 s[18:19], s[2:3]
	s_cbranch_execz .LBB125_13
.LBB125_17:                             ;   in Loop: Header=BB125_4 Depth=1
	global_store_byte v[20:21], v27, off
	s_or_b64 exec, exec, s[18:19]
	s_and_saveexec_b64 s[2:3], s[4:5]
	s_cbranch_execz .LBB125_14
.LBB125_18:                             ;   in Loop: Header=BB125_4 Depth=1
	global_store_byte v[22:23], v28, off
	s_or_b64 exec, exec, s[2:3]
	s_and_saveexec_b64 s[2:3], s[6:7]
	s_cbranch_execz .LBB125_3
.LBB125_19:                             ;   in Loop: Header=BB125_4 Depth=1
	global_store_byte v[24:25], v29, off
	s_branch .LBB125_3
.LBB125_20:
	s_cbranch_execz .LBB125_22
	s_branch .LBB125_25
.LBB125_21:
.LBB125_22:
	v_mov_b64_e32 v[4:5], 0x10000
	v_cmp_lt_i64_e32 vcc, s[12:13], v[4:5]
	s_and_b64 s[4:5], vcc, exec
	v_mov_b32_e32 v3, 0
	s_cselect_b32 s5, s13, 0
	s_cselect_b32 s4, s12, 0x10000
	v_lshlrev_b32_e32 v2, 2, v0
	s_mov_b32 s3, 0
	v_cmp_gt_i64_e32 vcc, s[4:5], v[2:3]
	s_and_saveexec_b64 s[6:7], vcc
	s_cbranch_execz .LBB125_25
; %bb.23:
	s_load_dword s0, s[0:1], 0xd3c
	v_mov_b32_e32 v1, v3
	s_mov_b32 s1, s3
	s_mov_b64 s[6:7], 0
	s_waitcnt lgkmcnt(0)
	s_and_b32 s2, s0, 0xffff
	s_add_u32 s8, s8, s10
	s_addc_u32 s9, s9, s11
	s_lshl_b32 s0, s2, 2
	v_lshl_add_u64 v[2:3], s[8:9], 0, v[2:3]
	s_movk_i32 s8, 0xff
	s_and_b32 s9, s20, 0xff
.LBB125_24:                             ; =>This Inner Loop Header: Depth=1
	global_load_dword v6, v[2:3], off
	v_lshl_add_u64 v[0:1], v[0:1], 0, s[2:3]
	v_lshlrev_b64 v[4:5], 2, v[0:1]
	v_cmp_le_i64_e32 vcc, s[4:5], v[4:5]
	s_or_b64 s[6:7], vcc, s[6:7]
	s_waitcnt vmcnt(0)
	v_lshrrev_b32_e32 v5, 8, v6
	v_and_b32_sdwa v7, v6, s8 dst_sel:DWORD dst_unused:UNUSED_PAD src0_sel:WORD_1 src1_sel:DWORD
	v_max_u16_sdwa v4, v6, s9 dst_sel:DWORD dst_unused:UNUSED_PAD src0_sel:BYTE_0 src1_sel:DWORD
	v_max_u16_sdwa v6, v6, s9 dst_sel:BYTE_1 dst_unused:UNUSED_PAD src0_sel:BYTE_3 src1_sel:DWORD
	v_max_u16_sdwa v5, v5, s9 dst_sel:BYTE_1 dst_unused:UNUSED_PAD src0_sel:BYTE_0 src1_sel:DWORD
	v_max_u16_e32 v7, s9, v7
	v_or_b32_e32 v4, v4, v5
	v_or_b32_sdwa v5, v7, v6 dst_sel:WORD_1 dst_unused:UNUSED_PAD src0_sel:DWORD src1_sel:DWORD
	s_nop 0
	v_or_b32_sdwa v4, v4, v5 dst_sel:DWORD dst_unused:UNUSED_PAD src0_sel:WORD_0 src1_sel:DWORD
	global_store_dword v[2:3], v4, off
	v_lshl_add_u64 v[2:3], v[2:3], 0, s[0:1]
	s_andn2_b64 exec, exec, s[6:7]
	s_cbranch_execnz .LBB125_24
.LBB125_25:
	s_endpgm
	.section	.rodata,"a",@progbits
	.p2align	6, 0x0
	.amdhsa_kernel _ZN2at6native12_GLOBAL__N_125multi_tensor_apply_kernelINS1_18TensorListMetadataILi1EEENS1_21BinaryOpScalarFunctorIhLi1ELi1ELi0EEEJNS0_7maximumIhEEhEEEvT_T0_DpT1_
		.amdhsa_group_segment_fixed_size 0
		.amdhsa_private_segment_fixed_size 0
		.amdhsa_kernarg_size 3632
		.amdhsa_user_sgpr_count 2
		.amdhsa_user_sgpr_dispatch_ptr 0
		.amdhsa_user_sgpr_queue_ptr 0
		.amdhsa_user_sgpr_kernarg_segment_ptr 1
		.amdhsa_user_sgpr_dispatch_id 0
		.amdhsa_user_sgpr_kernarg_preload_length 0
		.amdhsa_user_sgpr_kernarg_preload_offset 0
		.amdhsa_user_sgpr_private_segment_size 0
		.amdhsa_uses_dynamic_stack 0
		.amdhsa_enable_private_segment 0
		.amdhsa_system_sgpr_workgroup_id_x 1
		.amdhsa_system_sgpr_workgroup_id_y 0
		.amdhsa_system_sgpr_workgroup_id_z 0
		.amdhsa_system_sgpr_workgroup_info 0
		.amdhsa_system_vgpr_workitem_id 0
		.amdhsa_next_free_vgpr 30
		.amdhsa_next_free_sgpr 23
		.amdhsa_accum_offset 32
		.amdhsa_reserve_vcc 1
		.amdhsa_float_round_mode_32 0
		.amdhsa_float_round_mode_16_64 0
		.amdhsa_float_denorm_mode_32 3
		.amdhsa_float_denorm_mode_16_64 3
		.amdhsa_dx10_clamp 1
		.amdhsa_ieee_mode 1
		.amdhsa_fp16_overflow 0
		.amdhsa_tg_split 0
		.amdhsa_exception_fp_ieee_invalid_op 0
		.amdhsa_exception_fp_denorm_src 0
		.amdhsa_exception_fp_ieee_div_zero 0
		.amdhsa_exception_fp_ieee_overflow 0
		.amdhsa_exception_fp_ieee_underflow 0
		.amdhsa_exception_fp_ieee_inexact 0
		.amdhsa_exception_int_div_zero 0
	.end_amdhsa_kernel
	.section	.text._ZN2at6native12_GLOBAL__N_125multi_tensor_apply_kernelINS1_18TensorListMetadataILi1EEENS1_21BinaryOpScalarFunctorIhLi1ELi1ELi0EEEJNS0_7maximumIhEEhEEEvT_T0_DpT1_,"axG",@progbits,_ZN2at6native12_GLOBAL__N_125multi_tensor_apply_kernelINS1_18TensorListMetadataILi1EEENS1_21BinaryOpScalarFunctorIhLi1ELi1ELi0EEEJNS0_7maximumIhEEhEEEvT_T0_DpT1_,comdat
.Lfunc_end125:
	.size	_ZN2at6native12_GLOBAL__N_125multi_tensor_apply_kernelINS1_18TensorListMetadataILi1EEENS1_21BinaryOpScalarFunctorIhLi1ELi1ELi0EEEJNS0_7maximumIhEEhEEEvT_T0_DpT1_, .Lfunc_end125-_ZN2at6native12_GLOBAL__N_125multi_tensor_apply_kernelINS1_18TensorListMetadataILi1EEENS1_21BinaryOpScalarFunctorIhLi1ELi1ELi0EEEJNS0_7maximumIhEEhEEEvT_T0_DpT1_
                                        ; -- End function
	.set _ZN2at6native12_GLOBAL__N_125multi_tensor_apply_kernelINS1_18TensorListMetadataILi1EEENS1_21BinaryOpScalarFunctorIhLi1ELi1ELi0EEEJNS0_7maximumIhEEhEEEvT_T0_DpT1_.num_vgpr, 30
	.set _ZN2at6native12_GLOBAL__N_125multi_tensor_apply_kernelINS1_18TensorListMetadataILi1EEENS1_21BinaryOpScalarFunctorIhLi1ELi1ELi0EEEJNS0_7maximumIhEEhEEEvT_T0_DpT1_.num_agpr, 0
	.set _ZN2at6native12_GLOBAL__N_125multi_tensor_apply_kernelINS1_18TensorListMetadataILi1EEENS1_21BinaryOpScalarFunctorIhLi1ELi1ELi0EEEJNS0_7maximumIhEEhEEEvT_T0_DpT1_.numbered_sgpr, 23
	.set _ZN2at6native12_GLOBAL__N_125multi_tensor_apply_kernelINS1_18TensorListMetadataILi1EEENS1_21BinaryOpScalarFunctorIhLi1ELi1ELi0EEEJNS0_7maximumIhEEhEEEvT_T0_DpT1_.num_named_barrier, 0
	.set _ZN2at6native12_GLOBAL__N_125multi_tensor_apply_kernelINS1_18TensorListMetadataILi1EEENS1_21BinaryOpScalarFunctorIhLi1ELi1ELi0EEEJNS0_7maximumIhEEhEEEvT_T0_DpT1_.private_seg_size, 0
	.set _ZN2at6native12_GLOBAL__N_125multi_tensor_apply_kernelINS1_18TensorListMetadataILi1EEENS1_21BinaryOpScalarFunctorIhLi1ELi1ELi0EEEJNS0_7maximumIhEEhEEEvT_T0_DpT1_.uses_vcc, 1
	.set _ZN2at6native12_GLOBAL__N_125multi_tensor_apply_kernelINS1_18TensorListMetadataILi1EEENS1_21BinaryOpScalarFunctorIhLi1ELi1ELi0EEEJNS0_7maximumIhEEhEEEvT_T0_DpT1_.uses_flat_scratch, 0
	.set _ZN2at6native12_GLOBAL__N_125multi_tensor_apply_kernelINS1_18TensorListMetadataILi1EEENS1_21BinaryOpScalarFunctorIhLi1ELi1ELi0EEEJNS0_7maximumIhEEhEEEvT_T0_DpT1_.has_dyn_sized_stack, 0
	.set _ZN2at6native12_GLOBAL__N_125multi_tensor_apply_kernelINS1_18TensorListMetadataILi1EEENS1_21BinaryOpScalarFunctorIhLi1ELi1ELi0EEEJNS0_7maximumIhEEhEEEvT_T0_DpT1_.has_recursion, 0
	.set _ZN2at6native12_GLOBAL__N_125multi_tensor_apply_kernelINS1_18TensorListMetadataILi1EEENS1_21BinaryOpScalarFunctorIhLi1ELi1ELi0EEEJNS0_7maximumIhEEhEEEvT_T0_DpT1_.has_indirect_call, 0
	.section	.AMDGPU.csdata,"",@progbits
; Kernel info:
; codeLenInByte = 984
; TotalNumSgprs: 29
; NumVgprs: 30
; NumAgprs: 0
; TotalNumVgprs: 30
; ScratchSize: 0
; MemoryBound: 0
; FloatMode: 240
; IeeeMode: 1
; LDSByteSize: 0 bytes/workgroup (compile time only)
; SGPRBlocks: 3
; VGPRBlocks: 3
; NumSGPRsForWavesPerEU: 29
; NumVGPRsForWavesPerEU: 30
; AccumOffset: 32
; Occupancy: 8
; WaveLimiterHint : 0
; COMPUTE_PGM_RSRC2:SCRATCH_EN: 0
; COMPUTE_PGM_RSRC2:USER_SGPR: 2
; COMPUTE_PGM_RSRC2:TRAP_HANDLER: 0
; COMPUTE_PGM_RSRC2:TGID_X_EN: 1
; COMPUTE_PGM_RSRC2:TGID_Y_EN: 0
; COMPUTE_PGM_RSRC2:TGID_Z_EN: 0
; COMPUTE_PGM_RSRC2:TIDIG_COMP_CNT: 0
; COMPUTE_PGM_RSRC3_GFX90A:ACCUM_OFFSET: 7
; COMPUTE_PGM_RSRC3_GFX90A:TG_SPLIT: 0
	.section	.text._ZN2at6native12_GLOBAL__N_125multi_tensor_apply_kernelINS1_18TensorListMetadataILi1EEENS1_21BinaryOpScalarFunctorIaLi1ELi1ELi0EEEJNS0_7maximumIaEEaEEEvT_T0_DpT1_,"axG",@progbits,_ZN2at6native12_GLOBAL__N_125multi_tensor_apply_kernelINS1_18TensorListMetadataILi1EEENS1_21BinaryOpScalarFunctorIaLi1ELi1ELi0EEEJNS0_7maximumIaEEaEEEvT_T0_DpT1_,comdat
	.globl	_ZN2at6native12_GLOBAL__N_125multi_tensor_apply_kernelINS1_18TensorListMetadataILi1EEENS1_21BinaryOpScalarFunctorIaLi1ELi1ELi0EEEJNS0_7maximumIaEEaEEEvT_T0_DpT1_ ; -- Begin function _ZN2at6native12_GLOBAL__N_125multi_tensor_apply_kernelINS1_18TensorListMetadataILi1EEENS1_21BinaryOpScalarFunctorIaLi1ELi1ELi0EEEJNS0_7maximumIaEEaEEEvT_T0_DpT1_
	.p2align	8
	.type	_ZN2at6native12_GLOBAL__N_125multi_tensor_apply_kernelINS1_18TensorListMetadataILi1EEENS1_21BinaryOpScalarFunctorIaLi1ELi1ELi0EEEJNS0_7maximumIaEEaEEEvT_T0_DpT1_,@function
_ZN2at6native12_GLOBAL__N_125multi_tensor_apply_kernelINS1_18TensorListMetadataILi1EEENS1_21BinaryOpScalarFunctorIaLi1ELi1ELi0EEEJNS0_7maximumIaEEaEEEvT_T0_DpT1_: ; @_ZN2at6native12_GLOBAL__N_125multi_tensor_apply_kernelINS1_18TensorListMetadataILi1EEENS1_21BinaryOpScalarFunctorIaLi1ELi1ELi0EEEJNS0_7maximumIaEEaEEEvT_T0_DpT1_
; %bb.0:
	v_mov_b32_e32 v1, s2
	global_load_ubyte v1, v1, s[0:1] offset:1760
	s_load_dword s3, s[0:1], 0xd28
	s_mul_hi_u32 s4, s2, 3
	s_mul_i32 s5, s2, 3
	s_waitcnt lgkmcnt(0)
	s_lshr_b32 s20, s3, 16
	s_add_u32 s2, s0, s2
	s_addc_u32 s3, s1, 0
	s_add_u32 s2, s2, s5
	s_addc_u32 s3, s3, s4
	s_load_dword s2, s[2:3], 0x820
	s_waitcnt vmcnt(0)
	v_readfirstlane_b32 s3, v1
	s_lshl_b32 s3, s3, 3
	s_load_dwordx2 s[4:5], s[0:1], s3 offset:0x370
	s_load_dwordx2 s[8:9], s[0:1], s3 offset:0x0
	s_waitcnt lgkmcnt(0)
	s_ashr_i32 s3, s2, 31
	s_lshl_b64 s[10:11], s[2:3], 16
	s_sub_u32 s12, s4, s10
	s_subb_u32 s13, s5, s11
	s_or_b32 s2, s4, s8
	s_and_b32 s2, s2, 3
	s_cmp_eq_u32 s2, 0
	s_cbranch_scc1 .LBB126_21
; %bb.1:
	v_cmp_lt_i64_e64 s[2:3], s[12:13], 1
	s_and_b64 vcc, exec, s[2:3]
	s_cbranch_vccnz .LBB126_20
; %bb.2:
	s_load_dword s2, s[0:1], 0xd3c
	v_mov_b64_e32 v[2:3], 0x10000
	v_cmp_lt_i64_e32 vcc, s[12:13], v[2:3]
	s_and_b64 s[4:5], vcc, exec
	s_cselect_b32 s5, s13, 0
	s_cselect_b32 s4, s12, 0x10000
	s_waitcnt lgkmcnt(0)
	s_and_b32 s2, s2, 0xffff
	v_cmp_lt_u64_e32 vcc, s[12:13], v[2:3]
	s_and_b64 s[6:7], vcc, exec
	s_cselect_b32 s15, s13, 0
	s_cselect_b32 s14, s12, 0x10000
	s_lshl_b32 s6, s2, 1
	s_mul_i32 s16, s2, 3
	s_lshl_b32 s21, s2, 2
	s_add_u32 s18, s10, s16
	s_addc_u32 s19, s11, 0
	s_mov_b32 s3, 0
	s_add_u32 s18, s8, s18
	v_mov_b32_e32 v1, 0
	s_mov_b32 s17, s3
	s_addc_u32 s19, s9, s19
	v_lshl_add_u64 v[6:7], s[16:17], 0, v[0:1]
	s_add_u32 s16, s10, s6
	s_addc_u32 s17, s11, 0
	s_add_u32 s16, s8, s16
	s_mov_b32 s7, s3
	s_addc_u32 s17, s9, s17
	v_lshl_add_u64 v[10:11], s[6:7], 0, v[0:1]
	s_add_u32 s6, s8, s2
	v_lshl_add_u64 v[12:13], s[10:11], 0, v[0:1]
	s_addc_u32 s7, s9, 0
	v_lshl_add_u64 v[2:3], s[8:9], 0, v[12:13]
	v_lshl_add_u64 v[4:5], s[18:19], 0, v[0:1]
	;; [unrolled: 1-line block ×5, first 2 shown]
	s_mov_b64 s[16:17], 0
	s_bfe_i32 s22, s20, 0x80000
	v_mov_b64_e32 v[16:17], s[4:5]
	s_branch .LBB126_4
.LBB126_3:                              ;   in Loop: Header=BB126_4 Depth=1
	s_or_b64 exec, exec, s[2:3]
	s_add_u32 s16, s16, s21
	s_addc_u32 s17, s17, 0
	v_cmp_lt_i64_e32 vcc, s[16:17], v[16:17]
	s_cbranch_vccz .LBB126_20
.LBB126_4:                              ; =>This Inner Loop Header: Depth=1
	v_lshl_add_u64 v[18:19], v[0:1], 0, s[16:17]
	v_cmp_gt_u64_e32 vcc, s[14:15], v[18:19]
	v_lshl_add_u64 v[18:19], v[2:3], 0, s[16:17]
	s_waitcnt vmcnt(0)
	v_mov_b32_e32 v27, 0
	s_and_saveexec_b64 s[2:3], vcc
	s_cbranch_execz .LBB126_6
; %bb.5:                                ;   in Loop: Header=BB126_4 Depth=1
	global_load_ubyte v27, v[18:19], off
.LBB126_6:                              ;   in Loop: Header=BB126_4 Depth=1
	s_or_b64 exec, exec, s[2:3]
	v_lshl_add_u64 v[20:21], v[14:15], 0, s[16:17]
	v_cmp_gt_u64_e64 s[2:3], s[14:15], v[20:21]
	v_mov_b32_e32 v26, 0
	v_lshl_add_u64 v[20:21], v[12:13], 0, s[16:17]
	v_mov_b32_e32 v28, 0
	s_and_saveexec_b64 s[4:5], s[2:3]
	s_cbranch_execz .LBB126_8
; %bb.7:                                ;   in Loop: Header=BB126_4 Depth=1
	global_load_ubyte v28, v[20:21], off
.LBB126_8:                              ;   in Loop: Header=BB126_4 Depth=1
	s_or_b64 exec, exec, s[4:5]
	v_lshl_add_u64 v[22:23], v[10:11], 0, s[16:17]
	v_cmp_gt_u64_e64 s[4:5], s[14:15], v[22:23]
	v_lshl_add_u64 v[22:23], v[8:9], 0, s[16:17]
	s_and_saveexec_b64 s[6:7], s[4:5]
	s_cbranch_execz .LBB126_10
; %bb.9:                                ;   in Loop: Header=BB126_4 Depth=1
	global_load_ubyte v26, v[22:23], off
.LBB126_10:                             ;   in Loop: Header=BB126_4 Depth=1
	s_or_b64 exec, exec, s[6:7]
	v_lshl_add_u64 v[24:25], v[6:7], 0, s[16:17]
	v_cmp_gt_u64_e64 s[6:7], s[14:15], v[24:25]
	v_mov_b32_e32 v29, 0
	v_lshl_add_u64 v[24:25], v[4:5], 0, s[16:17]
	s_and_saveexec_b64 s[18:19], s[6:7]
	s_cbranch_execnz .LBB126_15
; %bb.11:                               ;   in Loop: Header=BB126_4 Depth=1
	s_or_b64 exec, exec, s[18:19]
	s_and_saveexec_b64 s[18:19], vcc
	s_cbranch_execnz .LBB126_16
.LBB126_12:                             ;   in Loop: Header=BB126_4 Depth=1
	s_or_b64 exec, exec, s[18:19]
	s_and_saveexec_b64 s[18:19], s[2:3]
	s_cbranch_execnz .LBB126_17
.LBB126_13:                             ;   in Loop: Header=BB126_4 Depth=1
	s_or_b64 exec, exec, s[18:19]
	s_and_saveexec_b64 s[2:3], s[4:5]
	s_cbranch_execnz .LBB126_18
.LBB126_14:                             ;   in Loop: Header=BB126_4 Depth=1
	s_or_b64 exec, exec, s[2:3]
	s_and_saveexec_b64 s[2:3], s[6:7]
	s_cbranch_execz .LBB126_3
	s_branch .LBB126_19
.LBB126_15:                             ;   in Loop: Header=BB126_4 Depth=1
	global_load_ubyte v29, v[24:25], off
	s_or_b64 exec, exec, s[18:19]
	s_and_saveexec_b64 s[18:19], vcc
	s_cbranch_execz .LBB126_12
.LBB126_16:                             ;   in Loop: Header=BB126_4 Depth=1
	s_waitcnt vmcnt(0)
	v_max_i16_sdwa v27, sext(v27), s22 dst_sel:DWORD dst_unused:UNUSED_PAD src0_sel:BYTE_0 src1_sel:DWORD
	global_store_byte v[18:19], v27, off
	s_or_b64 exec, exec, s[18:19]
	s_and_saveexec_b64 s[18:19], s[2:3]
	s_cbranch_execz .LBB126_13
.LBB126_17:                             ;   in Loop: Header=BB126_4 Depth=1
	s_waitcnt vmcnt(0)
	v_max_i16_sdwa v18, sext(v28), s22 dst_sel:DWORD dst_unused:UNUSED_PAD src0_sel:BYTE_0 src1_sel:DWORD
	global_store_byte v[20:21], v18, off
	s_or_b64 exec, exec, s[18:19]
	s_and_saveexec_b64 s[2:3], s[4:5]
	s_cbranch_execz .LBB126_14
.LBB126_18:                             ;   in Loop: Header=BB126_4 Depth=1
	s_waitcnt vmcnt(0)
	v_max_i16_sdwa v18, sext(v26), s22 dst_sel:DWORD dst_unused:UNUSED_PAD src0_sel:BYTE_0 src1_sel:DWORD
	global_store_byte v[22:23], v18, off
	s_or_b64 exec, exec, s[2:3]
	s_and_saveexec_b64 s[2:3], s[6:7]
	s_cbranch_execz .LBB126_3
.LBB126_19:                             ;   in Loop: Header=BB126_4 Depth=1
	s_waitcnt vmcnt(0)
	v_max_i16_sdwa v18, sext(v29), s22 dst_sel:DWORD dst_unused:UNUSED_PAD src0_sel:BYTE_0 src1_sel:DWORD
	global_store_byte v[24:25], v18, off
	s_branch .LBB126_3
.LBB126_20:
	s_cbranch_execz .LBB126_22
	s_branch .LBB126_25
.LBB126_21:
.LBB126_22:
	v_mov_b64_e32 v[4:5], 0x10000
	v_cmp_lt_i64_e32 vcc, s[12:13], v[4:5]
	s_and_b64 s[4:5], vcc, exec
	v_mov_b32_e32 v3, 0
	s_cselect_b32 s5, s13, 0
	s_cselect_b32 s4, s12, 0x10000
	v_lshlrev_b32_e32 v2, 2, v0
	s_mov_b32 s3, 0
	v_cmp_gt_i64_e32 vcc, s[4:5], v[2:3]
	s_and_saveexec_b64 s[6:7], vcc
	s_cbranch_execz .LBB126_25
; %bb.23:
	s_load_dword s0, s[0:1], 0xd3c
	v_mov_b32_e32 v1, v3
	s_mov_b32 s1, s3
	s_mov_b64 s[6:7], 0
	s_waitcnt lgkmcnt(0)
	s_and_b32 s2, s0, 0xffff
	s_add_u32 s8, s8, s10
	s_addc_u32 s9, s9, s11
	s_lshl_b32 s0, s2, 2
	v_lshl_add_u64 v[2:3], s[8:9], 0, v[2:3]
	s_bfe_i32 s8, s20, 0x80000
	s_movk_i32 s9, 0xff
.LBB126_24:                             ; =>This Inner Loop Header: Depth=1
	global_load_dword v6, v[2:3], off
	v_lshl_add_u64 v[0:1], v[0:1], 0, s[2:3]
	v_lshlrev_b64 v[4:5], 2, v[0:1]
	v_cmp_le_i64_e32 vcc, s[4:5], v[4:5]
	s_or_b64 s[6:7], vcc, s[6:7]
	s_waitcnt vmcnt(0)
	v_max_i16_sdwa v4, sext(v6), s8 dst_sel:DWORD dst_unused:UNUSED_PAD src0_sel:BYTE_0 src1_sel:DWORD
	v_lshrrev_b32_e32 v5, 8, v6
	v_lshrrev_b32_e32 v7, 16, v6
	;; [unrolled: 1-line block ×3, first 2 shown]
	v_max_i16_sdwa v5, sext(v5), s8 dst_sel:BYTE_1 dst_unused:UNUSED_PAD src0_sel:BYTE_0 src1_sel:DWORD
	v_max_i16_sdwa v7, sext(v7), s8 dst_sel:DWORD dst_unused:UNUSED_PAD src0_sel:BYTE_0 src1_sel:DWORD
	v_max_i16_sdwa v6, sext(v6), s8 dst_sel:BYTE_1 dst_unused:UNUSED_PAD src0_sel:BYTE_0 src1_sel:DWORD
	v_bitop3_b16 v4, v4, v5, s9 bitop3:0xec
	v_bitop3_b16 v5, v7, v6, s9 bitop3:0xec
	v_lshlrev_b32_e32 v5, 16, v5
	v_or_b32_sdwa v4, v4, v5 dst_sel:DWORD dst_unused:UNUSED_PAD src0_sel:WORD_0 src1_sel:DWORD
	global_store_dword v[2:3], v4, off
	v_lshl_add_u64 v[2:3], v[2:3], 0, s[0:1]
	s_andn2_b64 exec, exec, s[6:7]
	s_cbranch_execnz .LBB126_24
.LBB126_25:
	s_endpgm
	.section	.rodata,"a",@progbits
	.p2align	6, 0x0
	.amdhsa_kernel _ZN2at6native12_GLOBAL__N_125multi_tensor_apply_kernelINS1_18TensorListMetadataILi1EEENS1_21BinaryOpScalarFunctorIaLi1ELi1ELi0EEEJNS0_7maximumIaEEaEEEvT_T0_DpT1_
		.amdhsa_group_segment_fixed_size 0
		.amdhsa_private_segment_fixed_size 0
		.amdhsa_kernarg_size 3632
		.amdhsa_user_sgpr_count 2
		.amdhsa_user_sgpr_dispatch_ptr 0
		.amdhsa_user_sgpr_queue_ptr 0
		.amdhsa_user_sgpr_kernarg_segment_ptr 1
		.amdhsa_user_sgpr_dispatch_id 0
		.amdhsa_user_sgpr_kernarg_preload_length 0
		.amdhsa_user_sgpr_kernarg_preload_offset 0
		.amdhsa_user_sgpr_private_segment_size 0
		.amdhsa_uses_dynamic_stack 0
		.amdhsa_enable_private_segment 0
		.amdhsa_system_sgpr_workgroup_id_x 1
		.amdhsa_system_sgpr_workgroup_id_y 0
		.amdhsa_system_sgpr_workgroup_id_z 0
		.amdhsa_system_sgpr_workgroup_info 0
		.amdhsa_system_vgpr_workitem_id 0
		.amdhsa_next_free_vgpr 30
		.amdhsa_next_free_sgpr 23
		.amdhsa_accum_offset 32
		.amdhsa_reserve_vcc 1
		.amdhsa_float_round_mode_32 0
		.amdhsa_float_round_mode_16_64 0
		.amdhsa_float_denorm_mode_32 3
		.amdhsa_float_denorm_mode_16_64 3
		.amdhsa_dx10_clamp 1
		.amdhsa_ieee_mode 1
		.amdhsa_fp16_overflow 0
		.amdhsa_tg_split 0
		.amdhsa_exception_fp_ieee_invalid_op 0
		.amdhsa_exception_fp_denorm_src 0
		.amdhsa_exception_fp_ieee_div_zero 0
		.amdhsa_exception_fp_ieee_overflow 0
		.amdhsa_exception_fp_ieee_underflow 0
		.amdhsa_exception_fp_ieee_inexact 0
		.amdhsa_exception_int_div_zero 0
	.end_amdhsa_kernel
	.section	.text._ZN2at6native12_GLOBAL__N_125multi_tensor_apply_kernelINS1_18TensorListMetadataILi1EEENS1_21BinaryOpScalarFunctorIaLi1ELi1ELi0EEEJNS0_7maximumIaEEaEEEvT_T0_DpT1_,"axG",@progbits,_ZN2at6native12_GLOBAL__N_125multi_tensor_apply_kernelINS1_18TensorListMetadataILi1EEENS1_21BinaryOpScalarFunctorIaLi1ELi1ELi0EEEJNS0_7maximumIaEEaEEEvT_T0_DpT1_,comdat
.Lfunc_end126:
	.size	_ZN2at6native12_GLOBAL__N_125multi_tensor_apply_kernelINS1_18TensorListMetadataILi1EEENS1_21BinaryOpScalarFunctorIaLi1ELi1ELi0EEEJNS0_7maximumIaEEaEEEvT_T0_DpT1_, .Lfunc_end126-_ZN2at6native12_GLOBAL__N_125multi_tensor_apply_kernelINS1_18TensorListMetadataILi1EEENS1_21BinaryOpScalarFunctorIaLi1ELi1ELi0EEEJNS0_7maximumIaEEaEEEvT_T0_DpT1_
                                        ; -- End function
	.set _ZN2at6native12_GLOBAL__N_125multi_tensor_apply_kernelINS1_18TensorListMetadataILi1EEENS1_21BinaryOpScalarFunctorIaLi1ELi1ELi0EEEJNS0_7maximumIaEEaEEEvT_T0_DpT1_.num_vgpr, 30
	.set _ZN2at6native12_GLOBAL__N_125multi_tensor_apply_kernelINS1_18TensorListMetadataILi1EEENS1_21BinaryOpScalarFunctorIaLi1ELi1ELi0EEEJNS0_7maximumIaEEaEEEvT_T0_DpT1_.num_agpr, 0
	.set _ZN2at6native12_GLOBAL__N_125multi_tensor_apply_kernelINS1_18TensorListMetadataILi1EEENS1_21BinaryOpScalarFunctorIaLi1ELi1ELi0EEEJNS0_7maximumIaEEaEEEvT_T0_DpT1_.numbered_sgpr, 23
	.set _ZN2at6native12_GLOBAL__N_125multi_tensor_apply_kernelINS1_18TensorListMetadataILi1EEENS1_21BinaryOpScalarFunctorIaLi1ELi1ELi0EEEJNS0_7maximumIaEEaEEEvT_T0_DpT1_.num_named_barrier, 0
	.set _ZN2at6native12_GLOBAL__N_125multi_tensor_apply_kernelINS1_18TensorListMetadataILi1EEENS1_21BinaryOpScalarFunctorIaLi1ELi1ELi0EEEJNS0_7maximumIaEEaEEEvT_T0_DpT1_.private_seg_size, 0
	.set _ZN2at6native12_GLOBAL__N_125multi_tensor_apply_kernelINS1_18TensorListMetadataILi1EEENS1_21BinaryOpScalarFunctorIaLi1ELi1ELi0EEEJNS0_7maximumIaEEaEEEvT_T0_DpT1_.uses_vcc, 1
	.set _ZN2at6native12_GLOBAL__N_125multi_tensor_apply_kernelINS1_18TensorListMetadataILi1EEENS1_21BinaryOpScalarFunctorIaLi1ELi1ELi0EEEJNS0_7maximumIaEEaEEEvT_T0_DpT1_.uses_flat_scratch, 0
	.set _ZN2at6native12_GLOBAL__N_125multi_tensor_apply_kernelINS1_18TensorListMetadataILi1EEENS1_21BinaryOpScalarFunctorIaLi1ELi1ELi0EEEJNS0_7maximumIaEEaEEEvT_T0_DpT1_.has_dyn_sized_stack, 0
	.set _ZN2at6native12_GLOBAL__N_125multi_tensor_apply_kernelINS1_18TensorListMetadataILi1EEENS1_21BinaryOpScalarFunctorIaLi1ELi1ELi0EEEJNS0_7maximumIaEEaEEEvT_T0_DpT1_.has_recursion, 0
	.set _ZN2at6native12_GLOBAL__N_125multi_tensor_apply_kernelINS1_18TensorListMetadataILi1EEENS1_21BinaryOpScalarFunctorIaLi1ELi1ELi0EEEJNS0_7maximumIaEEaEEEvT_T0_DpT1_.has_indirect_call, 0
	.section	.AMDGPU.csdata,"",@progbits
; Kernel info:
; codeLenInByte = 1012
; TotalNumSgprs: 29
; NumVgprs: 30
; NumAgprs: 0
; TotalNumVgprs: 30
; ScratchSize: 0
; MemoryBound: 0
; FloatMode: 240
; IeeeMode: 1
; LDSByteSize: 0 bytes/workgroup (compile time only)
; SGPRBlocks: 3
; VGPRBlocks: 3
; NumSGPRsForWavesPerEU: 29
; NumVGPRsForWavesPerEU: 30
; AccumOffset: 32
; Occupancy: 8
; WaveLimiterHint : 0
; COMPUTE_PGM_RSRC2:SCRATCH_EN: 0
; COMPUTE_PGM_RSRC2:USER_SGPR: 2
; COMPUTE_PGM_RSRC2:TRAP_HANDLER: 0
; COMPUTE_PGM_RSRC2:TGID_X_EN: 1
; COMPUTE_PGM_RSRC2:TGID_Y_EN: 0
; COMPUTE_PGM_RSRC2:TGID_Z_EN: 0
; COMPUTE_PGM_RSRC2:TIDIG_COMP_CNT: 0
; COMPUTE_PGM_RSRC3_GFX90A:ACCUM_OFFSET: 7
; COMPUTE_PGM_RSRC3_GFX90A:TG_SPLIT: 0
	.section	.text._ZN2at6native12_GLOBAL__N_125multi_tensor_apply_kernelINS1_18TensorListMetadataILi1EEENS1_21BinaryOpScalarFunctorIiLi1ELi1ELi0EEEJNS0_7maximumIiEEiEEEvT_T0_DpT1_,"axG",@progbits,_ZN2at6native12_GLOBAL__N_125multi_tensor_apply_kernelINS1_18TensorListMetadataILi1EEENS1_21BinaryOpScalarFunctorIiLi1ELi1ELi0EEEJNS0_7maximumIiEEiEEEvT_T0_DpT1_,comdat
	.globl	_ZN2at6native12_GLOBAL__N_125multi_tensor_apply_kernelINS1_18TensorListMetadataILi1EEENS1_21BinaryOpScalarFunctorIiLi1ELi1ELi0EEEJNS0_7maximumIiEEiEEEvT_T0_DpT1_ ; -- Begin function _ZN2at6native12_GLOBAL__N_125multi_tensor_apply_kernelINS1_18TensorListMetadataILi1EEENS1_21BinaryOpScalarFunctorIiLi1ELi1ELi0EEEJNS0_7maximumIiEEiEEEvT_T0_DpT1_
	.p2align	8
	.type	_ZN2at6native12_GLOBAL__N_125multi_tensor_apply_kernelINS1_18TensorListMetadataILi1EEENS1_21BinaryOpScalarFunctorIiLi1ELi1ELi0EEEJNS0_7maximumIiEEiEEEvT_T0_DpT1_,@function
_ZN2at6native12_GLOBAL__N_125multi_tensor_apply_kernelINS1_18TensorListMetadataILi1EEENS1_21BinaryOpScalarFunctorIiLi1ELi1ELi0EEEJNS0_7maximumIiEEiEEEvT_T0_DpT1_: ; @_ZN2at6native12_GLOBAL__N_125multi_tensor_apply_kernelINS1_18TensorListMetadataILi1EEENS1_21BinaryOpScalarFunctorIiLi1ELi1ELi0EEEJNS0_7maximumIiEEiEEEvT_T0_DpT1_
; %bb.0:
	v_mov_b32_e32 v1, s2
	global_load_ubyte v1, v1, s[0:1] offset:1760
	s_add_u32 s3, s0, s2
	s_mul_hi_u32 s4, s2, 3
	s_mul_i32 s2, s2, 3
	s_addc_u32 s5, s1, 0
	s_add_u32 s2, s3, s2
	s_addc_u32 s3, s5, s4
	s_load_dword s2, s[2:3], 0x820
	s_mov_b32 s7, 0
	s_waitcnt vmcnt(0)
	v_readfirstlane_b32 s3, v1
	s_lshl_b32 s3, s3, 3
	s_load_dword s26, s[0:1], 0xd2c
	s_load_dwordx2 s[4:5], s[0:1], s3 offset:0x370
	s_load_dwordx2 s[8:9], s[0:1], s3 offset:0x0
	s_waitcnt lgkmcnt(0)
	s_ashr_i32 s3, s2, 31
	s_lshl_b64 s[10:11], s[2:3], 18
	s_lshl_b64 s[2:3], s[2:3], 16
	s_and_b32 s6, s8, 15
	s_sub_u32 s12, s4, s2
	s_subb_u32 s13, s5, s3
	s_and_b32 s2, s4, 3
	s_mov_b32 s3, s7
	s_or_b64 s[2:3], s[6:7], s[2:3]
	s_cmp_eq_u64 s[2:3], 0
	s_cbranch_scc1 .LBB127_21
; %bb.1:
	v_cmp_lt_i64_e64 s[2:3], s[12:13], 1
	s_and_b64 vcc, exec, s[2:3]
	s_cbranch_vccnz .LBB127_20
; %bb.2:
	s_load_dword s2, s[0:1], 0xd3c
	v_mov_b64_e32 v[2:3], 0x10000
	v_cmp_lt_i64_e32 vcc, s[12:13], v[2:3]
	s_and_b64 s[4:5], vcc, exec
	s_cselect_b32 s5, s13, 0
	s_cselect_b32 s4, s12, 0x10000
	s_waitcnt lgkmcnt(0)
	s_and_b32 s2, s2, 0xffff
	v_cmp_lt_u64_e32 vcc, s[12:13], v[2:3]
	s_and_b64 s[6:7], vcc, exec
	s_mov_b32 s3, 0
	v_mov_b32_e32 v1, 0
	s_cselect_b32 s15, s13, 0
	s_cselect_b32 s14, s12, 0x10000
	s_lshl_b32 s6, s2, 1
	s_lshl_b32 s27, s2, 2
	s_add_u32 s22, s8, s10
	v_lshl_add_u64 v[8:9], v[0:1], 0, s[2:3]
	s_mov_b32 s7, s3
	s_mul_i32 s20, s2, 3
	s_mov_b32 s21, s3
	v_lshlrev_b32_e32 v2, 2, v0
	v_mov_b32_e32 v3, v1
	s_addc_u32 s23, s9, s11
	v_lshlrev_b32_e32 v10, 2, v8
	v_mov_b32_e32 v11, v1
	v_lshl_add_u64 v[2:3], s[22:23], 0, v[2:3]
	s_lshl_b32 s16, s2, 4
	s_mov_b32 s17, s3
	s_mul_i32 s18, s2, 12
	s_mov_b32 s19, s3
	v_lshl_add_u64 v[4:5], s[20:21], 0, v[0:1]
	s_lshl_b32 s20, s2, 3
	v_lshl_add_u64 v[6:7], s[6:7], 0, v[0:1]
	v_lshl_add_u64 v[10:11], s[22:23], 0, v[10:11]
	s_mov_b64 s[22:23], 0
	v_mov_b64_e32 v[12:13], s[4:5]
	s_branch .LBB127_4
.LBB127_3:                              ;   in Loop: Header=BB127_4 Depth=1
	s_or_b64 exec, exec, s[2:3]
	s_add_u32 s22, s22, s27
	s_addc_u32 s23, s23, 0
	v_cmp_lt_i64_e32 vcc, s[22:23], v[12:13]
	v_lshl_add_u64 v[2:3], v[2:3], 0, s[16:17]
	v_lshl_add_u64 v[10:11], v[10:11], 0, s[16:17]
	s_cbranch_vccz .LBB127_20
.LBB127_4:                              ; =>This Inner Loop Header: Depth=1
	v_lshl_add_u64 v[14:15], v[0:1], 0, s[22:23]
	v_cmp_gt_u64_e32 vcc, s[14:15], v[14:15]
	s_waitcnt vmcnt(0)
	v_mov_b32_e32 v19, 0
	s_and_saveexec_b64 s[2:3], vcc
	s_cbranch_execz .LBB127_6
; %bb.5:                                ;   in Loop: Header=BB127_4 Depth=1
	global_load_dword v19, v[2:3], off
.LBB127_6:                              ;   in Loop: Header=BB127_4 Depth=1
	s_or_b64 exec, exec, s[2:3]
	v_lshl_add_u64 v[14:15], v[8:9], 0, s[22:23]
	v_cmp_gt_u64_e64 s[2:3], s[14:15], v[14:15]
	v_mov_b32_e32 v18, 0
	v_mov_b32_e32 v20, 0
	s_and_saveexec_b64 s[4:5], s[2:3]
	s_cbranch_execz .LBB127_8
; %bb.7:                                ;   in Loop: Header=BB127_4 Depth=1
	global_load_dword v20, v[10:11], off
.LBB127_8:                              ;   in Loop: Header=BB127_4 Depth=1
	s_or_b64 exec, exec, s[4:5]
	v_lshl_add_u64 v[14:15], v[6:7], 0, s[22:23]
	v_cmp_gt_u64_e64 s[4:5], s[14:15], v[14:15]
	v_lshl_add_u64 v[14:15], v[2:3], 0, s[20:21]
	s_and_saveexec_b64 s[6:7], s[4:5]
	s_cbranch_execz .LBB127_10
; %bb.9:                                ;   in Loop: Header=BB127_4 Depth=1
	global_load_dword v18, v[14:15], off
.LBB127_10:                             ;   in Loop: Header=BB127_4 Depth=1
	s_or_b64 exec, exec, s[6:7]
	v_lshl_add_u64 v[16:17], v[4:5], 0, s[22:23]
	v_cmp_gt_u64_e64 s[6:7], s[14:15], v[16:17]
	v_mov_b32_e32 v21, 0
	v_lshl_add_u64 v[16:17], v[2:3], 0, s[18:19]
	s_and_saveexec_b64 s[24:25], s[6:7]
	s_cbranch_execnz .LBB127_15
; %bb.11:                               ;   in Loop: Header=BB127_4 Depth=1
	s_or_b64 exec, exec, s[24:25]
	s_and_saveexec_b64 s[24:25], vcc
	s_cbranch_execnz .LBB127_16
.LBB127_12:                             ;   in Loop: Header=BB127_4 Depth=1
	s_or_b64 exec, exec, s[24:25]
	s_and_saveexec_b64 s[24:25], s[2:3]
	s_cbranch_execnz .LBB127_17
.LBB127_13:                             ;   in Loop: Header=BB127_4 Depth=1
	s_or_b64 exec, exec, s[24:25]
	s_and_saveexec_b64 s[2:3], s[4:5]
	s_cbranch_execnz .LBB127_18
.LBB127_14:                             ;   in Loop: Header=BB127_4 Depth=1
	s_or_b64 exec, exec, s[2:3]
	s_and_saveexec_b64 s[2:3], s[6:7]
	s_cbranch_execz .LBB127_3
	s_branch .LBB127_19
.LBB127_15:                             ;   in Loop: Header=BB127_4 Depth=1
	global_load_dword v21, v[16:17], off
	s_or_b64 exec, exec, s[24:25]
	s_and_saveexec_b64 s[24:25], vcc
	s_cbranch_execz .LBB127_12
.LBB127_16:                             ;   in Loop: Header=BB127_4 Depth=1
	s_waitcnt vmcnt(0)
	v_max_i32_e32 v19, s26, v19
	global_store_dword v[2:3], v19, off
	s_or_b64 exec, exec, s[24:25]
	s_and_saveexec_b64 s[24:25], s[2:3]
	s_cbranch_execz .LBB127_13
.LBB127_17:                             ;   in Loop: Header=BB127_4 Depth=1
	s_waitcnt vmcnt(0)
	v_max_i32_e32 v19, s26, v20
	global_store_dword v[10:11], v19, off
	s_or_b64 exec, exec, s[24:25]
	s_and_saveexec_b64 s[2:3], s[4:5]
	s_cbranch_execz .LBB127_14
.LBB127_18:                             ;   in Loop: Header=BB127_4 Depth=1
	s_waitcnt vmcnt(0)
	v_max_i32_e32 v18, s26, v18
	global_store_dword v[14:15], v18, off
	s_or_b64 exec, exec, s[2:3]
	s_and_saveexec_b64 s[2:3], s[6:7]
	s_cbranch_execz .LBB127_3
.LBB127_19:                             ;   in Loop: Header=BB127_4 Depth=1
	s_waitcnt vmcnt(0)
	v_max_i32_e32 v14, s26, v21
	global_store_dword v[16:17], v14, off
	s_branch .LBB127_3
.LBB127_20:
	s_cbranch_execz .LBB127_22
	s_branch .LBB127_30
.LBB127_21:
.LBB127_22:
	v_mov_b64_e32 v[4:5], 0x10000
	v_cmp_lt_i64_e32 vcc, s[12:13], v[4:5]
	s_and_b64 s[2:3], vcc, exec
	v_mov_b32_e32 v3, 0
	s_cselect_b32 s3, s13, 0
	s_cselect_b32 s2, s12, 0x10000
	v_lshlrev_b32_e32 v2, 2, v0
	s_mov_b32 s4, 0
	v_cmp_gt_i64_e32 vcc, s[2:3], v[2:3]
	s_and_saveexec_b64 s[6:7], vcc
	s_cbranch_execz .LBB127_30
; %bb.23:
	v_add_u32_e32 v4, 4, v2
	v_mov_b32_e32 v5, v3
	v_mov_b32_e32 v6, s3
	v_cmp_gt_i64_e32 vcc, s[2:3], v[4:5]
	s_load_dword s0, s[0:1], 0xd3c
	v_mov_b32_e32 v1, v3
	v_cndmask_b32_e32 v5, 0, v6, vcc
	v_mov_b32_e32 v6, s2
	v_cndmask_b32_e32 v4, v4, v6, vcc
	v_lshl_add_u64 v[4:5], v[4:5], 0, -4
	v_cmp_ne_u64_e32 vcc, v[4:5], v[2:3]
	s_waitcnt lgkmcnt(0)
	s_and_b32 s0, s0, 0xffff
	v_mov_b32_e32 v7, s4
	v_cndmask_b32_e64 v6, 0, 1, vcc
	v_or_b32_e32 v2, v2, v6
	v_sub_co_u32_e32 v2, vcc, v4, v2
	s_cmp_eq_u32 s0, 1
	s_nop 0
	v_subbrev_co_u32_e32 v3, vcc, 0, v5, vcc
	v_lshrrev_b64 v[2:3], 2, v[2:3]
	v_lshl_add_u64 v[2:3], v[2:3], 0, v[6:7]
	v_cmp_ne_u64_e32 vcc, 0, v[2:3]
	s_cselect_b64 s[4:5], -1, 0
	s_mov_b64 s[6:7], 0
	s_and_b64 s[14:15], vcc, s[4:5]
	s_mov_b64 s[12:13], -1
	s_and_saveexec_b64 s[4:5], s[14:15]
	s_cbranch_execz .LBB127_27
; %bb.24:
	s_add_u32 s12, s8, s10
	v_lshl_add_u64 v[2:3], v[2:3], 0, 1
	v_lshlrev_b32_e32 v6, 4, v0
	v_mov_b32_e32 v7, 0
	s_addc_u32 s13, s9, s11
	v_and_b32_e32 v4, -2, v2
	v_mov_b32_e32 v5, v3
	v_lshl_add_u64 v[6:7], s[12:13], 0, v[6:7]
	s_mov_b32 s1, s26
	v_lshl_add_u64 v[6:7], v[6:7], 0, 28
	v_mov_b64_e32 v[8:9], v[4:5]
.LBB127_25:                             ; =>This Inner Loop Header: Depth=1
	global_load_dwordx4 v[10:13], v[6:7], off offset:-12
	global_load_dwordx4 v[14:17], v[6:7], off offset:-28
	v_lshl_add_u64 v[8:9], v[8:9], 0, -2
	v_cmp_eq_u64_e32 vcc, 0, v[8:9]
	s_or_b64 s[6:7], vcc, s[6:7]
	s_waitcnt vmcnt(1)
	v_max_i32_e32 v10, s1, v10
	s_waitcnt vmcnt(0)
	v_max_i32_e32 v14, s26, v14
	v_max_i32_e32 v15, s26, v15
	;; [unrolled: 1-line block ×7, first 2 shown]
	global_store_dwordx4 v[6:7], v[14:17], off offset:-28
	global_store_dwordx4 v[6:7], v[10:13], off offset:-12
	v_lshl_add_u64 v[6:7], v[6:7], 0, 32
	s_andn2_b64 exec, exec, s[6:7]
	s_cbranch_execnz .LBB127_25
; %bb.26:
	s_or_b64 exec, exec, s[6:7]
	v_cmp_ne_u64_e32 vcc, v[2:3], v[4:5]
	v_lshl_add_u64 v[0:1], v[4:5], 0, v[0:1]
	s_orn2_b64 s[12:13], vcc, exec
.LBB127_27:
	s_or_b64 exec, exec, s[4:5]
	s_and_b64 exec, exec, s[12:13]
	s_cbranch_execz .LBB127_30
; %bb.28:
	s_add_u32 s4, s8, s10
	s_mov_b32 s1, 0
	s_addc_u32 s5, s9, s11
	s_mov_b32 s12, s26
	s_mov_b32 s13, s26
	;; [unrolled: 1-line block ×3, first 2 shown]
	v_lshl_add_u64 v[2:3], v[0:1], 4, s[4:5]
	s_lshl_b32 s4, s0, 4
	s_mov_b32 s5, s1
	s_mov_b64 s[6:7], 0
.LBB127_29:                             ; =>This Inner Loop Header: Depth=1
	global_load_dwordx4 v[4:7], v[2:3], off
	v_lshl_add_u64 v[0:1], v[0:1], 0, s[0:1]
	v_lshlrev_b64 v[8:9], 2, v[0:1]
	v_cmp_le_i64_e32 vcc, s[2:3], v[8:9]
	s_or_b64 s[6:7], vcc, s[6:7]
	s_waitcnt vmcnt(0)
	v_max_i32_e32 v7, s14, v7
	v_max_i32_e32 v6, s13, v6
	;; [unrolled: 1-line block ×4, first 2 shown]
	global_store_dwordx4 v[2:3], v[4:7], off
	v_lshl_add_u64 v[2:3], v[2:3], 0, s[4:5]
	s_andn2_b64 exec, exec, s[6:7]
	s_cbranch_execnz .LBB127_29
.LBB127_30:
	s_endpgm
	.section	.rodata,"a",@progbits
	.p2align	6, 0x0
	.amdhsa_kernel _ZN2at6native12_GLOBAL__N_125multi_tensor_apply_kernelINS1_18TensorListMetadataILi1EEENS1_21BinaryOpScalarFunctorIiLi1ELi1ELi0EEEJNS0_7maximumIiEEiEEEvT_T0_DpT1_
		.amdhsa_group_segment_fixed_size 0
		.amdhsa_private_segment_fixed_size 0
		.amdhsa_kernarg_size 3632
		.amdhsa_user_sgpr_count 2
		.amdhsa_user_sgpr_dispatch_ptr 0
		.amdhsa_user_sgpr_queue_ptr 0
		.amdhsa_user_sgpr_kernarg_segment_ptr 1
		.amdhsa_user_sgpr_dispatch_id 0
		.amdhsa_user_sgpr_kernarg_preload_length 0
		.amdhsa_user_sgpr_kernarg_preload_offset 0
		.amdhsa_user_sgpr_private_segment_size 0
		.amdhsa_uses_dynamic_stack 0
		.amdhsa_enable_private_segment 0
		.amdhsa_system_sgpr_workgroup_id_x 1
		.amdhsa_system_sgpr_workgroup_id_y 0
		.amdhsa_system_sgpr_workgroup_id_z 0
		.amdhsa_system_sgpr_workgroup_info 0
		.amdhsa_system_vgpr_workitem_id 0
		.amdhsa_next_free_vgpr 22
		.amdhsa_next_free_sgpr 28
		.amdhsa_accum_offset 24
		.amdhsa_reserve_vcc 1
		.amdhsa_float_round_mode_32 0
		.amdhsa_float_round_mode_16_64 0
		.amdhsa_float_denorm_mode_32 3
		.amdhsa_float_denorm_mode_16_64 3
		.amdhsa_dx10_clamp 1
		.amdhsa_ieee_mode 1
		.amdhsa_fp16_overflow 0
		.amdhsa_tg_split 0
		.amdhsa_exception_fp_ieee_invalid_op 0
		.amdhsa_exception_fp_denorm_src 0
		.amdhsa_exception_fp_ieee_div_zero 0
		.amdhsa_exception_fp_ieee_overflow 0
		.amdhsa_exception_fp_ieee_underflow 0
		.amdhsa_exception_fp_ieee_inexact 0
		.amdhsa_exception_int_div_zero 0
	.end_amdhsa_kernel
	.section	.text._ZN2at6native12_GLOBAL__N_125multi_tensor_apply_kernelINS1_18TensorListMetadataILi1EEENS1_21BinaryOpScalarFunctorIiLi1ELi1ELi0EEEJNS0_7maximumIiEEiEEEvT_T0_DpT1_,"axG",@progbits,_ZN2at6native12_GLOBAL__N_125multi_tensor_apply_kernelINS1_18TensorListMetadataILi1EEENS1_21BinaryOpScalarFunctorIiLi1ELi1ELi0EEEJNS0_7maximumIiEEiEEEvT_T0_DpT1_,comdat
.Lfunc_end127:
	.size	_ZN2at6native12_GLOBAL__N_125multi_tensor_apply_kernelINS1_18TensorListMetadataILi1EEENS1_21BinaryOpScalarFunctorIiLi1ELi1ELi0EEEJNS0_7maximumIiEEiEEEvT_T0_DpT1_, .Lfunc_end127-_ZN2at6native12_GLOBAL__N_125multi_tensor_apply_kernelINS1_18TensorListMetadataILi1EEENS1_21BinaryOpScalarFunctorIiLi1ELi1ELi0EEEJNS0_7maximumIiEEiEEEvT_T0_DpT1_
                                        ; -- End function
	.set _ZN2at6native12_GLOBAL__N_125multi_tensor_apply_kernelINS1_18TensorListMetadataILi1EEENS1_21BinaryOpScalarFunctorIiLi1ELi1ELi0EEEJNS0_7maximumIiEEiEEEvT_T0_DpT1_.num_vgpr, 22
	.set _ZN2at6native12_GLOBAL__N_125multi_tensor_apply_kernelINS1_18TensorListMetadataILi1EEENS1_21BinaryOpScalarFunctorIiLi1ELi1ELi0EEEJNS0_7maximumIiEEiEEEvT_T0_DpT1_.num_agpr, 0
	.set _ZN2at6native12_GLOBAL__N_125multi_tensor_apply_kernelINS1_18TensorListMetadataILi1EEENS1_21BinaryOpScalarFunctorIiLi1ELi1ELi0EEEJNS0_7maximumIiEEiEEEvT_T0_DpT1_.numbered_sgpr, 28
	.set _ZN2at6native12_GLOBAL__N_125multi_tensor_apply_kernelINS1_18TensorListMetadataILi1EEENS1_21BinaryOpScalarFunctorIiLi1ELi1ELi0EEEJNS0_7maximumIiEEiEEEvT_T0_DpT1_.num_named_barrier, 0
	.set _ZN2at6native12_GLOBAL__N_125multi_tensor_apply_kernelINS1_18TensorListMetadataILi1EEENS1_21BinaryOpScalarFunctorIiLi1ELi1ELi0EEEJNS0_7maximumIiEEiEEEvT_T0_DpT1_.private_seg_size, 0
	.set _ZN2at6native12_GLOBAL__N_125multi_tensor_apply_kernelINS1_18TensorListMetadataILi1EEENS1_21BinaryOpScalarFunctorIiLi1ELi1ELi0EEEJNS0_7maximumIiEEiEEEvT_T0_DpT1_.uses_vcc, 1
	.set _ZN2at6native12_GLOBAL__N_125multi_tensor_apply_kernelINS1_18TensorListMetadataILi1EEENS1_21BinaryOpScalarFunctorIiLi1ELi1ELi0EEEJNS0_7maximumIiEEiEEEvT_T0_DpT1_.uses_flat_scratch, 0
	.set _ZN2at6native12_GLOBAL__N_125multi_tensor_apply_kernelINS1_18TensorListMetadataILi1EEENS1_21BinaryOpScalarFunctorIiLi1ELi1ELi0EEEJNS0_7maximumIiEEiEEEvT_T0_DpT1_.has_dyn_sized_stack, 0
	.set _ZN2at6native12_GLOBAL__N_125multi_tensor_apply_kernelINS1_18TensorListMetadataILi1EEENS1_21BinaryOpScalarFunctorIiLi1ELi1ELi0EEEJNS0_7maximumIiEEiEEEvT_T0_DpT1_.has_recursion, 0
	.set _ZN2at6native12_GLOBAL__N_125multi_tensor_apply_kernelINS1_18TensorListMetadataILi1EEENS1_21BinaryOpScalarFunctorIiLi1ELi1ELi0EEEJNS0_7maximumIiEEiEEEvT_T0_DpT1_.has_indirect_call, 0
	.section	.AMDGPU.csdata,"",@progbits
; Kernel info:
; codeLenInByte = 1232
; TotalNumSgprs: 34
; NumVgprs: 22
; NumAgprs: 0
; TotalNumVgprs: 22
; ScratchSize: 0
; MemoryBound: 0
; FloatMode: 240
; IeeeMode: 1
; LDSByteSize: 0 bytes/workgroup (compile time only)
; SGPRBlocks: 4
; VGPRBlocks: 2
; NumSGPRsForWavesPerEU: 34
; NumVGPRsForWavesPerEU: 22
; AccumOffset: 24
; Occupancy: 8
; WaveLimiterHint : 0
; COMPUTE_PGM_RSRC2:SCRATCH_EN: 0
; COMPUTE_PGM_RSRC2:USER_SGPR: 2
; COMPUTE_PGM_RSRC2:TRAP_HANDLER: 0
; COMPUTE_PGM_RSRC2:TGID_X_EN: 1
; COMPUTE_PGM_RSRC2:TGID_Y_EN: 0
; COMPUTE_PGM_RSRC2:TGID_Z_EN: 0
; COMPUTE_PGM_RSRC2:TIDIG_COMP_CNT: 0
; COMPUTE_PGM_RSRC3_GFX90A:ACCUM_OFFSET: 5
; COMPUTE_PGM_RSRC3_GFX90A:TG_SPLIT: 0
	.section	.text._ZN2at6native12_GLOBAL__N_125multi_tensor_apply_kernelINS1_18TensorListMetadataILi1EEENS1_21BinaryOpScalarFunctorIlLi1ELi1ELi0EEEJNS0_7maximumIlEElEEEvT_T0_DpT1_,"axG",@progbits,_ZN2at6native12_GLOBAL__N_125multi_tensor_apply_kernelINS1_18TensorListMetadataILi1EEENS1_21BinaryOpScalarFunctorIlLi1ELi1ELi0EEEJNS0_7maximumIlEElEEEvT_T0_DpT1_,comdat
	.globl	_ZN2at6native12_GLOBAL__N_125multi_tensor_apply_kernelINS1_18TensorListMetadataILi1EEENS1_21BinaryOpScalarFunctorIlLi1ELi1ELi0EEEJNS0_7maximumIlEElEEEvT_T0_DpT1_ ; -- Begin function _ZN2at6native12_GLOBAL__N_125multi_tensor_apply_kernelINS1_18TensorListMetadataILi1EEENS1_21BinaryOpScalarFunctorIlLi1ELi1ELi0EEEJNS0_7maximumIlEElEEEvT_T0_DpT1_
	.p2align	8
	.type	_ZN2at6native12_GLOBAL__N_125multi_tensor_apply_kernelINS1_18TensorListMetadataILi1EEENS1_21BinaryOpScalarFunctorIlLi1ELi1ELi0EEEJNS0_7maximumIlEElEEEvT_T0_DpT1_,@function
_ZN2at6native12_GLOBAL__N_125multi_tensor_apply_kernelINS1_18TensorListMetadataILi1EEENS1_21BinaryOpScalarFunctorIlLi1ELi1ELi0EEEJNS0_7maximumIlEElEEEvT_T0_DpT1_: ; @_ZN2at6native12_GLOBAL__N_125multi_tensor_apply_kernelINS1_18TensorListMetadataILi1EEENS1_21BinaryOpScalarFunctorIlLi1ELi1ELi0EEEJNS0_7maximumIlEElEEEvT_T0_DpT1_
; %bb.0:
	v_mov_b32_e32 v1, s2
	global_load_ubyte v1, v1, s[0:1] offset:1760
	s_add_u32 s3, s0, s2
	s_mul_hi_u32 s4, s2, 3
	s_mul_i32 s2, s2, 3
	s_addc_u32 s5, s1, 0
	s_add_u32 s2, s3, s2
	s_addc_u32 s3, s5, s4
	s_load_dword s2, s[2:3], 0x820
	s_mov_b32 s7, 0
	s_waitcnt vmcnt(0)
	v_readfirstlane_b32 s3, v1
	s_lshl_b32 s3, s3, 3
	s_load_dwordx2 s[8:9], s[0:1], 0xd30
	s_load_dwordx2 s[4:5], s[0:1], s3 offset:0x370
	s_load_dwordx2 s[10:11], s[0:1], s3 offset:0x0
	s_waitcnt lgkmcnt(0)
	s_ashr_i32 s3, s2, 31
	s_lshl_b64 s[12:13], s[2:3], 19
	s_lshl_b64 s[2:3], s[2:3], 16
	s_and_b32 s6, s10, 31
	s_sub_u32 s14, s4, s2
	s_subb_u32 s15, s5, s3
	s_and_b32 s2, s4, 3
	s_mov_b32 s3, s7
	s_or_b64 s[2:3], s[6:7], s[2:3]
	s_cmp_eq_u64 s[2:3], 0
	s_cbranch_scc1 .LBB128_21
; %bb.1:
	v_cmp_lt_i64_e64 s[2:3], s[14:15], 1
	s_and_b64 vcc, exec, s[2:3]
	s_cbranch_vccnz .LBB128_20
; %bb.2:
	s_load_dword s2, s[0:1], 0xd44
	v_mov_b64_e32 v[2:3], 0x10000
	v_cmp_lt_i64_e32 vcc, s[14:15], v[2:3]
	s_and_b64 s[4:5], vcc, exec
	s_cselect_b32 s5, s15, 0
	s_cselect_b32 s4, s14, 0x10000
	s_waitcnt lgkmcnt(0)
	s_and_b32 s2, s2, 0xffff
	v_cmp_lt_u64_e32 vcc, s[14:15], v[2:3]
	s_and_b64 s[6:7], vcc, exec
	s_mov_b32 s3, 0
	v_mov_b32_e32 v1, 0
	s_cselect_b32 s17, s15, 0
	s_cselect_b32 s16, s14, 0x10000
	s_lshl_b32 s6, s2, 1
	s_lshl_b32 s28, s2, 2
	s_add_u32 s24, s10, s12
	v_lshl_add_u64 v[8:9], v[0:1], 0, s[2:3]
	s_mov_b32 s7, s3
	s_mul_i32 s22, s2, 3
	s_mov_b32 s23, s3
	v_lshlrev_b32_e32 v2, 3, v0
	v_mov_b32_e32 v3, v1
	s_addc_u32 s25, s11, s13
	v_lshlrev_b32_e32 v10, 3, v8
	v_mov_b32_e32 v11, v1
	v_lshl_add_u64 v[2:3], s[24:25], 0, v[2:3]
	s_lshl_b32 s18, s2, 5
	s_mov_b32 s19, s3
	s_mul_i32 s20, s2, 24
	s_mov_b32 s21, s3
	v_lshl_add_u64 v[4:5], s[22:23], 0, v[0:1]
	s_lshl_b32 s22, s2, 4
	v_lshl_add_u64 v[6:7], s[6:7], 0, v[0:1]
	v_lshl_add_u64 v[10:11], s[24:25], 0, v[10:11]
	s_mov_b64 s[24:25], 0
	v_mov_b64_e32 v[12:13], s[4:5]
	s_branch .LBB128_4
.LBB128_3:                              ;   in Loop: Header=BB128_4 Depth=1
	s_or_b64 exec, exec, s[2:3]
	s_add_u32 s24, s24, s28
	s_addc_u32 s25, s25, 0
	v_cmp_lt_i64_e32 vcc, s[24:25], v[12:13]
	v_lshl_add_u64 v[2:3], v[2:3], 0, s[18:19]
	v_lshl_add_u64 v[10:11], v[10:11], 0, s[18:19]
	s_cbranch_vccz .LBB128_20
.LBB128_4:                              ; =>This Inner Loop Header: Depth=1
	s_waitcnt vmcnt(0)
	v_lshl_add_u64 v[14:15], v[0:1], 0, s[24:25]
	v_cmp_gt_u64_e64 s[6:7], s[16:17], v[14:15]
	v_mov_b64_e32 v[16:17], 0
	v_mov_b64_e32 v[24:25], 0
	s_and_saveexec_b64 s[2:3], s[6:7]
	s_cbranch_execz .LBB128_6
; %bb.5:                                ;   in Loop: Header=BB128_4 Depth=1
	global_load_dwordx2 v[24:25], v[2:3], off
.LBB128_6:                              ;   in Loop: Header=BB128_4 Depth=1
	s_or_b64 exec, exec, s[2:3]
	v_lshl_add_u64 v[14:15], v[8:9], 0, s[24:25]
	v_cmp_gt_u64_e64 s[4:5], s[16:17], v[14:15]
	s_and_saveexec_b64 s[2:3], s[4:5]
	s_cbranch_execz .LBB128_8
; %bb.7:                                ;   in Loop: Header=BB128_4 Depth=1
	global_load_dwordx2 v[16:17], v[10:11], off
.LBB128_8:                              ;   in Loop: Header=BB128_4 Depth=1
	s_or_b64 exec, exec, s[2:3]
	v_lshl_add_u64 v[14:15], v[6:7], 0, s[24:25]
	v_cmp_gt_u64_e64 s[2:3], s[16:17], v[14:15]
	v_mov_b64_e32 v[14:15], 0
	v_lshl_add_u64 v[20:21], v[2:3], 0, s[22:23]
	v_mov_b64_e32 v[22:23], 0
	s_and_saveexec_b64 s[26:27], s[2:3]
	s_cbranch_execz .LBB128_10
; %bb.9:                                ;   in Loop: Header=BB128_4 Depth=1
	global_load_dwordx2 v[22:23], v[20:21], off
.LBB128_10:                             ;   in Loop: Header=BB128_4 Depth=1
	s_or_b64 exec, exec, s[26:27]
	v_lshl_add_u64 v[18:19], v[4:5], 0, s[24:25]
	v_cmp_gt_u64_e32 vcc, s[16:17], v[18:19]
	v_lshl_add_u64 v[18:19], v[2:3], 0, s[20:21]
	s_and_saveexec_b64 s[26:27], vcc
	s_cbranch_execnz .LBB128_15
; %bb.11:                               ;   in Loop: Header=BB128_4 Depth=1
	s_or_b64 exec, exec, s[26:27]
	s_and_saveexec_b64 s[26:27], s[6:7]
	s_cbranch_execnz .LBB128_16
.LBB128_12:                             ;   in Loop: Header=BB128_4 Depth=1
	s_or_b64 exec, exec, s[26:27]
	s_and_saveexec_b64 s[6:7], s[4:5]
	s_cbranch_execnz .LBB128_17
.LBB128_13:                             ;   in Loop: Header=BB128_4 Depth=1
	s_or_b64 exec, exec, s[6:7]
	s_and_saveexec_b64 s[4:5], s[2:3]
	s_cbranch_execnz .LBB128_18
.LBB128_14:                             ;   in Loop: Header=BB128_4 Depth=1
	s_or_b64 exec, exec, s[4:5]
	s_and_saveexec_b64 s[2:3], vcc
	s_cbranch_execz .LBB128_3
	s_branch .LBB128_19
.LBB128_15:                             ;   in Loop: Header=BB128_4 Depth=1
	global_load_dwordx2 v[14:15], v[18:19], off
	s_or_b64 exec, exec, s[26:27]
	s_and_saveexec_b64 s[26:27], s[6:7]
	s_cbranch_execz .LBB128_12
.LBB128_16:                             ;   in Loop: Header=BB128_4 Depth=1
	v_mov_b32_e32 v26, s9
	s_waitcnt vmcnt(0)
	v_cmp_lt_i64_e64 s[6:7], s[8:9], v[24:25]
	s_nop 1
	v_cndmask_b32_e64 v25, v26, v25, s[6:7]
	v_mov_b32_e32 v26, s8
	v_cndmask_b32_e64 v24, v26, v24, s[6:7]
	global_store_dwordx2 v[2:3], v[24:25], off
	s_or_b64 exec, exec, s[26:27]
	s_and_saveexec_b64 s[6:7], s[4:5]
	s_cbranch_execz .LBB128_13
.LBB128_17:                             ;   in Loop: Header=BB128_4 Depth=1
	s_waitcnt vmcnt(0)
	v_mov_b32_e32 v24, s9
	v_cmp_lt_i64_e64 s[4:5], s[8:9], v[16:17]
	s_nop 1
	v_cndmask_b32_e64 v17, v24, v17, s[4:5]
	v_mov_b32_e32 v24, s8
	v_cndmask_b32_e64 v16, v24, v16, s[4:5]
	global_store_dwordx2 v[10:11], v[16:17], off
	s_or_b64 exec, exec, s[6:7]
	s_and_saveexec_b64 s[4:5], s[2:3]
	s_cbranch_execz .LBB128_14
.LBB128_18:                             ;   in Loop: Header=BB128_4 Depth=1
	s_waitcnt vmcnt(0)
	v_mov_b32_e32 v16, s9
	v_cmp_lt_i64_e64 s[2:3], s[8:9], v[22:23]
	s_nop 1
	v_cndmask_b32_e64 v17, v16, v23, s[2:3]
	v_mov_b32_e32 v16, s8
	v_cndmask_b32_e64 v16, v16, v22, s[2:3]
	global_store_dwordx2 v[20:21], v[16:17], off
	s_or_b64 exec, exec, s[4:5]
	s_and_saveexec_b64 s[2:3], vcc
	s_cbranch_execz .LBB128_3
.LBB128_19:                             ;   in Loop: Header=BB128_4 Depth=1
	s_waitcnt vmcnt(0)
	v_mov_b32_e32 v16, s9
	v_cmp_lt_i64_e32 vcc, s[8:9], v[14:15]
	s_nop 1
	v_cndmask_b32_e32 v15, v16, v15, vcc
	v_mov_b32_e32 v16, s8
	v_cndmask_b32_e32 v14, v16, v14, vcc
	global_store_dwordx2 v[18:19], v[14:15], off
	s_branch .LBB128_3
.LBB128_20:
	s_cbranch_execz .LBB128_22
	s_branch .LBB128_25
.LBB128_21:
.LBB128_22:
	v_mov_b64_e32 v[4:5], 0x10000
	v_cmp_lt_i64_e32 vcc, s[14:15], v[4:5]
	s_and_b64 s[2:3], vcc, exec
	v_mov_b32_e32 v3, 0
	s_cselect_b32 s15, s15, 0
	s_cselect_b32 s14, s14, 0x10000
	v_lshlrev_b32_e32 v2, 2, v0
	s_mov_b32 s7, 0
	v_cmp_gt_i64_e32 vcc, s[14:15], v[2:3]
	s_and_saveexec_b64 s[2:3], vcc
	s_cbranch_execz .LBB128_25
; %bb.23:
	s_load_dword s0, s[0:1], 0xd44
	v_lshlrev_b32_e32 v2, 5, v0
	v_mov_b32_e32 v1, v3
	s_mov_b32 s17, s7
	v_mov_b32_e32 v4, s9
	s_waitcnt lgkmcnt(0)
	s_and_b32 s6, s0, 0xffff
	s_add_u32 s0, s10, s12
	s_addc_u32 s1, s11, s13
	v_lshl_add_u64 v[2:3], s[0:1], 0, v[2:3]
	s_lshl_b32 s16, s6, 5
	v_lshl_add_u64 v[2:3], v[2:3], 0, 16
	s_mov_b64 s[10:11], 0
	v_mov_b32_e32 v5, s8
.LBB128_24:                             ; =>This Inner Loop Header: Depth=1
	global_load_dwordx4 v[6:9], v[2:3], off offset:-16
	global_load_dwordx4 v[10:13], v[2:3], off
	v_lshl_add_u64 v[0:1], v[0:1], 0, s[6:7]
	s_waitcnt vmcnt(2)
	v_lshlrev_b64 v[14:15], 2, v[0:1]
	v_cmp_le_i64_e32 vcc, s[14:15], v[14:15]
	s_or_b64 s[10:11], vcc, s[10:11]
	s_waitcnt vmcnt(1)
	v_cmp_lt_i64_e32 vcc, s[8:9], v[6:7]
	v_cmp_lt_i64_e64 s[0:1], s[8:9], v[8:9]
	s_nop 0
	v_cndmask_b32_e32 v7, v4, v7, vcc
	s_waitcnt vmcnt(0)
	v_cmp_lt_i64_e64 s[2:3], s[8:9], v[10:11]
	v_cndmask_b32_e64 v9, v4, v9, s[0:1]
	v_cmp_lt_i64_e64 s[4:5], s[8:9], v[12:13]
	v_cndmask_b32_e32 v6, v5, v6, vcc
	v_cndmask_b32_e64 v8, v5, v8, s[0:1]
	v_cndmask_b32_e64 v11, v4, v11, s[2:3]
	;; [unrolled: 1-line block ×5, first 2 shown]
	global_store_dwordx4 v[2:3], v[6:9], off offset:-16
	global_store_dwordx4 v[2:3], v[10:13], off
	v_lshl_add_u64 v[2:3], v[2:3], 0, s[16:17]
	s_andn2_b64 exec, exec, s[10:11]
	s_cbranch_execnz .LBB128_24
.LBB128_25:
	s_endpgm
	.section	.rodata,"a",@progbits
	.p2align	6, 0x0
	.amdhsa_kernel _ZN2at6native12_GLOBAL__N_125multi_tensor_apply_kernelINS1_18TensorListMetadataILi1EEENS1_21BinaryOpScalarFunctorIlLi1ELi1ELi0EEEJNS0_7maximumIlEElEEEvT_T0_DpT1_
		.amdhsa_group_segment_fixed_size 0
		.amdhsa_private_segment_fixed_size 0
		.amdhsa_kernarg_size 3640
		.amdhsa_user_sgpr_count 2
		.amdhsa_user_sgpr_dispatch_ptr 0
		.amdhsa_user_sgpr_queue_ptr 0
		.amdhsa_user_sgpr_kernarg_segment_ptr 1
		.amdhsa_user_sgpr_dispatch_id 0
		.amdhsa_user_sgpr_kernarg_preload_length 0
		.amdhsa_user_sgpr_kernarg_preload_offset 0
		.amdhsa_user_sgpr_private_segment_size 0
		.amdhsa_uses_dynamic_stack 0
		.amdhsa_enable_private_segment 0
		.amdhsa_system_sgpr_workgroup_id_x 1
		.amdhsa_system_sgpr_workgroup_id_y 0
		.amdhsa_system_sgpr_workgroup_id_z 0
		.amdhsa_system_sgpr_workgroup_info 0
		.amdhsa_system_vgpr_workitem_id 0
		.amdhsa_next_free_vgpr 27
		.amdhsa_next_free_sgpr 29
		.amdhsa_accum_offset 28
		.amdhsa_reserve_vcc 1
		.amdhsa_float_round_mode_32 0
		.amdhsa_float_round_mode_16_64 0
		.amdhsa_float_denorm_mode_32 3
		.amdhsa_float_denorm_mode_16_64 3
		.amdhsa_dx10_clamp 1
		.amdhsa_ieee_mode 1
		.amdhsa_fp16_overflow 0
		.amdhsa_tg_split 0
		.amdhsa_exception_fp_ieee_invalid_op 0
		.amdhsa_exception_fp_denorm_src 0
		.amdhsa_exception_fp_ieee_div_zero 0
		.amdhsa_exception_fp_ieee_overflow 0
		.amdhsa_exception_fp_ieee_underflow 0
		.amdhsa_exception_fp_ieee_inexact 0
		.amdhsa_exception_int_div_zero 0
	.end_amdhsa_kernel
	.section	.text._ZN2at6native12_GLOBAL__N_125multi_tensor_apply_kernelINS1_18TensorListMetadataILi1EEENS1_21BinaryOpScalarFunctorIlLi1ELi1ELi0EEEJNS0_7maximumIlEElEEEvT_T0_DpT1_,"axG",@progbits,_ZN2at6native12_GLOBAL__N_125multi_tensor_apply_kernelINS1_18TensorListMetadataILi1EEENS1_21BinaryOpScalarFunctorIlLi1ELi1ELi0EEEJNS0_7maximumIlEElEEEvT_T0_DpT1_,comdat
.Lfunc_end128:
	.size	_ZN2at6native12_GLOBAL__N_125multi_tensor_apply_kernelINS1_18TensorListMetadataILi1EEENS1_21BinaryOpScalarFunctorIlLi1ELi1ELi0EEEJNS0_7maximumIlEElEEEvT_T0_DpT1_, .Lfunc_end128-_ZN2at6native12_GLOBAL__N_125multi_tensor_apply_kernelINS1_18TensorListMetadataILi1EEENS1_21BinaryOpScalarFunctorIlLi1ELi1ELi0EEEJNS0_7maximumIlEElEEEvT_T0_DpT1_
                                        ; -- End function
	.set _ZN2at6native12_GLOBAL__N_125multi_tensor_apply_kernelINS1_18TensorListMetadataILi1EEENS1_21BinaryOpScalarFunctorIlLi1ELi1ELi0EEEJNS0_7maximumIlEElEEEvT_T0_DpT1_.num_vgpr, 27
	.set _ZN2at6native12_GLOBAL__N_125multi_tensor_apply_kernelINS1_18TensorListMetadataILi1EEENS1_21BinaryOpScalarFunctorIlLi1ELi1ELi0EEEJNS0_7maximumIlEElEEEvT_T0_DpT1_.num_agpr, 0
	.set _ZN2at6native12_GLOBAL__N_125multi_tensor_apply_kernelINS1_18TensorListMetadataILi1EEENS1_21BinaryOpScalarFunctorIlLi1ELi1ELi0EEEJNS0_7maximumIlEElEEEvT_T0_DpT1_.numbered_sgpr, 29
	.set _ZN2at6native12_GLOBAL__N_125multi_tensor_apply_kernelINS1_18TensorListMetadataILi1EEENS1_21BinaryOpScalarFunctorIlLi1ELi1ELi0EEEJNS0_7maximumIlEElEEEvT_T0_DpT1_.num_named_barrier, 0
	.set _ZN2at6native12_GLOBAL__N_125multi_tensor_apply_kernelINS1_18TensorListMetadataILi1EEENS1_21BinaryOpScalarFunctorIlLi1ELi1ELi0EEEJNS0_7maximumIlEElEEEvT_T0_DpT1_.private_seg_size, 0
	.set _ZN2at6native12_GLOBAL__N_125multi_tensor_apply_kernelINS1_18TensorListMetadataILi1EEENS1_21BinaryOpScalarFunctorIlLi1ELi1ELi0EEEJNS0_7maximumIlEElEEEvT_T0_DpT1_.uses_vcc, 1
	.set _ZN2at6native12_GLOBAL__N_125multi_tensor_apply_kernelINS1_18TensorListMetadataILi1EEENS1_21BinaryOpScalarFunctorIlLi1ELi1ELi0EEEJNS0_7maximumIlEElEEEvT_T0_DpT1_.uses_flat_scratch, 0
	.set _ZN2at6native12_GLOBAL__N_125multi_tensor_apply_kernelINS1_18TensorListMetadataILi1EEENS1_21BinaryOpScalarFunctorIlLi1ELi1ELi0EEEJNS0_7maximumIlEElEEEvT_T0_DpT1_.has_dyn_sized_stack, 0
	.set _ZN2at6native12_GLOBAL__N_125multi_tensor_apply_kernelINS1_18TensorListMetadataILi1EEENS1_21BinaryOpScalarFunctorIlLi1ELi1ELi0EEEJNS0_7maximumIlEElEEEvT_T0_DpT1_.has_recursion, 0
	.set _ZN2at6native12_GLOBAL__N_125multi_tensor_apply_kernelINS1_18TensorListMetadataILi1EEENS1_21BinaryOpScalarFunctorIlLi1ELi1ELi0EEEJNS0_7maximumIlEElEEEvT_T0_DpT1_.has_indirect_call, 0
	.section	.AMDGPU.csdata,"",@progbits
; Kernel info:
; codeLenInByte = 1140
; TotalNumSgprs: 35
; NumVgprs: 27
; NumAgprs: 0
; TotalNumVgprs: 27
; ScratchSize: 0
; MemoryBound: 0
; FloatMode: 240
; IeeeMode: 1
; LDSByteSize: 0 bytes/workgroup (compile time only)
; SGPRBlocks: 4
; VGPRBlocks: 3
; NumSGPRsForWavesPerEU: 35
; NumVGPRsForWavesPerEU: 27
; AccumOffset: 28
; Occupancy: 8
; WaveLimiterHint : 0
; COMPUTE_PGM_RSRC2:SCRATCH_EN: 0
; COMPUTE_PGM_RSRC2:USER_SGPR: 2
; COMPUTE_PGM_RSRC2:TRAP_HANDLER: 0
; COMPUTE_PGM_RSRC2:TGID_X_EN: 1
; COMPUTE_PGM_RSRC2:TGID_Y_EN: 0
; COMPUTE_PGM_RSRC2:TGID_Z_EN: 0
; COMPUTE_PGM_RSRC2:TIDIG_COMP_CNT: 0
; COMPUTE_PGM_RSRC3_GFX90A:ACCUM_OFFSET: 6
; COMPUTE_PGM_RSRC3_GFX90A:TG_SPLIT: 0
	.section	.text._ZN2at6native12_GLOBAL__N_125multi_tensor_apply_kernelINS1_18TensorListMetadataILi1EEENS1_21BinaryOpScalarFunctorIsLi1ELi1ELi0EEEJNS0_7maximumIsEEsEEEvT_T0_DpT1_,"axG",@progbits,_ZN2at6native12_GLOBAL__N_125multi_tensor_apply_kernelINS1_18TensorListMetadataILi1EEENS1_21BinaryOpScalarFunctorIsLi1ELi1ELi0EEEJNS0_7maximumIsEEsEEEvT_T0_DpT1_,comdat
	.globl	_ZN2at6native12_GLOBAL__N_125multi_tensor_apply_kernelINS1_18TensorListMetadataILi1EEENS1_21BinaryOpScalarFunctorIsLi1ELi1ELi0EEEJNS0_7maximumIsEEsEEEvT_T0_DpT1_ ; -- Begin function _ZN2at6native12_GLOBAL__N_125multi_tensor_apply_kernelINS1_18TensorListMetadataILi1EEENS1_21BinaryOpScalarFunctorIsLi1ELi1ELi0EEEJNS0_7maximumIsEEsEEEvT_T0_DpT1_
	.p2align	8
	.type	_ZN2at6native12_GLOBAL__N_125multi_tensor_apply_kernelINS1_18TensorListMetadataILi1EEENS1_21BinaryOpScalarFunctorIsLi1ELi1ELi0EEEJNS0_7maximumIsEEsEEEvT_T0_DpT1_,@function
_ZN2at6native12_GLOBAL__N_125multi_tensor_apply_kernelINS1_18TensorListMetadataILi1EEENS1_21BinaryOpScalarFunctorIsLi1ELi1ELi0EEEJNS0_7maximumIsEEsEEEvT_T0_DpT1_: ; @_ZN2at6native12_GLOBAL__N_125multi_tensor_apply_kernelINS1_18TensorListMetadataILi1EEENS1_21BinaryOpScalarFunctorIsLi1ELi1ELi0EEEJNS0_7maximumIsEEsEEEvT_T0_DpT1_
; %bb.0:
	v_mov_b32_e32 v1, s2
	global_load_ubyte v1, v1, s[0:1] offset:1760
	s_load_dword s3, s[0:1], 0xd28
	s_mul_hi_u32 s4, s2, 3
	s_mul_i32 s5, s2, 3
	s_mov_b32 s7, 0
	s_waitcnt lgkmcnt(0)
	s_lshr_b32 s26, s3, 16
	s_add_u32 s2, s0, s2
	s_addc_u32 s3, s1, 0
	s_add_u32 s2, s2, s5
	s_addc_u32 s3, s3, s4
	s_load_dword s2, s[2:3], 0x820
	s_waitcnt vmcnt(0)
	v_readfirstlane_b32 s3, v1
	s_lshl_b32 s3, s3, 3
	s_load_dwordx2 s[4:5], s[0:1], s3 offset:0x370
	s_load_dwordx2 s[8:9], s[0:1], s3 offset:0x0
	s_waitcnt lgkmcnt(0)
	s_ashr_i32 s3, s2, 31
	s_lshl_b64 s[10:11], s[2:3], 17
	s_lshl_b64 s[2:3], s[2:3], 16
	s_and_b32 s6, s8, 7
	s_sub_u32 s12, s4, s2
	s_subb_u32 s13, s5, s3
	s_and_b32 s2, s4, 3
	s_mov_b32 s3, s7
	s_or_b64 s[2:3], s[6:7], s[2:3]
	s_cmp_eq_u64 s[2:3], 0
	s_cbranch_scc1 .LBB129_21
; %bb.1:
	v_cmp_lt_i64_e64 s[2:3], s[12:13], 1
	s_and_b64 vcc, exec, s[2:3]
	s_cbranch_vccnz .LBB129_20
; %bb.2:
	s_load_dword s2, s[0:1], 0xd3c
	v_mov_b64_e32 v[2:3], 0x10000
	v_cmp_lt_i64_e32 vcc, s[12:13], v[2:3]
	s_and_b64 s[4:5], vcc, exec
	s_cselect_b32 s5, s13, 0
	s_cselect_b32 s4, s12, 0x10000
	s_waitcnt lgkmcnt(0)
	s_and_b32 s2, s2, 0xffff
	v_cmp_lt_u64_e32 vcc, s[12:13], v[2:3]
	s_and_b64 s[6:7], vcc, exec
	s_mov_b32 s3, 0
	v_mov_b32_e32 v1, 0
	s_cselect_b32 s15, s13, 0
	s_cselect_b32 s14, s12, 0x10000
	s_lshl_b32 s6, s2, 1
	s_lshl_b32 s16, s2, 2
	s_add_u32 s24, s8, s10
	v_lshl_add_u64 v[8:9], v[0:1], 0, s[2:3]
	s_mov_b32 s7, s3
	s_mul_i32 s22, s2, 3
	s_mov_b32 s23, s3
	v_lshlrev_b32_e32 v2, 1, v0
	v_mov_b32_e32 v3, v1
	s_addc_u32 s25, s9, s11
	v_lshlrev_b32_e32 v10, 1, v8
	v_mov_b32_e32 v11, v1
	s_mov_b32 s17, s3
	v_lshl_add_u64 v[2:3], s[24:25], 0, v[2:3]
	s_lshl_b32 s18, s2, 3
	s_mov_b32 s19, s3
	s_mul_i32 s20, s2, 6
	s_mov_b32 s21, s3
	v_lshl_add_u64 v[4:5], s[22:23], 0, v[0:1]
	v_lshl_add_u64 v[6:7], s[6:7], 0, v[0:1]
	;; [unrolled: 1-line block ×3, first 2 shown]
	s_mov_b64 s[22:23], 0
	v_mov_b64_e32 v[12:13], s[4:5]
	s_branch .LBB129_4
.LBB129_3:                              ;   in Loop: Header=BB129_4 Depth=1
	s_or_b64 exec, exec, s[2:3]
	s_add_u32 s22, s22, s16
	s_addc_u32 s23, s23, 0
	v_cmp_lt_i64_e32 vcc, s[22:23], v[12:13]
	v_lshl_add_u64 v[2:3], v[2:3], 0, s[18:19]
	v_lshl_add_u64 v[10:11], v[10:11], 0, s[18:19]
	s_cbranch_vccz .LBB129_20
.LBB129_4:                              ; =>This Inner Loop Header: Depth=1
	v_lshl_add_u64 v[14:15], v[0:1], 0, s[22:23]
	v_cmp_gt_u64_e32 vcc, s[14:15], v[14:15]
	s_waitcnt vmcnt(0)
	v_mov_b32_e32 v19, 0
	s_and_saveexec_b64 s[2:3], vcc
	s_cbranch_execz .LBB129_6
; %bb.5:                                ;   in Loop: Header=BB129_4 Depth=1
	global_load_ushort v19, v[2:3], off
.LBB129_6:                              ;   in Loop: Header=BB129_4 Depth=1
	s_or_b64 exec, exec, s[2:3]
	v_lshl_add_u64 v[14:15], v[8:9], 0, s[22:23]
	v_cmp_gt_u64_e64 s[2:3], s[14:15], v[14:15]
	v_mov_b32_e32 v18, 0
	v_mov_b32_e32 v20, 0
	s_and_saveexec_b64 s[4:5], s[2:3]
	s_cbranch_execz .LBB129_8
; %bb.7:                                ;   in Loop: Header=BB129_4 Depth=1
	global_load_ushort v20, v[10:11], off
.LBB129_8:                              ;   in Loop: Header=BB129_4 Depth=1
	s_or_b64 exec, exec, s[4:5]
	v_lshl_add_u64 v[14:15], v[6:7], 0, s[22:23]
	v_cmp_gt_u64_e64 s[4:5], s[14:15], v[14:15]
	v_lshl_add_u64 v[14:15], v[2:3], 0, s[16:17]
	s_and_saveexec_b64 s[6:7], s[4:5]
	s_cbranch_execz .LBB129_10
; %bb.9:                                ;   in Loop: Header=BB129_4 Depth=1
	global_load_ushort v18, v[14:15], off
.LBB129_10:                             ;   in Loop: Header=BB129_4 Depth=1
	s_or_b64 exec, exec, s[6:7]
	v_lshl_add_u64 v[16:17], v[4:5], 0, s[22:23]
	v_cmp_gt_u64_e64 s[6:7], s[14:15], v[16:17]
	v_mov_b32_e32 v21, 0
	v_lshl_add_u64 v[16:17], v[2:3], 0, s[20:21]
	s_and_saveexec_b64 s[24:25], s[6:7]
	s_cbranch_execnz .LBB129_15
; %bb.11:                               ;   in Loop: Header=BB129_4 Depth=1
	s_or_b64 exec, exec, s[24:25]
	s_and_saveexec_b64 s[24:25], vcc
	s_cbranch_execnz .LBB129_16
.LBB129_12:                             ;   in Loop: Header=BB129_4 Depth=1
	s_or_b64 exec, exec, s[24:25]
	s_and_saveexec_b64 s[24:25], s[2:3]
	s_cbranch_execnz .LBB129_17
.LBB129_13:                             ;   in Loop: Header=BB129_4 Depth=1
	s_or_b64 exec, exec, s[24:25]
	s_and_saveexec_b64 s[2:3], s[4:5]
	s_cbranch_execnz .LBB129_18
.LBB129_14:                             ;   in Loop: Header=BB129_4 Depth=1
	s_or_b64 exec, exec, s[2:3]
	s_and_saveexec_b64 s[2:3], s[6:7]
	s_cbranch_execz .LBB129_3
	s_branch .LBB129_19
.LBB129_15:                             ;   in Loop: Header=BB129_4 Depth=1
	global_load_ushort v21, v[16:17], off
	s_or_b64 exec, exec, s[24:25]
	s_and_saveexec_b64 s[24:25], vcc
	s_cbranch_execz .LBB129_12
.LBB129_16:                             ;   in Loop: Header=BB129_4 Depth=1
	s_waitcnt vmcnt(0)
	v_max_i16_e32 v19, s26, v19
	global_store_short v[2:3], v19, off
	s_or_b64 exec, exec, s[24:25]
	s_and_saveexec_b64 s[24:25], s[2:3]
	s_cbranch_execz .LBB129_13
.LBB129_17:                             ;   in Loop: Header=BB129_4 Depth=1
	s_waitcnt vmcnt(0)
	v_max_i16_e32 v19, s26, v20
	global_store_short v[10:11], v19, off
	s_or_b64 exec, exec, s[24:25]
	s_and_saveexec_b64 s[2:3], s[4:5]
	s_cbranch_execz .LBB129_14
.LBB129_18:                             ;   in Loop: Header=BB129_4 Depth=1
	s_waitcnt vmcnt(0)
	v_max_i16_e32 v18, s26, v18
	global_store_short v[14:15], v18, off
	s_or_b64 exec, exec, s[2:3]
	s_and_saveexec_b64 s[2:3], s[6:7]
	s_cbranch_execz .LBB129_3
.LBB129_19:                             ;   in Loop: Header=BB129_4 Depth=1
	s_waitcnt vmcnt(0)
	v_max_i16_e32 v14, s26, v21
	global_store_short v[16:17], v14, off
	s_branch .LBB129_3
.LBB129_20:
	s_cbranch_execz .LBB129_22
	s_branch .LBB129_25
.LBB129_21:
.LBB129_22:
	v_mov_b64_e32 v[4:5], 0x10000
	v_cmp_lt_i64_e32 vcc, s[12:13], v[4:5]
	s_and_b64 s[4:5], vcc, exec
	v_mov_b32_e32 v3, 0
	s_cselect_b32 s5, s13, 0
	s_cselect_b32 s4, s12, 0x10000
	v_lshlrev_b32_e32 v2, 2, v0
	s_mov_b32 s3, 0
	v_cmp_gt_i64_e32 vcc, s[4:5], v[2:3]
	s_and_saveexec_b64 s[6:7], vcc
	s_cbranch_execz .LBB129_25
; %bb.23:
	s_load_dword s0, s[0:1], 0xd3c
	v_lshlrev_b32_e32 v2, 3, v0
	v_mov_b32_e32 v1, v3
	s_mov_b32 s12, 0xffff
	s_pack_ll_b32_b16 s13, s26, s26
	s_waitcnt lgkmcnt(0)
	s_and_b32 s2, s0, 0xffff
	s_add_u32 s0, s8, s10
	s_addc_u32 s1, s9, s11
	v_lshl_add_u64 v[2:3], s[0:1], 0, v[2:3]
	s_lshl_b32 s0, s2, 3
	s_mov_b32 s1, s3
	s_mov_b64 s[6:7], 0
.LBB129_24:                             ; =>This Inner Loop Header: Depth=1
	global_load_dwordx2 v[4:5], v[2:3], off
	v_lshl_add_u64 v[0:1], v[0:1], 0, s[2:3]
	v_lshlrev_b64 v[6:7], 2, v[0:1]
	v_cmp_le_i64_e32 vcc, s[4:5], v[6:7]
	s_or_b64 s[6:7], vcc, s[6:7]
	s_waitcnt vmcnt(0)
	v_bfi_b32 v4, s12, v4, v4
	v_pk_max_i16 v5, v5, s13
	v_pk_max_i16 v4, v4, s13
	global_store_dwordx2 v[2:3], v[4:5], off
	v_lshl_add_u64 v[2:3], v[2:3], 0, s[0:1]
	s_andn2_b64 exec, exec, s[6:7]
	s_cbranch_execnz .LBB129_24
.LBB129_25:
	s_endpgm
	.section	.rodata,"a",@progbits
	.p2align	6, 0x0
	.amdhsa_kernel _ZN2at6native12_GLOBAL__N_125multi_tensor_apply_kernelINS1_18TensorListMetadataILi1EEENS1_21BinaryOpScalarFunctorIsLi1ELi1ELi0EEEJNS0_7maximumIsEEsEEEvT_T0_DpT1_
		.amdhsa_group_segment_fixed_size 0
		.amdhsa_private_segment_fixed_size 0
		.amdhsa_kernarg_size 3632
		.amdhsa_user_sgpr_count 2
		.amdhsa_user_sgpr_dispatch_ptr 0
		.amdhsa_user_sgpr_queue_ptr 0
		.amdhsa_user_sgpr_kernarg_segment_ptr 1
		.amdhsa_user_sgpr_dispatch_id 0
		.amdhsa_user_sgpr_kernarg_preload_length 0
		.amdhsa_user_sgpr_kernarg_preload_offset 0
		.amdhsa_user_sgpr_private_segment_size 0
		.amdhsa_uses_dynamic_stack 0
		.amdhsa_enable_private_segment 0
		.amdhsa_system_sgpr_workgroup_id_x 1
		.amdhsa_system_sgpr_workgroup_id_y 0
		.amdhsa_system_sgpr_workgroup_id_z 0
		.amdhsa_system_sgpr_workgroup_info 0
		.amdhsa_system_vgpr_workitem_id 0
		.amdhsa_next_free_vgpr 22
		.amdhsa_next_free_sgpr 27
		.amdhsa_accum_offset 24
		.amdhsa_reserve_vcc 1
		.amdhsa_float_round_mode_32 0
		.amdhsa_float_round_mode_16_64 0
		.amdhsa_float_denorm_mode_32 3
		.amdhsa_float_denorm_mode_16_64 3
		.amdhsa_dx10_clamp 1
		.amdhsa_ieee_mode 1
		.amdhsa_fp16_overflow 0
		.amdhsa_tg_split 0
		.amdhsa_exception_fp_ieee_invalid_op 0
		.amdhsa_exception_fp_denorm_src 0
		.amdhsa_exception_fp_ieee_div_zero 0
		.amdhsa_exception_fp_ieee_overflow 0
		.amdhsa_exception_fp_ieee_underflow 0
		.amdhsa_exception_fp_ieee_inexact 0
		.amdhsa_exception_int_div_zero 0
	.end_amdhsa_kernel
	.section	.text._ZN2at6native12_GLOBAL__N_125multi_tensor_apply_kernelINS1_18TensorListMetadataILi1EEENS1_21BinaryOpScalarFunctorIsLi1ELi1ELi0EEEJNS0_7maximumIsEEsEEEvT_T0_DpT1_,"axG",@progbits,_ZN2at6native12_GLOBAL__N_125multi_tensor_apply_kernelINS1_18TensorListMetadataILi1EEENS1_21BinaryOpScalarFunctorIsLi1ELi1ELi0EEEJNS0_7maximumIsEEsEEEvT_T0_DpT1_,comdat
.Lfunc_end129:
	.size	_ZN2at6native12_GLOBAL__N_125multi_tensor_apply_kernelINS1_18TensorListMetadataILi1EEENS1_21BinaryOpScalarFunctorIsLi1ELi1ELi0EEEJNS0_7maximumIsEEsEEEvT_T0_DpT1_, .Lfunc_end129-_ZN2at6native12_GLOBAL__N_125multi_tensor_apply_kernelINS1_18TensorListMetadataILi1EEENS1_21BinaryOpScalarFunctorIsLi1ELi1ELi0EEEJNS0_7maximumIsEEsEEEvT_T0_DpT1_
                                        ; -- End function
	.set _ZN2at6native12_GLOBAL__N_125multi_tensor_apply_kernelINS1_18TensorListMetadataILi1EEENS1_21BinaryOpScalarFunctorIsLi1ELi1ELi0EEEJNS0_7maximumIsEEsEEEvT_T0_DpT1_.num_vgpr, 22
	.set _ZN2at6native12_GLOBAL__N_125multi_tensor_apply_kernelINS1_18TensorListMetadataILi1EEENS1_21BinaryOpScalarFunctorIsLi1ELi1ELi0EEEJNS0_7maximumIsEEsEEEvT_T0_DpT1_.num_agpr, 0
	.set _ZN2at6native12_GLOBAL__N_125multi_tensor_apply_kernelINS1_18TensorListMetadataILi1EEENS1_21BinaryOpScalarFunctorIsLi1ELi1ELi0EEEJNS0_7maximumIsEEsEEEvT_T0_DpT1_.numbered_sgpr, 27
	.set _ZN2at6native12_GLOBAL__N_125multi_tensor_apply_kernelINS1_18TensorListMetadataILi1EEENS1_21BinaryOpScalarFunctorIsLi1ELi1ELi0EEEJNS0_7maximumIsEEsEEEvT_T0_DpT1_.num_named_barrier, 0
	.set _ZN2at6native12_GLOBAL__N_125multi_tensor_apply_kernelINS1_18TensorListMetadataILi1EEENS1_21BinaryOpScalarFunctorIsLi1ELi1ELi0EEEJNS0_7maximumIsEEsEEEvT_T0_DpT1_.private_seg_size, 0
	.set _ZN2at6native12_GLOBAL__N_125multi_tensor_apply_kernelINS1_18TensorListMetadataILi1EEENS1_21BinaryOpScalarFunctorIsLi1ELi1ELi0EEEJNS0_7maximumIsEEsEEEvT_T0_DpT1_.uses_vcc, 1
	.set _ZN2at6native12_GLOBAL__N_125multi_tensor_apply_kernelINS1_18TensorListMetadataILi1EEENS1_21BinaryOpScalarFunctorIsLi1ELi1ELi0EEEJNS0_7maximumIsEEsEEEvT_T0_DpT1_.uses_flat_scratch, 0
	.set _ZN2at6native12_GLOBAL__N_125multi_tensor_apply_kernelINS1_18TensorListMetadataILi1EEENS1_21BinaryOpScalarFunctorIsLi1ELi1ELi0EEEJNS0_7maximumIsEEsEEEvT_T0_DpT1_.has_dyn_sized_stack, 0
	.set _ZN2at6native12_GLOBAL__N_125multi_tensor_apply_kernelINS1_18TensorListMetadataILi1EEENS1_21BinaryOpScalarFunctorIsLi1ELi1ELi0EEEJNS0_7maximumIsEEsEEEvT_T0_DpT1_.has_recursion, 0
	.set _ZN2at6native12_GLOBAL__N_125multi_tensor_apply_kernelINS1_18TensorListMetadataILi1EEENS1_21BinaryOpScalarFunctorIsLi1ELi1ELi0EEEJNS0_7maximumIsEEsEEEvT_T0_DpT1_.has_indirect_call, 0
	.section	.AMDGPU.csdata,"",@progbits
; Kernel info:
; codeLenInByte = 940
; TotalNumSgprs: 33
; NumVgprs: 22
; NumAgprs: 0
; TotalNumVgprs: 22
; ScratchSize: 0
; MemoryBound: 0
; FloatMode: 240
; IeeeMode: 1
; LDSByteSize: 0 bytes/workgroup (compile time only)
; SGPRBlocks: 4
; VGPRBlocks: 2
; NumSGPRsForWavesPerEU: 33
; NumVGPRsForWavesPerEU: 22
; AccumOffset: 24
; Occupancy: 8
; WaveLimiterHint : 0
; COMPUTE_PGM_RSRC2:SCRATCH_EN: 0
; COMPUTE_PGM_RSRC2:USER_SGPR: 2
; COMPUTE_PGM_RSRC2:TRAP_HANDLER: 0
; COMPUTE_PGM_RSRC2:TGID_X_EN: 1
; COMPUTE_PGM_RSRC2:TGID_Y_EN: 0
; COMPUTE_PGM_RSRC2:TGID_Z_EN: 0
; COMPUTE_PGM_RSRC2:TIDIG_COMP_CNT: 0
; COMPUTE_PGM_RSRC3_GFX90A:ACCUM_OFFSET: 5
; COMPUTE_PGM_RSRC3_GFX90A:TG_SPLIT: 0
	.section	.text._ZN2at6native12_GLOBAL__N_125multi_tensor_apply_kernelINS1_18TensorListMetadataILi1EEENS1_21BinaryOpScalarFunctorIdLi1ELi1ELi0EEEJNS0_7maximumIdEEdEEEvT_T0_DpT1_,"axG",@progbits,_ZN2at6native12_GLOBAL__N_125multi_tensor_apply_kernelINS1_18TensorListMetadataILi1EEENS1_21BinaryOpScalarFunctorIdLi1ELi1ELi0EEEJNS0_7maximumIdEEdEEEvT_T0_DpT1_,comdat
	.globl	_ZN2at6native12_GLOBAL__N_125multi_tensor_apply_kernelINS1_18TensorListMetadataILi1EEENS1_21BinaryOpScalarFunctorIdLi1ELi1ELi0EEEJNS0_7maximumIdEEdEEEvT_T0_DpT1_ ; -- Begin function _ZN2at6native12_GLOBAL__N_125multi_tensor_apply_kernelINS1_18TensorListMetadataILi1EEENS1_21BinaryOpScalarFunctorIdLi1ELi1ELi0EEEJNS0_7maximumIdEEdEEEvT_T0_DpT1_
	.p2align	8
	.type	_ZN2at6native12_GLOBAL__N_125multi_tensor_apply_kernelINS1_18TensorListMetadataILi1EEENS1_21BinaryOpScalarFunctorIdLi1ELi1ELi0EEEJNS0_7maximumIdEEdEEEvT_T0_DpT1_,@function
_ZN2at6native12_GLOBAL__N_125multi_tensor_apply_kernelINS1_18TensorListMetadataILi1EEENS1_21BinaryOpScalarFunctorIdLi1ELi1ELi0EEEJNS0_7maximumIdEEdEEEvT_T0_DpT1_: ; @_ZN2at6native12_GLOBAL__N_125multi_tensor_apply_kernelINS1_18TensorListMetadataILi1EEENS1_21BinaryOpScalarFunctorIdLi1ELi1ELi0EEEJNS0_7maximumIdEEdEEEvT_T0_DpT1_
; %bb.0:
	v_mov_b32_e32 v1, s2
	global_load_ubyte v1, v1, s[0:1] offset:1760
	s_add_u32 s3, s0, s2
	s_mul_hi_u32 s4, s2, 3
	s_mul_i32 s2, s2, 3
	s_addc_u32 s5, s1, 0
	s_add_u32 s2, s3, s2
	s_addc_u32 s3, s5, s4
	s_load_dword s2, s[2:3], 0x820
	s_mov_b32 s7, 0
	s_waitcnt vmcnt(0)
	v_readfirstlane_b32 s3, v1
	s_lshl_b32 s3, s3, 3
	s_load_dwordx2 s[16:17], s[0:1], 0xd30
	s_load_dwordx2 s[4:5], s[0:1], s3 offset:0x370
	s_load_dwordx2 s[10:11], s[0:1], s3 offset:0x0
	s_waitcnt lgkmcnt(0)
	s_ashr_i32 s3, s2, 31
	s_lshl_b64 s[12:13], s[2:3], 19
	s_lshl_b64 s[2:3], s[2:3], 16
	s_and_b32 s6, s10, 31
	s_sub_u32 s14, s4, s2
	s_subb_u32 s15, s5, s3
	s_and_b32 s2, s4, 3
	s_mov_b32 s3, s7
	s_or_b64 s[2:3], s[6:7], s[2:3]
	s_cmp_eq_u64 s[2:3], 0
	s_cbranch_scc1 .LBB130_21
; %bb.1:
	v_cmp_lt_i64_e64 s[2:3], s[14:15], 1
	s_and_b64 vcc, exec, s[2:3]
	s_cbranch_vccnz .LBB130_20
; %bb.2:
	s_load_dword s2, s[0:1], 0xd44
	v_mov_b64_e32 v[2:3], 0x10000
	v_cmp_lt_i64_e32 vcc, s[14:15], v[2:3]
	s_and_b64 s[4:5], vcc, exec
	s_cselect_b32 s5, s15, 0
	s_cselect_b32 s4, s14, 0x10000
	s_waitcnt lgkmcnt(0)
	s_and_b32 s2, s2, 0xffff
	v_cmp_lt_u64_e32 vcc, s[14:15], v[2:3]
	s_and_b64 s[6:7], vcc, exec
	s_mov_b32 s3, 0
	v_mov_b32_e32 v1, 0
	s_cselect_b32 s19, s15, 0
	s_cselect_b32 s18, s14, 0x10000
	s_lshl_b32 s6, s2, 1
	s_lshl_b32 s30, s2, 2
	s_add_u32 s26, s10, s12
	v_lshl_add_u64 v[8:9], v[0:1], 0, s[2:3]
	s_mov_b32 s7, s3
	s_mul_i32 s8, s2, 3
	s_mov_b32 s9, s3
	v_lshlrev_b32_e32 v2, 3, v0
	v_mov_b32_e32 v3, v1
	s_addc_u32 s27, s11, s13
	v_lshlrev_b32_e32 v10, 3, v8
	v_mov_b32_e32 v11, v1
	v_lshl_add_u64 v[2:3], s[26:27], 0, v[2:3]
	s_lshl_b32 s20, s2, 5
	s_mov_b32 s21, s3
	s_mul_i32 s22, s2, 24
	s_mov_b32 s23, s3
	v_lshl_add_u64 v[4:5], s[8:9], 0, v[0:1]
	s_lshl_b32 s24, s2, 4
	s_mov_b32 s25, s3
	v_lshl_add_u64 v[6:7], s[6:7], 0, v[0:1]
	v_lshl_add_u64 v[10:11], s[26:27], 0, v[10:11]
	s_mov_b64 s[26:27], 0
	v_mov_b64_e32 v[12:13], s[4:5]
	s_branch .LBB130_4
.LBB130_3:                              ;   in Loop: Header=BB130_4 Depth=1
	s_or_b64 exec, exec, s[4:5]
	s_add_u32 s26, s26, s30
	s_addc_u32 s27, s27, 0
	v_cmp_lt_i64_e32 vcc, s[26:27], v[12:13]
	v_lshl_add_u64 v[2:3], v[2:3], 0, s[20:21]
	v_lshl_add_u64 v[10:11], v[10:11], 0, s[20:21]
	s_cbranch_vccz .LBB130_20
.LBB130_4:                              ; =>This Inner Loop Header: Depth=1
	s_waitcnt vmcnt(0)
	v_lshl_add_u64 v[14:15], v[0:1], 0, s[26:27]
	v_cmp_gt_u64_e64 s[6:7], s[18:19], v[14:15]
	v_mov_b64_e32 v[16:17], 0
	v_mov_b64_e32 v[24:25], 0
	s_and_saveexec_b64 s[2:3], s[6:7]
	s_cbranch_execz .LBB130_6
; %bb.5:                                ;   in Loop: Header=BB130_4 Depth=1
	global_load_dwordx2 v[24:25], v[2:3], off
.LBB130_6:                              ;   in Loop: Header=BB130_4 Depth=1
	s_or_b64 exec, exec, s[2:3]
	v_lshl_add_u64 v[14:15], v[8:9], 0, s[26:27]
	v_cmp_gt_u64_e64 s[4:5], s[18:19], v[14:15]
	s_and_saveexec_b64 s[2:3], s[4:5]
	s_cbranch_execz .LBB130_8
; %bb.7:                                ;   in Loop: Header=BB130_4 Depth=1
	global_load_dwordx2 v[16:17], v[10:11], off
.LBB130_8:                              ;   in Loop: Header=BB130_4 Depth=1
	s_or_b64 exec, exec, s[2:3]
	v_lshl_add_u64 v[14:15], v[6:7], 0, s[26:27]
	v_cmp_gt_u64_e64 s[2:3], s[18:19], v[14:15]
	v_mov_b64_e32 v[14:15], 0
	v_lshl_add_u64 v[20:21], v[2:3], 0, s[24:25]
	v_mov_b64_e32 v[22:23], 0
	s_and_saveexec_b64 s[8:9], s[2:3]
	s_cbranch_execz .LBB130_10
; %bb.9:                                ;   in Loop: Header=BB130_4 Depth=1
	global_load_dwordx2 v[22:23], v[20:21], off
.LBB130_10:                             ;   in Loop: Header=BB130_4 Depth=1
	s_or_b64 exec, exec, s[8:9]
	v_lshl_add_u64 v[18:19], v[4:5], 0, s[26:27]
	v_cmp_gt_u64_e32 vcc, s[18:19], v[18:19]
	v_lshl_add_u64 v[18:19], v[2:3], 0, s[22:23]
	s_and_saveexec_b64 s[8:9], vcc
	s_cbranch_execnz .LBB130_15
; %bb.11:                               ;   in Loop: Header=BB130_4 Depth=1
	s_or_b64 exec, exec, s[8:9]
	s_and_saveexec_b64 s[28:29], s[6:7]
	s_cbranch_execnz .LBB130_16
.LBB130_12:                             ;   in Loop: Header=BB130_4 Depth=1
	s_or_b64 exec, exec, s[28:29]
	s_and_saveexec_b64 s[8:9], s[4:5]
	s_cbranch_execnz .LBB130_17
.LBB130_13:                             ;   in Loop: Header=BB130_4 Depth=1
	s_or_b64 exec, exec, s[8:9]
	s_and_saveexec_b64 s[6:7], s[2:3]
	s_cbranch_execnz .LBB130_18
.LBB130_14:                             ;   in Loop: Header=BB130_4 Depth=1
	s_or_b64 exec, exec, s[6:7]
	s_and_saveexec_b64 s[4:5], vcc
	s_cbranch_execz .LBB130_3
	s_branch .LBB130_19
.LBB130_15:                             ;   in Loop: Header=BB130_4 Depth=1
	global_load_dwordx2 v[14:15], v[18:19], off
	s_or_b64 exec, exec, s[8:9]
	s_and_saveexec_b64 s[28:29], s[6:7]
	s_cbranch_execz .LBB130_12
.LBB130_16:                             ;   in Loop: Header=BB130_4 Depth=1
	s_waitcnt vmcnt(0)
	v_cmp_u_f64_e64 s[6:7], v[24:25], v[24:25]
	v_cmp_lt_f64_e64 s[8:9], s[16:17], v[24:25]
	v_mov_b32_e32 v26, s17
	s_or_b64 s[6:7], s[6:7], s[8:9]
	v_cndmask_b32_e64 v25, v26, v25, s[6:7]
	v_mov_b32_e32 v26, s16
	v_cndmask_b32_e64 v24, v26, v24, s[6:7]
	global_store_dwordx2 v[2:3], v[24:25], off
	s_or_b64 exec, exec, s[28:29]
	s_and_saveexec_b64 s[8:9], s[4:5]
	s_cbranch_execz .LBB130_13
.LBB130_17:                             ;   in Loop: Header=BB130_4 Depth=1
	s_waitcnt vmcnt(0)
	v_cmp_u_f64_e64 s[4:5], v[16:17], v[16:17]
	v_cmp_lt_f64_e64 s[6:7], s[16:17], v[16:17]
	v_mov_b32_e32 v24, s17
	s_or_b64 s[4:5], s[4:5], s[6:7]
	v_cndmask_b32_e64 v17, v24, v17, s[4:5]
	v_mov_b32_e32 v24, s16
	v_cndmask_b32_e64 v16, v24, v16, s[4:5]
	global_store_dwordx2 v[10:11], v[16:17], off
	s_or_b64 exec, exec, s[8:9]
	s_and_saveexec_b64 s[6:7], s[2:3]
	s_cbranch_execz .LBB130_14
.LBB130_18:                             ;   in Loop: Header=BB130_4 Depth=1
	s_waitcnt vmcnt(0)
	v_cmp_u_f64_e64 s[2:3], v[22:23], v[22:23]
	v_cmp_lt_f64_e64 s[4:5], s[16:17], v[22:23]
	v_mov_b32_e32 v16, s17
	s_or_b64 s[2:3], s[2:3], s[4:5]
	v_cndmask_b32_e64 v17, v16, v23, s[2:3]
	v_mov_b32_e32 v16, s16
	v_cndmask_b32_e64 v16, v16, v22, s[2:3]
	global_store_dwordx2 v[20:21], v[16:17], off
	s_or_b64 exec, exec, s[6:7]
	s_and_saveexec_b64 s[4:5], vcc
	s_cbranch_execz .LBB130_3
.LBB130_19:                             ;   in Loop: Header=BB130_4 Depth=1
	s_waitcnt vmcnt(0)
	v_cmp_u_f64_e32 vcc, v[14:15], v[14:15]
	v_cmp_lt_f64_e64 s[2:3], s[16:17], v[14:15]
	v_mov_b32_e32 v16, s17
	s_or_b64 vcc, vcc, s[2:3]
	v_cndmask_b32_e32 v15, v16, v15, vcc
	v_mov_b32_e32 v16, s16
	v_cndmask_b32_e32 v14, v16, v14, vcc
	global_store_dwordx2 v[18:19], v[14:15], off
	s_branch .LBB130_3
.LBB130_20:
	s_cbranch_execz .LBB130_22
	s_branch .LBB130_25
.LBB130_21:
.LBB130_22:
	v_mov_b64_e32 v[4:5], 0x10000
	v_cmp_lt_i64_e32 vcc, s[14:15], v[4:5]
	s_and_b64 s[2:3], vcc, exec
	v_mov_b32_e32 v3, 0
	s_cselect_b32 s21, s15, 0
	s_cselect_b32 s20, s14, 0x10000
	v_lshlrev_b32_e32 v2, 2, v0
	s_mov_b32 s19, 0
	v_cmp_gt_i64_e32 vcc, s[20:21], v[2:3]
	s_and_saveexec_b64 s[2:3], vcc
	s_cbranch_execz .LBB130_25
; %bb.23:
	s_load_dword s0, s[0:1], 0xd44
	v_lshlrev_b32_e32 v2, 5, v0
	v_mov_b32_e32 v1, v3
	s_mov_b32 s23, s19
	s_mov_b64 s[24:25], 0
	s_waitcnt lgkmcnt(0)
	s_and_b32 s18, s0, 0xffff
	s_add_u32 s0, s10, s12
	s_addc_u32 s1, s11, s13
	v_lshl_add_u64 v[2:3], s[0:1], 0, v[2:3]
	s_lshl_b32 s22, s18, 5
	v_lshl_add_u64 v[2:3], v[2:3], 0, 16
	v_mov_b32_e32 v4, s17
	v_mov_b32_e32 v5, s16
.LBB130_24:                             ; =>This Inner Loop Header: Depth=1
	global_load_dwordx4 v[6:9], v[2:3], off offset:-16
	global_load_dwordx4 v[10:13], v[2:3], off
	v_lshl_add_u64 v[0:1], v[0:1], 0, s[18:19]
	s_waitcnt vmcnt(2)
	v_lshlrev_b64 v[14:15], 2, v[0:1]
	v_cmp_le_i64_e32 vcc, s[20:21], v[14:15]
	s_waitcnt vmcnt(1)
	v_cmp_u_f64_e64 s[0:1], v[6:7], v[6:7]
	v_cmp_lt_f64_e64 s[2:3], s[16:17], v[6:7]
	v_cmp_u_f64_e64 s[4:5], v[8:9], v[8:9]
	v_cmp_lt_f64_e64 s[6:7], s[16:17], v[8:9]
	s_waitcnt vmcnt(0)
	v_cmp_u_f64_e64 s[8:9], v[10:11], v[10:11]
	v_cmp_lt_f64_e64 s[10:11], s[16:17], v[10:11]
	v_cmp_u_f64_e64 s[12:13], v[12:13], v[12:13]
	v_cmp_lt_f64_e64 s[14:15], s[16:17], v[12:13]
	s_or_b64 s[0:1], s[0:1], s[2:3]
	s_or_b64 s[2:3], s[4:5], s[6:7]
	v_cndmask_b32_e64 v7, v4, v7, s[0:1]
	v_cndmask_b32_e64 v9, v4, v9, s[2:3]
	s_or_b64 s[4:5], s[8:9], s[10:11]
	s_or_b64 s[6:7], s[12:13], s[14:15]
	v_cndmask_b32_e64 v6, v5, v6, s[0:1]
	v_cndmask_b32_e64 v8, v5, v8, s[2:3]
	;; [unrolled: 1-line block ×6, first 2 shown]
	s_or_b64 s[24:25], vcc, s[24:25]
	global_store_dwordx4 v[2:3], v[6:9], off offset:-16
	global_store_dwordx4 v[2:3], v[10:13], off
	v_lshl_add_u64 v[2:3], v[2:3], 0, s[22:23]
	s_andn2_b64 exec, exec, s[24:25]
	s_cbranch_execnz .LBB130_24
.LBB130_25:
	s_endpgm
	.section	.rodata,"a",@progbits
	.p2align	6, 0x0
	.amdhsa_kernel _ZN2at6native12_GLOBAL__N_125multi_tensor_apply_kernelINS1_18TensorListMetadataILi1EEENS1_21BinaryOpScalarFunctorIdLi1ELi1ELi0EEEJNS0_7maximumIdEEdEEEvT_T0_DpT1_
		.amdhsa_group_segment_fixed_size 0
		.amdhsa_private_segment_fixed_size 0
		.amdhsa_kernarg_size 3640
		.amdhsa_user_sgpr_count 2
		.amdhsa_user_sgpr_dispatch_ptr 0
		.amdhsa_user_sgpr_queue_ptr 0
		.amdhsa_user_sgpr_kernarg_segment_ptr 1
		.amdhsa_user_sgpr_dispatch_id 0
		.amdhsa_user_sgpr_kernarg_preload_length 0
		.amdhsa_user_sgpr_kernarg_preload_offset 0
		.amdhsa_user_sgpr_private_segment_size 0
		.amdhsa_uses_dynamic_stack 0
		.amdhsa_enable_private_segment 0
		.amdhsa_system_sgpr_workgroup_id_x 1
		.amdhsa_system_sgpr_workgroup_id_y 0
		.amdhsa_system_sgpr_workgroup_id_z 0
		.amdhsa_system_sgpr_workgroup_info 0
		.amdhsa_system_vgpr_workitem_id 0
		.amdhsa_next_free_vgpr 27
		.amdhsa_next_free_sgpr 31
		.amdhsa_accum_offset 28
		.amdhsa_reserve_vcc 1
		.amdhsa_float_round_mode_32 0
		.amdhsa_float_round_mode_16_64 0
		.amdhsa_float_denorm_mode_32 3
		.amdhsa_float_denorm_mode_16_64 3
		.amdhsa_dx10_clamp 1
		.amdhsa_ieee_mode 1
		.amdhsa_fp16_overflow 0
		.amdhsa_tg_split 0
		.amdhsa_exception_fp_ieee_invalid_op 0
		.amdhsa_exception_fp_denorm_src 0
		.amdhsa_exception_fp_ieee_div_zero 0
		.amdhsa_exception_fp_ieee_overflow 0
		.amdhsa_exception_fp_ieee_underflow 0
		.amdhsa_exception_fp_ieee_inexact 0
		.amdhsa_exception_int_div_zero 0
	.end_amdhsa_kernel
	.section	.text._ZN2at6native12_GLOBAL__N_125multi_tensor_apply_kernelINS1_18TensorListMetadataILi1EEENS1_21BinaryOpScalarFunctorIdLi1ELi1ELi0EEEJNS0_7maximumIdEEdEEEvT_T0_DpT1_,"axG",@progbits,_ZN2at6native12_GLOBAL__N_125multi_tensor_apply_kernelINS1_18TensorListMetadataILi1EEENS1_21BinaryOpScalarFunctorIdLi1ELi1ELi0EEEJNS0_7maximumIdEEdEEEvT_T0_DpT1_,comdat
.Lfunc_end130:
	.size	_ZN2at6native12_GLOBAL__N_125multi_tensor_apply_kernelINS1_18TensorListMetadataILi1EEENS1_21BinaryOpScalarFunctorIdLi1ELi1ELi0EEEJNS0_7maximumIdEEdEEEvT_T0_DpT1_, .Lfunc_end130-_ZN2at6native12_GLOBAL__N_125multi_tensor_apply_kernelINS1_18TensorListMetadataILi1EEENS1_21BinaryOpScalarFunctorIdLi1ELi1ELi0EEEJNS0_7maximumIdEEdEEEvT_T0_DpT1_
                                        ; -- End function
	.set _ZN2at6native12_GLOBAL__N_125multi_tensor_apply_kernelINS1_18TensorListMetadataILi1EEENS1_21BinaryOpScalarFunctorIdLi1ELi1ELi0EEEJNS0_7maximumIdEEdEEEvT_T0_DpT1_.num_vgpr, 27
	.set _ZN2at6native12_GLOBAL__N_125multi_tensor_apply_kernelINS1_18TensorListMetadataILi1EEENS1_21BinaryOpScalarFunctorIdLi1ELi1ELi0EEEJNS0_7maximumIdEEdEEEvT_T0_DpT1_.num_agpr, 0
	.set _ZN2at6native12_GLOBAL__N_125multi_tensor_apply_kernelINS1_18TensorListMetadataILi1EEENS1_21BinaryOpScalarFunctorIdLi1ELi1ELi0EEEJNS0_7maximumIdEEdEEEvT_T0_DpT1_.numbered_sgpr, 31
	.set _ZN2at6native12_GLOBAL__N_125multi_tensor_apply_kernelINS1_18TensorListMetadataILi1EEENS1_21BinaryOpScalarFunctorIdLi1ELi1ELi0EEEJNS0_7maximumIdEEdEEEvT_T0_DpT1_.num_named_barrier, 0
	.set _ZN2at6native12_GLOBAL__N_125multi_tensor_apply_kernelINS1_18TensorListMetadataILi1EEENS1_21BinaryOpScalarFunctorIdLi1ELi1ELi0EEEJNS0_7maximumIdEEdEEEvT_T0_DpT1_.private_seg_size, 0
	.set _ZN2at6native12_GLOBAL__N_125multi_tensor_apply_kernelINS1_18TensorListMetadataILi1EEENS1_21BinaryOpScalarFunctorIdLi1ELi1ELi0EEEJNS0_7maximumIdEEdEEEvT_T0_DpT1_.uses_vcc, 1
	.set _ZN2at6native12_GLOBAL__N_125multi_tensor_apply_kernelINS1_18TensorListMetadataILi1EEENS1_21BinaryOpScalarFunctorIdLi1ELi1ELi0EEEJNS0_7maximumIdEEdEEEvT_T0_DpT1_.uses_flat_scratch, 0
	.set _ZN2at6native12_GLOBAL__N_125multi_tensor_apply_kernelINS1_18TensorListMetadataILi1EEENS1_21BinaryOpScalarFunctorIdLi1ELi1ELi0EEEJNS0_7maximumIdEEdEEEvT_T0_DpT1_.has_dyn_sized_stack, 0
	.set _ZN2at6native12_GLOBAL__N_125multi_tensor_apply_kernelINS1_18TensorListMetadataILi1EEENS1_21BinaryOpScalarFunctorIdLi1ELi1ELi0EEEJNS0_7maximumIdEEdEEEvT_T0_DpT1_.has_recursion, 0
	.set _ZN2at6native12_GLOBAL__N_125multi_tensor_apply_kernelINS1_18TensorListMetadataILi1EEENS1_21BinaryOpScalarFunctorIdLi1ELi1ELi0EEEJNS0_7maximumIdEEdEEEvT_T0_DpT1_.has_indirect_call, 0
	.section	.AMDGPU.csdata,"",@progbits
; Kernel info:
; codeLenInByte = 1232
; TotalNumSgprs: 37
; NumVgprs: 27
; NumAgprs: 0
; TotalNumVgprs: 27
; ScratchSize: 0
; MemoryBound: 0
; FloatMode: 240
; IeeeMode: 1
; LDSByteSize: 0 bytes/workgroup (compile time only)
; SGPRBlocks: 4
; VGPRBlocks: 3
; NumSGPRsForWavesPerEU: 37
; NumVGPRsForWavesPerEU: 27
; AccumOffset: 28
; Occupancy: 8
; WaveLimiterHint : 0
; COMPUTE_PGM_RSRC2:SCRATCH_EN: 0
; COMPUTE_PGM_RSRC2:USER_SGPR: 2
; COMPUTE_PGM_RSRC2:TRAP_HANDLER: 0
; COMPUTE_PGM_RSRC2:TGID_X_EN: 1
; COMPUTE_PGM_RSRC2:TGID_Y_EN: 0
; COMPUTE_PGM_RSRC2:TGID_Z_EN: 0
; COMPUTE_PGM_RSRC2:TIDIG_COMP_CNT: 0
; COMPUTE_PGM_RSRC3_GFX90A:ACCUM_OFFSET: 6
; COMPUTE_PGM_RSRC3_GFX90A:TG_SPLIT: 0
	.section	.text._ZN2at6native12_GLOBAL__N_125multi_tensor_apply_kernelINS1_18TensorListMetadataILi1EEENS1_21BinaryOpScalarFunctorIfLi1ELi1ELi0EEEJNS0_7maximumIfEEfEEEvT_T0_DpT1_,"axG",@progbits,_ZN2at6native12_GLOBAL__N_125multi_tensor_apply_kernelINS1_18TensorListMetadataILi1EEENS1_21BinaryOpScalarFunctorIfLi1ELi1ELi0EEEJNS0_7maximumIfEEfEEEvT_T0_DpT1_,comdat
	.globl	_ZN2at6native12_GLOBAL__N_125multi_tensor_apply_kernelINS1_18TensorListMetadataILi1EEENS1_21BinaryOpScalarFunctorIfLi1ELi1ELi0EEEJNS0_7maximumIfEEfEEEvT_T0_DpT1_ ; -- Begin function _ZN2at6native12_GLOBAL__N_125multi_tensor_apply_kernelINS1_18TensorListMetadataILi1EEENS1_21BinaryOpScalarFunctorIfLi1ELi1ELi0EEEJNS0_7maximumIfEEfEEEvT_T0_DpT1_
	.p2align	8
	.type	_ZN2at6native12_GLOBAL__N_125multi_tensor_apply_kernelINS1_18TensorListMetadataILi1EEENS1_21BinaryOpScalarFunctorIfLi1ELi1ELi0EEEJNS0_7maximumIfEEfEEEvT_T0_DpT1_,@function
_ZN2at6native12_GLOBAL__N_125multi_tensor_apply_kernelINS1_18TensorListMetadataILi1EEENS1_21BinaryOpScalarFunctorIfLi1ELi1ELi0EEEJNS0_7maximumIfEEfEEEvT_T0_DpT1_: ; @_ZN2at6native12_GLOBAL__N_125multi_tensor_apply_kernelINS1_18TensorListMetadataILi1EEENS1_21BinaryOpScalarFunctorIfLi1ELi1ELi0EEEJNS0_7maximumIfEEfEEEvT_T0_DpT1_
; %bb.0:
	v_mov_b32_e32 v1, s2
	global_load_ubyte v1, v1, s[0:1] offset:1760
	s_add_u32 s3, s0, s2
	s_mul_hi_u32 s4, s2, 3
	s_mul_i32 s2, s2, 3
	s_addc_u32 s5, s1, 0
	s_add_u32 s2, s3, s2
	s_addc_u32 s3, s5, s4
	s_load_dword s2, s[2:3], 0x820
	s_mov_b32 s7, 0
	s_waitcnt vmcnt(0)
	v_readfirstlane_b32 s3, v1
	s_lshl_b32 s3, s3, 3
	s_load_dword s36, s[0:1], 0xd2c
	s_load_dwordx2 s[4:5], s[0:1], s3 offset:0x370
	s_load_dwordx2 s[34:35], s[0:1], s3 offset:0x0
	s_waitcnt lgkmcnt(0)
	s_ashr_i32 s3, s2, 31
	s_lshl_b64 s[38:39], s[2:3], 18
	s_lshl_b64 s[2:3], s[2:3], 16
	s_and_b32 s6, s34, 15
	s_sub_u32 s10, s4, s2
	s_subb_u32 s11, s5, s3
	s_and_b32 s2, s4, 3
	s_mov_b32 s3, s7
	s_or_b64 s[2:3], s[6:7], s[2:3]
	s_cmp_eq_u64 s[2:3], 0
	s_cbranch_scc1 .LBB131_21
; %bb.1:
	v_cmp_lt_i64_e64 s[2:3], s[10:11], 1
	s_and_b64 vcc, exec, s[2:3]
	s_cbranch_vccnz .LBB131_20
; %bb.2:
	s_load_dword s2, s[0:1], 0xd3c
	v_mov_b64_e32 v[2:3], 0x10000
	v_cmp_lt_i64_e32 vcc, s[10:11], v[2:3]
	s_and_b64 s[4:5], vcc, exec
	s_cselect_b32 s5, s11, 0
	s_cselect_b32 s4, s10, 0x10000
	s_waitcnt lgkmcnt(0)
	s_and_b32 s2, s2, 0xffff
	v_cmp_lt_u64_e32 vcc, s[10:11], v[2:3]
	s_and_b64 s[6:7], vcc, exec
	s_mov_b32 s3, 0
	v_mov_b32_e32 v1, 0
	s_cselect_b32 s13, s11, 0
	s_cselect_b32 s12, s10, 0x10000
	s_lshl_b32 s6, s2, 1
	s_lshl_b32 s24, s2, 2
	s_add_u32 s20, s34, s38
	v_lshl_add_u64 v[8:9], v[0:1], 0, s[2:3]
	s_mov_b32 s7, s3
	s_mul_i32 s8, s2, 3
	s_mov_b32 s9, s3
	v_lshlrev_b32_e32 v2, 2, v0
	v_mov_b32_e32 v3, v1
	s_addc_u32 s21, s35, s39
	v_lshlrev_b32_e32 v10, 2, v8
	v_mov_b32_e32 v11, v1
	v_lshl_add_u64 v[2:3], s[20:21], 0, v[2:3]
	s_lshl_b32 s14, s2, 4
	s_mov_b32 s15, s3
	s_mul_i32 s16, s2, 12
	s_mov_b32 s17, s3
	v_lshl_add_u64 v[4:5], s[8:9], 0, v[0:1]
	s_lshl_b32 s18, s2, 3
	s_mov_b32 s19, s3
	v_lshl_add_u64 v[6:7], s[6:7], 0, v[0:1]
	v_lshl_add_u64 v[10:11], s[20:21], 0, v[10:11]
	s_mov_b64 s[20:21], 0
	v_mov_b64_e32 v[12:13], s[4:5]
	s_branch .LBB131_4
.LBB131_3:                              ;   in Loop: Header=BB131_4 Depth=1
	s_or_b64 exec, exec, s[6:7]
	s_add_u32 s20, s20, s24
	s_addc_u32 s21, s21, 0
	v_cmp_lt_i64_e32 vcc, s[20:21], v[12:13]
	v_lshl_add_u64 v[2:3], v[2:3], 0, s[14:15]
	v_lshl_add_u64 v[10:11], v[10:11], 0, s[14:15]
	s_cbranch_vccz .LBB131_20
.LBB131_4:                              ; =>This Inner Loop Header: Depth=1
	v_lshl_add_u64 v[14:15], v[0:1], 0, s[20:21]
	v_cmp_gt_u64_e64 s[6:7], s[12:13], v[14:15]
	s_waitcnt vmcnt(0)
	v_mov_b32_e32 v20, 0
	s_and_saveexec_b64 s[2:3], s[6:7]
	s_cbranch_execz .LBB131_6
; %bb.5:                                ;   in Loop: Header=BB131_4 Depth=1
	global_load_dword v20, v[2:3], off
.LBB131_6:                              ;   in Loop: Header=BB131_4 Depth=1
	s_or_b64 exec, exec, s[2:3]
	v_lshl_add_u64 v[14:15], v[8:9], 0, s[20:21]
	v_cmp_gt_u64_e32 vcc, s[12:13], v[14:15]
	v_mov_b32_e32 v18, 0
	v_mov_b32_e32 v21, 0
	s_and_saveexec_b64 s[2:3], vcc
	s_cbranch_execz .LBB131_8
; %bb.7:                                ;   in Loop: Header=BB131_4 Depth=1
	global_load_dword v21, v[10:11], off
.LBB131_8:                              ;   in Loop: Header=BB131_4 Depth=1
	s_or_b64 exec, exec, s[2:3]
	v_lshl_add_u64 v[14:15], v[6:7], 0, s[20:21]
	v_cmp_gt_u64_e64 s[2:3], s[12:13], v[14:15]
	v_lshl_add_u64 v[14:15], v[2:3], 0, s[18:19]
	s_and_saveexec_b64 s[4:5], s[2:3]
	s_cbranch_execz .LBB131_10
; %bb.9:                                ;   in Loop: Header=BB131_4 Depth=1
	global_load_dword v18, v[14:15], off
.LBB131_10:                             ;   in Loop: Header=BB131_4 Depth=1
	s_or_b64 exec, exec, s[4:5]
	v_lshl_add_u64 v[16:17], v[4:5], 0, s[20:21]
	v_cmp_gt_u64_e64 s[4:5], s[12:13], v[16:17]
	v_mov_b32_e32 v19, 0
	v_lshl_add_u64 v[16:17], v[2:3], 0, s[16:17]
	s_and_saveexec_b64 s[8:9], s[4:5]
	s_cbranch_execnz .LBB131_15
; %bb.11:                               ;   in Loop: Header=BB131_4 Depth=1
	s_or_b64 exec, exec, s[8:9]
	s_and_saveexec_b64 s[22:23], s[6:7]
	s_cbranch_execnz .LBB131_16
.LBB131_12:                             ;   in Loop: Header=BB131_4 Depth=1
	s_or_b64 exec, exec, s[22:23]
	s_and_saveexec_b64 s[8:9], vcc
	s_cbranch_execnz .LBB131_17
.LBB131_13:                             ;   in Loop: Header=BB131_4 Depth=1
	s_or_b64 exec, exec, s[8:9]
	s_and_saveexec_b64 s[6:7], s[2:3]
	s_cbranch_execnz .LBB131_18
.LBB131_14:                             ;   in Loop: Header=BB131_4 Depth=1
	s_or_b64 exec, exec, s[6:7]
	s_and_saveexec_b64 s[6:7], s[4:5]
	s_cbranch_execz .LBB131_3
	s_branch .LBB131_19
.LBB131_15:                             ;   in Loop: Header=BB131_4 Depth=1
	global_load_dword v19, v[16:17], off
	s_or_b64 exec, exec, s[8:9]
	s_and_saveexec_b64 s[22:23], s[6:7]
	s_cbranch_execz .LBB131_12
.LBB131_16:                             ;   in Loop: Header=BB131_4 Depth=1
	s_waitcnt vmcnt(0)
	v_cmp_u_f32_e64 s[6:7], v20, v20
	v_cmp_lt_f32_e64 s[8:9], s36, v20
	v_mov_b32_e32 v22, s36
	s_or_b64 s[6:7], s[6:7], s[8:9]
	v_cndmask_b32_e64 v20, v22, v20, s[6:7]
	global_store_dword v[2:3], v20, off
	s_or_b64 exec, exec, s[22:23]
	s_and_saveexec_b64 s[8:9], vcc
	s_cbranch_execz .LBB131_13
.LBB131_17:                             ;   in Loop: Header=BB131_4 Depth=1
	s_waitcnt vmcnt(0)
	v_cmp_u_f32_e32 vcc, v21, v21
	v_cmp_lt_f32_e64 s[6:7], s36, v21
	v_mov_b32_e32 v20, s36
	s_or_b64 vcc, vcc, s[6:7]
	v_cndmask_b32_e32 v20, v20, v21, vcc
	global_store_dword v[10:11], v20, off
	s_or_b64 exec, exec, s[8:9]
	s_and_saveexec_b64 s[6:7], s[2:3]
	s_cbranch_execz .LBB131_14
.LBB131_18:                             ;   in Loop: Header=BB131_4 Depth=1
	s_waitcnt vmcnt(0)
	v_cmp_u_f32_e32 vcc, v18, v18
	v_cmp_lt_f32_e64 s[2:3], s36, v18
	v_mov_b32_e32 v20, s36
	s_or_b64 vcc, vcc, s[2:3]
	v_cndmask_b32_e32 v18, v20, v18, vcc
	global_store_dword v[14:15], v18, off
	s_or_b64 exec, exec, s[6:7]
	s_and_saveexec_b64 s[6:7], s[4:5]
	s_cbranch_execz .LBB131_3
.LBB131_19:                             ;   in Loop: Header=BB131_4 Depth=1
	s_waitcnt vmcnt(0)
	v_cmp_u_f32_e32 vcc, v19, v19
	v_cmp_lt_f32_e64 s[2:3], s36, v19
	v_mov_b32_e32 v14, s36
	s_or_b64 vcc, vcc, s[2:3]
	v_cndmask_b32_e32 v14, v14, v19, vcc
	global_store_dword v[16:17], v14, off
	s_branch .LBB131_3
.LBB131_20:
	s_cbranch_execz .LBB131_22
	s_branch .LBB131_32
.LBB131_21:
.LBB131_22:
	v_mov_b64_e32 v[4:5], 0x10000
	v_cmp_lt_i64_e32 vcc, s[10:11], v[4:5]
	s_and_b64 s[4:5], vcc, exec
	v_mov_b32_e32 v3, 0
	s_cselect_b32 s41, s11, 0
	s_cselect_b32 s40, s10, 0x10000
	v_lshlrev_b32_e32 v2, 2, v0
	s_mov_b32 s2, 0
	v_cmp_gt_i64_e32 vcc, s[40:41], v[2:3]
	s_and_saveexec_b64 s[4:5], vcc
	s_cbranch_execz .LBB131_32
; %bb.23:
	v_add_u32_e32 v4, 4, v2
	v_mov_b32_e32 v5, v3
	v_mov_b32_e32 v6, s41
	v_cmp_gt_i64_e32 vcc, s[40:41], v[4:5]
	s_load_dword s0, s[0:1], 0xd3c
	v_mov_b32_e32 v1, v3
	v_cndmask_b32_e32 v5, 0, v6, vcc
	v_mov_b32_e32 v6, s40
	v_cndmask_b32_e32 v4, v4, v6, vcc
	v_lshl_add_u64 v[4:5], v[4:5], 0, -4
	v_cmp_ne_u64_e32 vcc, v[4:5], v[2:3]
	s_waitcnt lgkmcnt(0)
	s_and_b32 s42, s0, 0xffff
	v_mov_b32_e32 v7, s2
	v_cndmask_b32_e64 v6, 0, 1, vcc
	v_or_b32_e32 v2, v2, v6
	v_sub_co_u32_e32 v2, vcc, v4, v2
	s_cmp_lg_u32 s42, 1
	s_nop 0
	v_subbrev_co_u32_e32 v3, vcc, 0, v5, vcc
	v_lshrrev_b64 v[2:3], 2, v[2:3]
	v_lshl_add_u64 v[4:5], v[2:3], 0, v[6:7]
	v_cmp_eq_u64_e32 vcc, 0, v[4:5]
	s_cselect_b64 s[0:1], -1, 0
	s_mov_b64 s[44:45], 0
	s_or_b64 s[0:1], vcc, s[0:1]
	s_and_saveexec_b64 s[2:3], s[0:1]
	s_xor_b64 s[0:1], exec, s[2:3]
	s_cbranch_execnz .LBB131_26
; %bb.24:
	s_or_saveexec_b64 s[46:47], s[0:1]
	v_mov_b64_e32 v[2:3], s[36:37]
	s_xor_b64 exec, exec, s[46:47]
	s_cbranch_execnz .LBB131_27
.LBB131_25:
	s_or_b64 exec, exec, s[46:47]
	s_and_b64 exec, exec, s[44:45]
	s_cbranch_execnz .LBB131_30
	s_branch .LBB131_32
.LBB131_26:
	s_mov_b64 s[44:45], exec
                                        ; implicit-def: $vgpr4_vgpr5
	s_or_saveexec_b64 s[46:47], s[0:1]
	v_mov_b64_e32 v[2:3], s[36:37]
	s_xor_b64 exec, exec, s[46:47]
	s_cbranch_execz .LBB131_25
.LBB131_27:
	s_add_u32 s0, s34, s38
	v_lshl_add_u64 v[2:3], v[4:5], 0, 1
	v_lshlrev_b32_e32 v6, 4, v0
	v_mov_b32_e32 v7, 0
	s_addc_u32 s1, s35, s39
	v_and_b32_e32 v4, -2, v2
	v_mov_b32_e32 v5, v3
	v_lshl_add_u64 v[6:7], s[0:1], 0, v[6:7]
	s_mov_b32 s33, s36
	v_lshl_add_u64 v[6:7], v[6:7], 0, 28
	s_mov_b64 s[48:49], 0
	v_mov_b32_e32 v10, s36
	v_mov_b32_e32 v11, s36
	v_mov_b64_e32 v[8:9], v[4:5]
.LBB131_28:                             ; =>This Inner Loop Header: Depth=1
	global_load_dwordx4 v[12:15], v[6:7], off offset:-12
	global_load_dwordx4 v[16:19], v[6:7], off offset:-28
	v_lshl_add_u64 v[8:9], v[8:9], 0, -2
	v_cmp_eq_u64_e32 vcc, 0, v[8:9]
	s_waitcnt vmcnt(1)
	v_cmp_u_f32_e64 s[0:1], v12, v12
	v_cmp_lt_f32_e64 s[4:5], s33, v12
	s_waitcnt vmcnt(0)
	v_cmp_u_f32_e64 s[2:3], v16, v16
	v_cmp_lt_f32_e64 s[6:7], s36, v16
	s_or_b64 s[0:1], s[0:1], s[4:5]
	v_cmp_u_f32_e64 s[8:9], v13, v13
	v_cmp_lt_f32_e64 s[12:13], s33, v13
	v_cndmask_b32_e64 v12, v10, v12, s[0:1]
	s_or_b64 s[0:1], s[2:3], s[6:7]
	v_cmp_u_f32_e64 s[10:11], v17, v17
	v_cmp_lt_f32_e64 s[14:15], s36, v17
	v_cndmask_b32_e64 v16, v11, v16, s[0:1]
	;; [unrolled: 4-line block ×6, first 2 shown]
	s_or_b64 s[0:1], s[24:25], s[28:29]
	v_cndmask_b32_e64 v15, v10, v15, s[0:1]
	s_or_b64 s[0:1], s[26:27], s[30:31]
	v_cndmask_b32_e64 v19, v11, v19, s[0:1]
	global_store_dwordx4 v[6:7], v[16:19], off offset:-28
	global_store_dwordx4 v[6:7], v[12:15], off offset:-12
	s_or_b64 s[48:49], vcc, s[48:49]
	v_lshl_add_u64 v[6:7], v[6:7], 0, 32
	s_andn2_b64 exec, exec, s[48:49]
	s_cbranch_execnz .LBB131_28
; %bb.29:
	s_or_b64 exec, exec, s[48:49]
	v_cmp_ne_u64_e32 vcc, v[2:3], v[4:5]
	s_andn2_b64 s[0:1], s[44:45], exec
	s_and_b64 s[2:3], vcc, exec
	v_lshl_add_u64 v[0:1], v[4:5], 0, v[0:1]
	v_mov_b64_e32 v[2:3], s[36:37]
	s_or_b64 s[44:45], s[0:1], s[2:3]
	s_or_b64 exec, exec, s[46:47]
	s_and_b64 exec, exec, s[44:45]
	s_cbranch_execz .LBB131_32
.LBB131_30:
	s_add_u32 s0, s34, s38
	s_addc_u32 s1, s35, s39
	s_mov_b32 s43, 0
	v_lshl_add_u64 v[4:5], v[0:1], 4, s[0:1]
	v_mov_b32_e32 v3, s36
	v_lshl_add_u64 v[4:5], v[4:5], 0, 8
	s_lshl_b32 s16, s42, 4
	s_mov_b32 s17, s43
	s_mov_b64 s[18:19], 0
.LBB131_31:                             ; =>This Inner Loop Header: Depth=1
	global_load_dwordx4 v[6:9], v[4:5], off offset:-8
	v_lshl_add_u64 v[0:1], v[0:1], 0, s[42:43]
	v_lshlrev_b64 v[10:11], 2, v[0:1]
	v_cmp_le_i64_e32 vcc, s[40:41], v[10:11]
	s_waitcnt vmcnt(0)
	v_cmp_u_f32_e64 s[0:1], v7, v7
	v_cmp_gt_f32_e64 s[4:5], v7, v3
	v_cmp_u_f32_e64 s[2:3], v6, v6
	v_cmp_gt_f32_e64 s[6:7], v6, v2
	s_or_b64 s[0:1], s[0:1], s[4:5]
	v_cmp_u_f32_e64 s[8:9], v9, v9
	v_cmp_gt_f32_e64 s[12:13], v9, v3
	v_cndmask_b32_e64 v7, v3, v7, s[0:1]
	s_or_b64 s[0:1], s[2:3], s[6:7]
	v_cmp_u_f32_e64 s[10:11], v8, v8
	v_cmp_gt_f32_e64 s[14:15], v8, v2
	v_cndmask_b32_e64 v6, v2, v6, s[0:1]
	s_or_b64 s[0:1], s[8:9], s[12:13]
	v_cndmask_b32_e64 v9, v3, v9, s[0:1]
	s_or_b64 s[0:1], s[10:11], s[14:15]
	v_cndmask_b32_e64 v8, v2, v8, s[0:1]
	global_store_dwordx4 v[4:5], v[6:9], off offset:-8
	s_or_b64 s[18:19], vcc, s[18:19]
	v_lshl_add_u64 v[4:5], v[4:5], 0, s[16:17]
	s_andn2_b64 exec, exec, s[18:19]
	s_cbranch_execnz .LBB131_31
.LBB131_32:
	s_endpgm
	.section	.rodata,"a",@progbits
	.p2align	6, 0x0
	.amdhsa_kernel _ZN2at6native12_GLOBAL__N_125multi_tensor_apply_kernelINS1_18TensorListMetadataILi1EEENS1_21BinaryOpScalarFunctorIfLi1ELi1ELi0EEEJNS0_7maximumIfEEfEEEvT_T0_DpT1_
		.amdhsa_group_segment_fixed_size 0
		.amdhsa_private_segment_fixed_size 0
		.amdhsa_kernarg_size 3632
		.amdhsa_user_sgpr_count 2
		.amdhsa_user_sgpr_dispatch_ptr 0
		.amdhsa_user_sgpr_queue_ptr 0
		.amdhsa_user_sgpr_kernarg_segment_ptr 1
		.amdhsa_user_sgpr_dispatch_id 0
		.amdhsa_user_sgpr_kernarg_preload_length 0
		.amdhsa_user_sgpr_kernarg_preload_offset 0
		.amdhsa_user_sgpr_private_segment_size 0
		.amdhsa_uses_dynamic_stack 0
		.amdhsa_enable_private_segment 0
		.amdhsa_system_sgpr_workgroup_id_x 1
		.amdhsa_system_sgpr_workgroup_id_y 0
		.amdhsa_system_sgpr_workgroup_id_z 0
		.amdhsa_system_sgpr_workgroup_info 0
		.amdhsa_system_vgpr_workitem_id 0
		.amdhsa_next_free_vgpr 23
		.amdhsa_next_free_sgpr 50
		.amdhsa_accum_offset 24
		.amdhsa_reserve_vcc 1
		.amdhsa_float_round_mode_32 0
		.amdhsa_float_round_mode_16_64 0
		.amdhsa_float_denorm_mode_32 3
		.amdhsa_float_denorm_mode_16_64 3
		.amdhsa_dx10_clamp 1
		.amdhsa_ieee_mode 1
		.amdhsa_fp16_overflow 0
		.amdhsa_tg_split 0
		.amdhsa_exception_fp_ieee_invalid_op 0
		.amdhsa_exception_fp_denorm_src 0
		.amdhsa_exception_fp_ieee_div_zero 0
		.amdhsa_exception_fp_ieee_overflow 0
		.amdhsa_exception_fp_ieee_underflow 0
		.amdhsa_exception_fp_ieee_inexact 0
		.amdhsa_exception_int_div_zero 0
	.end_amdhsa_kernel
	.section	.text._ZN2at6native12_GLOBAL__N_125multi_tensor_apply_kernelINS1_18TensorListMetadataILi1EEENS1_21BinaryOpScalarFunctorIfLi1ELi1ELi0EEEJNS0_7maximumIfEEfEEEvT_T0_DpT1_,"axG",@progbits,_ZN2at6native12_GLOBAL__N_125multi_tensor_apply_kernelINS1_18TensorListMetadataILi1EEENS1_21BinaryOpScalarFunctorIfLi1ELi1ELi0EEEJNS0_7maximumIfEEfEEEvT_T0_DpT1_,comdat
.Lfunc_end131:
	.size	_ZN2at6native12_GLOBAL__N_125multi_tensor_apply_kernelINS1_18TensorListMetadataILi1EEENS1_21BinaryOpScalarFunctorIfLi1ELi1ELi0EEEJNS0_7maximumIfEEfEEEvT_T0_DpT1_, .Lfunc_end131-_ZN2at6native12_GLOBAL__N_125multi_tensor_apply_kernelINS1_18TensorListMetadataILi1EEENS1_21BinaryOpScalarFunctorIfLi1ELi1ELi0EEEJNS0_7maximumIfEEfEEEvT_T0_DpT1_
                                        ; -- End function
	.set _ZN2at6native12_GLOBAL__N_125multi_tensor_apply_kernelINS1_18TensorListMetadataILi1EEENS1_21BinaryOpScalarFunctorIfLi1ELi1ELi0EEEJNS0_7maximumIfEEfEEEvT_T0_DpT1_.num_vgpr, 23
	.set _ZN2at6native12_GLOBAL__N_125multi_tensor_apply_kernelINS1_18TensorListMetadataILi1EEENS1_21BinaryOpScalarFunctorIfLi1ELi1ELi0EEEJNS0_7maximumIfEEfEEEvT_T0_DpT1_.num_agpr, 0
	.set _ZN2at6native12_GLOBAL__N_125multi_tensor_apply_kernelINS1_18TensorListMetadataILi1EEENS1_21BinaryOpScalarFunctorIfLi1ELi1ELi0EEEJNS0_7maximumIfEEfEEEvT_T0_DpT1_.numbered_sgpr, 50
	.set _ZN2at6native12_GLOBAL__N_125multi_tensor_apply_kernelINS1_18TensorListMetadataILi1EEENS1_21BinaryOpScalarFunctorIfLi1ELi1ELi0EEEJNS0_7maximumIfEEfEEEvT_T0_DpT1_.num_named_barrier, 0
	.set _ZN2at6native12_GLOBAL__N_125multi_tensor_apply_kernelINS1_18TensorListMetadataILi1EEENS1_21BinaryOpScalarFunctorIfLi1ELi1ELi0EEEJNS0_7maximumIfEEfEEEvT_T0_DpT1_.private_seg_size, 0
	.set _ZN2at6native12_GLOBAL__N_125multi_tensor_apply_kernelINS1_18TensorListMetadataILi1EEENS1_21BinaryOpScalarFunctorIfLi1ELi1ELi0EEEJNS0_7maximumIfEEfEEEvT_T0_DpT1_.uses_vcc, 1
	.set _ZN2at6native12_GLOBAL__N_125multi_tensor_apply_kernelINS1_18TensorListMetadataILi1EEENS1_21BinaryOpScalarFunctorIfLi1ELi1ELi0EEEJNS0_7maximumIfEEfEEEvT_T0_DpT1_.uses_flat_scratch, 0
	.set _ZN2at6native12_GLOBAL__N_125multi_tensor_apply_kernelINS1_18TensorListMetadataILi1EEENS1_21BinaryOpScalarFunctorIfLi1ELi1ELi0EEEJNS0_7maximumIfEEfEEEvT_T0_DpT1_.has_dyn_sized_stack, 0
	.set _ZN2at6native12_GLOBAL__N_125multi_tensor_apply_kernelINS1_18TensorListMetadataILi1EEENS1_21BinaryOpScalarFunctorIfLi1ELi1ELi0EEEJNS0_7maximumIfEEfEEEvT_T0_DpT1_.has_recursion, 0
	.set _ZN2at6native12_GLOBAL__N_125multi_tensor_apply_kernelINS1_18TensorListMetadataILi1EEENS1_21BinaryOpScalarFunctorIfLi1ELi1ELi0EEEJNS0_7maximumIfEEfEEEvT_T0_DpT1_.has_indirect_call, 0
	.section	.AMDGPU.csdata,"",@progbits
; Kernel info:
; codeLenInByte = 1688
; TotalNumSgprs: 56
; NumVgprs: 23
; NumAgprs: 0
; TotalNumVgprs: 23
; ScratchSize: 0
; MemoryBound: 0
; FloatMode: 240
; IeeeMode: 1
; LDSByteSize: 0 bytes/workgroup (compile time only)
; SGPRBlocks: 6
; VGPRBlocks: 2
; NumSGPRsForWavesPerEU: 56
; NumVGPRsForWavesPerEU: 23
; AccumOffset: 24
; Occupancy: 8
; WaveLimiterHint : 0
; COMPUTE_PGM_RSRC2:SCRATCH_EN: 0
; COMPUTE_PGM_RSRC2:USER_SGPR: 2
; COMPUTE_PGM_RSRC2:TRAP_HANDLER: 0
; COMPUTE_PGM_RSRC2:TGID_X_EN: 1
; COMPUTE_PGM_RSRC2:TGID_Y_EN: 0
; COMPUTE_PGM_RSRC2:TGID_Z_EN: 0
; COMPUTE_PGM_RSRC2:TIDIG_COMP_CNT: 0
; COMPUTE_PGM_RSRC3_GFX90A:ACCUM_OFFSET: 5
; COMPUTE_PGM_RSRC3_GFX90A:TG_SPLIT: 0
	.section	.text._ZN2at6native12_GLOBAL__N_125multi_tensor_apply_kernelINS1_18TensorListMetadataILi1EEENS1_21BinaryOpScalarFunctorIN3c104HalfELi1ELi1ELi0EEEJNS0_7maximumIfEEfEEEvT_T0_DpT1_,"axG",@progbits,_ZN2at6native12_GLOBAL__N_125multi_tensor_apply_kernelINS1_18TensorListMetadataILi1EEENS1_21BinaryOpScalarFunctorIN3c104HalfELi1ELi1ELi0EEEJNS0_7maximumIfEEfEEEvT_T0_DpT1_,comdat
	.globl	_ZN2at6native12_GLOBAL__N_125multi_tensor_apply_kernelINS1_18TensorListMetadataILi1EEENS1_21BinaryOpScalarFunctorIN3c104HalfELi1ELi1ELi0EEEJNS0_7maximumIfEEfEEEvT_T0_DpT1_ ; -- Begin function _ZN2at6native12_GLOBAL__N_125multi_tensor_apply_kernelINS1_18TensorListMetadataILi1EEENS1_21BinaryOpScalarFunctorIN3c104HalfELi1ELi1ELi0EEEJNS0_7maximumIfEEfEEEvT_T0_DpT1_
	.p2align	8
	.type	_ZN2at6native12_GLOBAL__N_125multi_tensor_apply_kernelINS1_18TensorListMetadataILi1EEENS1_21BinaryOpScalarFunctorIN3c104HalfELi1ELi1ELi0EEEJNS0_7maximumIfEEfEEEvT_T0_DpT1_,@function
_ZN2at6native12_GLOBAL__N_125multi_tensor_apply_kernelINS1_18TensorListMetadataILi1EEENS1_21BinaryOpScalarFunctorIN3c104HalfELi1ELi1ELi0EEEJNS0_7maximumIfEEfEEEvT_T0_DpT1_: ; @_ZN2at6native12_GLOBAL__N_125multi_tensor_apply_kernelINS1_18TensorListMetadataILi1EEENS1_21BinaryOpScalarFunctorIN3c104HalfELi1ELi1ELi0EEEJNS0_7maximumIfEEfEEEvT_T0_DpT1_
; %bb.0:
	v_mov_b32_e32 v1, s2
	global_load_ubyte v1, v1, s[0:1] offset:1760
	s_add_u32 s3, s0, s2
	s_mul_hi_u32 s4, s2, 3
	s_mul_i32 s2, s2, 3
	s_addc_u32 s5, s1, 0
	s_add_u32 s2, s3, s2
	s_addc_u32 s3, s5, s4
	s_load_dword s2, s[2:3], 0x820
	s_mov_b32 s7, 0
	s_waitcnt vmcnt(0)
	v_readfirstlane_b32 s3, v1
	s_lshl_b32 s3, s3, 3
	s_load_dword s28, s[0:1], 0xd2c
	s_load_dwordx2 s[4:5], s[0:1], s3 offset:0x370
	s_load_dwordx2 s[10:11], s[0:1], s3 offset:0x0
	s_waitcnt lgkmcnt(0)
	s_ashr_i32 s3, s2, 31
	s_lshl_b64 s[12:13], s[2:3], 17
	s_lshl_b64 s[2:3], s[2:3], 16
	s_and_b32 s6, s10, 7
	s_sub_u32 s14, s4, s2
	s_subb_u32 s15, s5, s3
	s_and_b32 s2, s4, 3
	s_mov_b32 s3, s7
	s_or_b64 s[2:3], s[6:7], s[2:3]
	s_cmp_eq_u64 s[2:3], 0
	s_cbranch_scc1 .LBB132_21
; %bb.1:
	v_cmp_lt_i64_e64 s[2:3], s[14:15], 1
	s_and_b64 vcc, exec, s[2:3]
	s_cbranch_vccnz .LBB132_20
; %bb.2:
	s_load_dword s2, s[0:1], 0xd3c
	v_mov_b64_e32 v[2:3], 0x10000
	v_cmp_lt_i64_e32 vcc, s[14:15], v[2:3]
	s_and_b64 s[4:5], vcc, exec
	s_cselect_b32 s5, s15, 0
	s_cselect_b32 s4, s14, 0x10000
	s_waitcnt lgkmcnt(0)
	s_and_b32 s2, s2, 0xffff
	v_cmp_lt_u64_e32 vcc, s[14:15], v[2:3]
	s_and_b64 s[6:7], vcc, exec
	s_mov_b32 s3, 0
	v_mov_b32_e32 v1, 0
	s_cselect_b32 s17, s15, 0
	s_cselect_b32 s16, s14, 0x10000
	s_lshl_b32 s6, s2, 1
	v_cvt_f16_f32_e32 v18, s28
	s_lshl_b32 s18, s2, 2
	s_add_u32 s24, s10, s12
	v_lshl_add_u64 v[8:9], v[0:1], 0, s[2:3]
	s_mov_b32 s7, s3
	s_mul_i32 s8, s2, 3
	s_mov_b32 s9, s3
	v_lshlrev_b32_e32 v2, 1, v0
	v_mov_b32_e32 v3, v1
	s_addc_u32 s25, s11, s13
	v_lshlrev_b32_e32 v10, 1, v8
	v_mov_b32_e32 v11, v1
	s_mov_b32 s19, s3
	v_lshl_add_u64 v[2:3], s[24:25], 0, v[2:3]
	s_lshl_b32 s20, s2, 3
	s_mov_b32 s21, s3
	s_mul_i32 s22, s2, 6
	s_mov_b32 s23, s3
	v_lshl_add_u64 v[4:5], s[8:9], 0, v[0:1]
	v_lshl_add_u64 v[6:7], s[6:7], 0, v[0:1]
	;; [unrolled: 1-line block ×3, first 2 shown]
	s_mov_b64 s[24:25], 0
	v_mov_b64_e32 v[12:13], s[4:5]
	s_branch .LBB132_4
.LBB132_3:                              ;   in Loop: Header=BB132_4 Depth=1
	s_or_b64 exec, exec, s[4:5]
	s_add_u32 s24, s24, s18
	s_addc_u32 s25, s25, 0
	v_cmp_lt_i64_e32 vcc, s[24:25], v[12:13]
	v_lshl_add_u64 v[2:3], v[2:3], 0, s[20:21]
	v_lshl_add_u64 v[10:11], v[10:11], 0, s[20:21]
	s_cbranch_vccz .LBB132_20
.LBB132_4:                              ; =>This Inner Loop Header: Depth=1
	v_lshl_add_u64 v[14:15], v[0:1], 0, s[24:25]
	v_cmp_gt_u64_e64 s[2:3], s[16:17], v[14:15]
	s_waitcnt vmcnt(0)
	v_mov_b32_e32 v20, 0
	s_and_saveexec_b64 s[4:5], s[2:3]
	s_cbranch_execz .LBB132_6
; %bb.5:                                ;   in Loop: Header=BB132_4 Depth=1
	global_load_ushort v20, v[2:3], off
.LBB132_6:                              ;   in Loop: Header=BB132_4 Depth=1
	s_or_b64 exec, exec, s[4:5]
	v_lshl_add_u64 v[14:15], v[8:9], 0, s[24:25]
	v_cmp_gt_u64_e32 vcc, s[16:17], v[14:15]
	v_mov_b32_e32 v19, 0
	v_mov_b32_e32 v21, 0
	s_and_saveexec_b64 s[4:5], vcc
	s_cbranch_execz .LBB132_8
; %bb.7:                                ;   in Loop: Header=BB132_4 Depth=1
	global_load_ushort v21, v[10:11], off
.LBB132_8:                              ;   in Loop: Header=BB132_4 Depth=1
	s_or_b64 exec, exec, s[4:5]
	v_lshl_add_u64 v[14:15], v[6:7], 0, s[24:25]
	v_cmp_gt_u64_e64 s[4:5], s[16:17], v[14:15]
	v_lshl_add_u64 v[14:15], v[2:3], 0, s[18:19]
	s_and_saveexec_b64 s[6:7], s[4:5]
	s_cbranch_execz .LBB132_10
; %bb.9:                                ;   in Loop: Header=BB132_4 Depth=1
	global_load_ushort v19, v[14:15], off
.LBB132_10:                             ;   in Loop: Header=BB132_4 Depth=1
	s_or_b64 exec, exec, s[6:7]
	v_lshl_add_u64 v[16:17], v[4:5], 0, s[24:25]
	v_cmp_gt_u64_e64 s[6:7], s[16:17], v[16:17]
	v_mov_b32_e32 v22, 0
	v_lshl_add_u64 v[16:17], v[2:3], 0, s[22:23]
	s_and_saveexec_b64 s[8:9], s[6:7]
	s_cbranch_execnz .LBB132_15
; %bb.11:                               ;   in Loop: Header=BB132_4 Depth=1
	s_or_b64 exec, exec, s[8:9]
	s_and_saveexec_b64 s[26:27], s[2:3]
	s_cbranch_execnz .LBB132_16
.LBB132_12:                             ;   in Loop: Header=BB132_4 Depth=1
	s_or_b64 exec, exec, s[26:27]
	s_and_saveexec_b64 s[8:9], vcc
	s_cbranch_execnz .LBB132_17
.LBB132_13:                             ;   in Loop: Header=BB132_4 Depth=1
	s_or_b64 exec, exec, s[8:9]
	s_and_saveexec_b64 s[8:9], s[4:5]
	s_cbranch_execnz .LBB132_18
.LBB132_14:                             ;   in Loop: Header=BB132_4 Depth=1
	s_or_b64 exec, exec, s[8:9]
	s_and_saveexec_b64 s[4:5], s[6:7]
	s_cbranch_execz .LBB132_3
	s_branch .LBB132_19
.LBB132_15:                             ;   in Loop: Header=BB132_4 Depth=1
	global_load_ushort v22, v[16:17], off
	s_or_b64 exec, exec, s[8:9]
	s_and_saveexec_b64 s[26:27], s[2:3]
	s_cbranch_execz .LBB132_12
.LBB132_16:                             ;   in Loop: Header=BB132_4 Depth=1
	s_waitcnt vmcnt(0)
	v_cvt_f32_f16_e32 v23, v20
	v_cmp_u_f16_e64 s[2:3], v20, v20
	v_cmp_lt_f32_e64 s[8:9], s28, v23
	s_or_b64 s[2:3], s[2:3], s[8:9]
	v_cndmask_b32_e64 v20, v18, v20, s[2:3]
	global_store_short v[2:3], v20, off
	s_or_b64 exec, exec, s[26:27]
	s_and_saveexec_b64 s[8:9], vcc
	s_cbranch_execz .LBB132_13
.LBB132_17:                             ;   in Loop: Header=BB132_4 Depth=1
	s_waitcnt vmcnt(0)
	v_cvt_f32_f16_e32 v20, v21
	v_cmp_u_f16_e32 vcc, v21, v21
	v_cmp_lt_f32_e64 s[2:3], s28, v20
	s_or_b64 vcc, vcc, s[2:3]
	v_cndmask_b32_e32 v20, v18, v21, vcc
	global_store_short v[10:11], v20, off
	s_or_b64 exec, exec, s[8:9]
	s_and_saveexec_b64 s[8:9], s[4:5]
	s_cbranch_execz .LBB132_14
.LBB132_18:                             ;   in Loop: Header=BB132_4 Depth=1
	s_waitcnt vmcnt(0)
	v_cvt_f32_f16_e32 v20, v19
	v_cmp_u_f16_e32 vcc, v19, v19
	v_cmp_lt_f32_e64 s[2:3], s28, v20
	s_or_b64 vcc, vcc, s[2:3]
	v_cndmask_b32_e32 v19, v18, v19, vcc
	global_store_short v[14:15], v19, off
	s_or_b64 exec, exec, s[8:9]
	s_and_saveexec_b64 s[4:5], s[6:7]
	s_cbranch_execz .LBB132_3
.LBB132_19:                             ;   in Loop: Header=BB132_4 Depth=1
	s_waitcnt vmcnt(0)
	v_cvt_f32_f16_e32 v14, v22
	v_cmp_u_f16_e32 vcc, v22, v22
	v_cmp_lt_f32_e64 s[2:3], s28, v14
	s_or_b64 vcc, vcc, s[2:3]
	v_cndmask_b32_e32 v14, v18, v22, vcc
	global_store_short v[16:17], v14, off
	s_branch .LBB132_3
.LBB132_20:
	s_cbranch_execz .LBB132_22
	s_branch .LBB132_25
.LBB132_21:
.LBB132_22:
	v_mov_b64_e32 v[4:5], 0x10000
	v_cmp_lt_i64_e32 vcc, s[14:15], v[4:5]
	s_and_b64 s[2:3], vcc, exec
	v_mov_b32_e32 v3, 0
	s_cselect_b32 s19, s15, 0
	s_cselect_b32 s18, s14, 0x10000
	v_lshlrev_b32_e32 v2, 2, v0
	s_mov_b32 s17, 0
	v_cmp_gt_i64_e32 vcc, s[18:19], v[2:3]
	s_and_saveexec_b64 s[2:3], vcc
	s_cbranch_execz .LBB132_25
; %bb.23:
	s_load_dword s0, s[0:1], 0xd3c
	v_cvt_f16_f32_e32 v2, s28
	v_mov_b32_e32 v1, v3
	s_mov_b32 s24, s28
	s_mov_b32 s25, s28
	s_waitcnt lgkmcnt(0)
	s_and_b32 s16, s0, 0xffff
	s_add_u32 s0, s10, s12
	v_lshl_or_b32 v4, v2, 16, v2
	v_lshlrev_b32_e32 v2, 3, v0
	s_addc_u32 s1, s11, s13
	s_mov_b32 s26, s28
	v_lshl_add_u64 v[2:3], s[0:1], 0, v[2:3]
	s_lshl_b32 s20, s16, 3
	s_mov_b32 s21, s17
	s_mov_b64 s[22:23], 0
	v_lshrrev_b32_e32 v5, 16, v4
	s_mov_b32 s27, 0x5040100
.LBB132_24:                             ; =>This Inner Loop Header: Depth=1
	global_load_dwordx2 v[6:7], v[2:3], off
	v_lshl_add_u64 v[0:1], v[0:1], 0, s[16:17]
	v_lshlrev_b64 v[8:9], 2, v[0:1]
	v_cmp_le_i64_e32 vcc, s[18:19], v[8:9]
	s_waitcnt vmcnt(0)
	v_cvt_f32_f16_e32 v11, v7
	v_lshrrev_b32_e32 v9, 16, v7
	v_cvt_f32_f16_e32 v10, v6
	v_lshrrev_b32_e32 v8, 16, v6
	v_cvt_f32_f16_e32 v13, v9
	v_cvt_f32_f16_e32 v12, v8
	v_cmp_u_f16_e64 s[0:1], v7, v7
	v_cmp_lt_f32_e64 s[8:9], s25, v11
	v_cmp_u_f16_e64 s[2:3], v6, v6
	v_cmp_lt_f32_e64 s[10:11], s28, v10
	s_or_b64 s[0:1], s[0:1], s[8:9]
	v_cmp_u_f16_e64 s[4:5], v9, v9
	v_cmp_lt_f32_e64 s[12:13], s26, v13
	v_cndmask_b32_e64 v7, v4, v7, s[0:1]
	s_or_b64 s[0:1], s[2:3], s[10:11]
	v_cmp_u_f16_e64 s[6:7], v8, v8
	v_cmp_lt_f32_e64 s[14:15], s24, v12
	v_cndmask_b32_e64 v6, v4, v6, s[0:1]
	s_or_b64 s[0:1], s[4:5], s[12:13]
	v_cndmask_b32_e64 v9, v5, v9, s[0:1]
	s_or_b64 s[0:1], s[6:7], s[14:15]
	v_cndmask_b32_e64 v8, v5, v8, s[0:1]
	v_perm_b32 v7, v9, v7, s27
	v_perm_b32 v6, v8, v6, s27
	s_or_b64 s[22:23], vcc, s[22:23]
	global_store_dwordx2 v[2:3], v[6:7], off
	v_lshl_add_u64 v[2:3], v[2:3], 0, s[20:21]
	s_andn2_b64 exec, exec, s[22:23]
	s_cbranch_execnz .LBB132_24
.LBB132_25:
	s_endpgm
	.section	.rodata,"a",@progbits
	.p2align	6, 0x0
	.amdhsa_kernel _ZN2at6native12_GLOBAL__N_125multi_tensor_apply_kernelINS1_18TensorListMetadataILi1EEENS1_21BinaryOpScalarFunctorIN3c104HalfELi1ELi1ELi0EEEJNS0_7maximumIfEEfEEEvT_T0_DpT1_
		.amdhsa_group_segment_fixed_size 0
		.amdhsa_private_segment_fixed_size 0
		.amdhsa_kernarg_size 3632
		.amdhsa_user_sgpr_count 2
		.amdhsa_user_sgpr_dispatch_ptr 0
		.amdhsa_user_sgpr_queue_ptr 0
		.amdhsa_user_sgpr_kernarg_segment_ptr 1
		.amdhsa_user_sgpr_dispatch_id 0
		.amdhsa_user_sgpr_kernarg_preload_length 0
		.amdhsa_user_sgpr_kernarg_preload_offset 0
		.amdhsa_user_sgpr_private_segment_size 0
		.amdhsa_uses_dynamic_stack 0
		.amdhsa_enable_private_segment 0
		.amdhsa_system_sgpr_workgroup_id_x 1
		.amdhsa_system_sgpr_workgroup_id_y 0
		.amdhsa_system_sgpr_workgroup_id_z 0
		.amdhsa_system_sgpr_workgroup_info 0
		.amdhsa_system_vgpr_workitem_id 0
		.amdhsa_next_free_vgpr 24
		.amdhsa_next_free_sgpr 29
		.amdhsa_accum_offset 24
		.amdhsa_reserve_vcc 1
		.amdhsa_float_round_mode_32 0
		.amdhsa_float_round_mode_16_64 0
		.amdhsa_float_denorm_mode_32 3
		.amdhsa_float_denorm_mode_16_64 3
		.amdhsa_dx10_clamp 1
		.amdhsa_ieee_mode 1
		.amdhsa_fp16_overflow 0
		.amdhsa_tg_split 0
		.amdhsa_exception_fp_ieee_invalid_op 0
		.amdhsa_exception_fp_denorm_src 0
		.amdhsa_exception_fp_ieee_div_zero 0
		.amdhsa_exception_fp_ieee_overflow 0
		.amdhsa_exception_fp_ieee_underflow 0
		.amdhsa_exception_fp_ieee_inexact 0
		.amdhsa_exception_int_div_zero 0
	.end_amdhsa_kernel
	.section	.text._ZN2at6native12_GLOBAL__N_125multi_tensor_apply_kernelINS1_18TensorListMetadataILi1EEENS1_21BinaryOpScalarFunctorIN3c104HalfELi1ELi1ELi0EEEJNS0_7maximumIfEEfEEEvT_T0_DpT1_,"axG",@progbits,_ZN2at6native12_GLOBAL__N_125multi_tensor_apply_kernelINS1_18TensorListMetadataILi1EEENS1_21BinaryOpScalarFunctorIN3c104HalfELi1ELi1ELi0EEEJNS0_7maximumIfEEfEEEvT_T0_DpT1_,comdat
.Lfunc_end132:
	.size	_ZN2at6native12_GLOBAL__N_125multi_tensor_apply_kernelINS1_18TensorListMetadataILi1EEENS1_21BinaryOpScalarFunctorIN3c104HalfELi1ELi1ELi0EEEJNS0_7maximumIfEEfEEEvT_T0_DpT1_, .Lfunc_end132-_ZN2at6native12_GLOBAL__N_125multi_tensor_apply_kernelINS1_18TensorListMetadataILi1EEENS1_21BinaryOpScalarFunctorIN3c104HalfELi1ELi1ELi0EEEJNS0_7maximumIfEEfEEEvT_T0_DpT1_
                                        ; -- End function
	.set _ZN2at6native12_GLOBAL__N_125multi_tensor_apply_kernelINS1_18TensorListMetadataILi1EEENS1_21BinaryOpScalarFunctorIN3c104HalfELi1ELi1ELi0EEEJNS0_7maximumIfEEfEEEvT_T0_DpT1_.num_vgpr, 24
	.set _ZN2at6native12_GLOBAL__N_125multi_tensor_apply_kernelINS1_18TensorListMetadataILi1EEENS1_21BinaryOpScalarFunctorIN3c104HalfELi1ELi1ELi0EEEJNS0_7maximumIfEEfEEEvT_T0_DpT1_.num_agpr, 0
	.set _ZN2at6native12_GLOBAL__N_125multi_tensor_apply_kernelINS1_18TensorListMetadataILi1EEENS1_21BinaryOpScalarFunctorIN3c104HalfELi1ELi1ELi0EEEJNS0_7maximumIfEEfEEEvT_T0_DpT1_.numbered_sgpr, 29
	.set _ZN2at6native12_GLOBAL__N_125multi_tensor_apply_kernelINS1_18TensorListMetadataILi1EEENS1_21BinaryOpScalarFunctorIN3c104HalfELi1ELi1ELi0EEEJNS0_7maximumIfEEfEEEvT_T0_DpT1_.num_named_barrier, 0
	.set _ZN2at6native12_GLOBAL__N_125multi_tensor_apply_kernelINS1_18TensorListMetadataILi1EEENS1_21BinaryOpScalarFunctorIN3c104HalfELi1ELi1ELi0EEEJNS0_7maximumIfEEfEEEvT_T0_DpT1_.private_seg_size, 0
	.set _ZN2at6native12_GLOBAL__N_125multi_tensor_apply_kernelINS1_18TensorListMetadataILi1EEENS1_21BinaryOpScalarFunctorIN3c104HalfELi1ELi1ELi0EEEJNS0_7maximumIfEEfEEEvT_T0_DpT1_.uses_vcc, 1
	.set _ZN2at6native12_GLOBAL__N_125multi_tensor_apply_kernelINS1_18TensorListMetadataILi1EEENS1_21BinaryOpScalarFunctorIN3c104HalfELi1ELi1ELi0EEEJNS0_7maximumIfEEfEEEvT_T0_DpT1_.uses_flat_scratch, 0
	.set _ZN2at6native12_GLOBAL__N_125multi_tensor_apply_kernelINS1_18TensorListMetadataILi1EEENS1_21BinaryOpScalarFunctorIN3c104HalfELi1ELi1ELi0EEEJNS0_7maximumIfEEfEEEvT_T0_DpT1_.has_dyn_sized_stack, 0
	.set _ZN2at6native12_GLOBAL__N_125multi_tensor_apply_kernelINS1_18TensorListMetadataILi1EEENS1_21BinaryOpScalarFunctorIN3c104HalfELi1ELi1ELi0EEEJNS0_7maximumIfEEfEEEvT_T0_DpT1_.has_recursion, 0
	.set _ZN2at6native12_GLOBAL__N_125multi_tensor_apply_kernelINS1_18TensorListMetadataILi1EEENS1_21BinaryOpScalarFunctorIN3c104HalfELi1ELi1ELi0EEEJNS0_7maximumIfEEfEEEvT_T0_DpT1_.has_indirect_call, 0
	.section	.AMDGPU.csdata,"",@progbits
; Kernel info:
; codeLenInByte = 1176
; TotalNumSgprs: 35
; NumVgprs: 24
; NumAgprs: 0
; TotalNumVgprs: 24
; ScratchSize: 0
; MemoryBound: 0
; FloatMode: 240
; IeeeMode: 1
; LDSByteSize: 0 bytes/workgroup (compile time only)
; SGPRBlocks: 4
; VGPRBlocks: 2
; NumSGPRsForWavesPerEU: 35
; NumVGPRsForWavesPerEU: 24
; AccumOffset: 24
; Occupancy: 8
; WaveLimiterHint : 0
; COMPUTE_PGM_RSRC2:SCRATCH_EN: 0
; COMPUTE_PGM_RSRC2:USER_SGPR: 2
; COMPUTE_PGM_RSRC2:TRAP_HANDLER: 0
; COMPUTE_PGM_RSRC2:TGID_X_EN: 1
; COMPUTE_PGM_RSRC2:TGID_Y_EN: 0
; COMPUTE_PGM_RSRC2:TGID_Z_EN: 0
; COMPUTE_PGM_RSRC2:TIDIG_COMP_CNT: 0
; COMPUTE_PGM_RSRC3_GFX90A:ACCUM_OFFSET: 5
; COMPUTE_PGM_RSRC3_GFX90A:TG_SPLIT: 0
	.section	.text._ZN2at6native12_GLOBAL__N_125multi_tensor_apply_kernelINS1_18TensorListMetadataILi1EEENS1_21BinaryOpScalarFunctorIN3c108BFloat16ELi1ELi1ELi0EEEJNS0_7maximumIfEEfEEEvT_T0_DpT1_,"axG",@progbits,_ZN2at6native12_GLOBAL__N_125multi_tensor_apply_kernelINS1_18TensorListMetadataILi1EEENS1_21BinaryOpScalarFunctorIN3c108BFloat16ELi1ELi1ELi0EEEJNS0_7maximumIfEEfEEEvT_T0_DpT1_,comdat
	.globl	_ZN2at6native12_GLOBAL__N_125multi_tensor_apply_kernelINS1_18TensorListMetadataILi1EEENS1_21BinaryOpScalarFunctorIN3c108BFloat16ELi1ELi1ELi0EEEJNS0_7maximumIfEEfEEEvT_T0_DpT1_ ; -- Begin function _ZN2at6native12_GLOBAL__N_125multi_tensor_apply_kernelINS1_18TensorListMetadataILi1EEENS1_21BinaryOpScalarFunctorIN3c108BFloat16ELi1ELi1ELi0EEEJNS0_7maximumIfEEfEEEvT_T0_DpT1_
	.p2align	8
	.type	_ZN2at6native12_GLOBAL__N_125multi_tensor_apply_kernelINS1_18TensorListMetadataILi1EEENS1_21BinaryOpScalarFunctorIN3c108BFloat16ELi1ELi1ELi0EEEJNS0_7maximumIfEEfEEEvT_T0_DpT1_,@function
_ZN2at6native12_GLOBAL__N_125multi_tensor_apply_kernelINS1_18TensorListMetadataILi1EEENS1_21BinaryOpScalarFunctorIN3c108BFloat16ELi1ELi1ELi0EEEJNS0_7maximumIfEEfEEEvT_T0_DpT1_: ; @_ZN2at6native12_GLOBAL__N_125multi_tensor_apply_kernelINS1_18TensorListMetadataILi1EEENS1_21BinaryOpScalarFunctorIN3c108BFloat16ELi1ELi1ELi0EEEJNS0_7maximumIfEEfEEEvT_T0_DpT1_
; %bb.0:
	v_mov_b32_e32 v1, s2
	global_load_ubyte v1, v1, s[0:1] offset:1760
	s_add_u32 s3, s0, s2
	s_mul_hi_u32 s4, s2, 3
	s_mul_i32 s2, s2, 3
	s_addc_u32 s5, s1, 0
	s_add_u32 s2, s3, s2
	s_addc_u32 s3, s5, s4
	s_load_dword s2, s[2:3], 0x820
	s_mov_b32 s7, 0
	s_waitcnt vmcnt(0)
	v_readfirstlane_b32 s3, v1
	s_lshl_b32 s3, s3, 3
	s_load_dword s28, s[0:1], 0xd2c
	s_load_dwordx2 s[4:5], s[0:1], s3 offset:0x370
	s_load_dwordx2 s[10:11], s[0:1], s3 offset:0x0
	s_waitcnt lgkmcnt(0)
	s_ashr_i32 s3, s2, 31
	s_lshl_b64 s[12:13], s[2:3], 17
	s_lshl_b64 s[2:3], s[2:3], 16
	s_and_b32 s6, s10, 7
	s_sub_u32 s14, s4, s2
	s_subb_u32 s15, s5, s3
	s_and_b32 s2, s4, 3
	s_mov_b32 s3, s7
	s_or_b64 s[2:3], s[6:7], s[2:3]
	s_cmp_eq_u64 s[2:3], 0
	s_cbranch_scc1 .LBB133_21
; %bb.1:
	v_cmp_lt_i64_e64 s[2:3], s[14:15], 1
	s_and_b64 vcc, exec, s[2:3]
	s_cbranch_vccnz .LBB133_20
; %bb.2:
	s_load_dword s2, s[0:1], 0xd3c
	v_mov_b64_e32 v[2:3], 0x10000
	v_cmp_lt_i64_e32 vcc, s[14:15], v[2:3]
	s_and_b64 s[4:5], vcc, exec
	s_cselect_b32 s5, s15, 0
	s_cselect_b32 s4, s14, 0x10000
	s_waitcnt lgkmcnt(0)
	s_and_b32 s2, s2, 0xffff
	v_cmp_lt_u64_e32 vcc, s[14:15], v[2:3]
	s_and_b64 s[6:7], vcc, exec
	s_mov_b32 s3, 0
	v_mov_b32_e32 v1, 0
	s_cselect_b32 s17, s15, 0
	s_cselect_b32 s16, s14, 0x10000
	s_lshl_b32 s6, s2, 1
	s_lshl_b32 s18, s2, 2
	s_add_u32 s24, s10, s12
	v_lshl_add_u64 v[8:9], v[0:1], 0, s[2:3]
	s_mov_b32 s7, s3
	s_mul_i32 s8, s2, 3
	s_mov_b32 s9, s3
	v_lshlrev_b32_e32 v2, 1, v0
	v_mov_b32_e32 v3, v1
	s_addc_u32 s25, s11, s13
	v_lshlrev_b32_e32 v10, 1, v8
	v_mov_b32_e32 v11, v1
	s_mov_b32 s19, s3
	v_lshl_add_u64 v[2:3], s[24:25], 0, v[2:3]
	s_lshl_b32 s20, s2, 3
	s_mov_b32 s21, s3
	s_mul_i32 s22, s2, 6
	s_mov_b32 s23, s3
	v_lshl_add_u64 v[4:5], s[8:9], 0, v[0:1]
	v_lshl_add_u64 v[6:7], s[6:7], 0, v[0:1]
	;; [unrolled: 1-line block ×3, first 2 shown]
	s_mov_b64 s[24:25], 0
	s_movk_i32 s29, 0x7fff
	v_mov_b64_e32 v[12:13], s[4:5]
	v_mov_b32_e32 v18, 0x7fc0
	s_branch .LBB133_4
.LBB133_3:                              ;   in Loop: Header=BB133_4 Depth=1
	s_or_b64 exec, exec, s[4:5]
	s_add_u32 s24, s24, s18
	s_addc_u32 s25, s25, 0
	v_cmp_lt_i64_e32 vcc, s[24:25], v[12:13]
	v_lshl_add_u64 v[2:3], v[2:3], 0, s[20:21]
	v_lshl_add_u64 v[10:11], v[10:11], 0, s[20:21]
	s_cbranch_vccz .LBB133_20
.LBB133_4:                              ; =>This Inner Loop Header: Depth=1
	v_lshl_add_u64 v[14:15], v[0:1], 0, s[24:25]
	v_cmp_gt_u64_e32 vcc, s[16:17], v[14:15]
	v_mov_b32_e32 v22, 0
	s_and_saveexec_b64 s[2:3], vcc
	s_cbranch_execz .LBB133_6
; %bb.5:                                ;   in Loop: Header=BB133_4 Depth=1
	global_load_ushort v14, v[2:3], off
	s_waitcnt vmcnt(0)
	v_lshlrev_b32_e32 v22, 16, v14
.LBB133_6:                              ;   in Loop: Header=BB133_4 Depth=1
	s_or_b64 exec, exec, s[2:3]
	v_lshl_add_u64 v[14:15], v[8:9], 0, s[24:25]
	v_cmp_gt_u64_e64 s[6:7], s[16:17], v[14:15]
	v_mov_b32_e32 v19, 0
	v_mov_b32_e32 v21, 0
	s_and_saveexec_b64 s[2:3], s[6:7]
	s_cbranch_execz .LBB133_8
; %bb.7:                                ;   in Loop: Header=BB133_4 Depth=1
	global_load_ushort v14, v[10:11], off
	s_waitcnt vmcnt(0)
	v_lshlrev_b32_e32 v21, 16, v14
.LBB133_8:                              ;   in Loop: Header=BB133_4 Depth=1
	s_or_b64 exec, exec, s[2:3]
	v_lshl_add_u64 v[14:15], v[6:7], 0, s[24:25]
	v_cmp_gt_u64_e64 s[4:5], s[16:17], v[14:15]
	v_lshl_add_u64 v[16:17], v[2:3], 0, s[18:19]
	s_and_saveexec_b64 s[2:3], s[4:5]
	s_cbranch_execz .LBB133_10
; %bb.9:                                ;   in Loop: Header=BB133_4 Depth=1
	global_load_ushort v14, v[16:17], off
	s_waitcnt vmcnt(0)
	v_lshlrev_b32_e32 v19, 16, v14
.LBB133_10:                             ;   in Loop: Header=BB133_4 Depth=1
	s_or_b64 exec, exec, s[2:3]
	v_lshl_add_u64 v[14:15], v[4:5], 0, s[24:25]
	v_cmp_gt_u64_e64 s[2:3], s[16:17], v[14:15]
	v_mov_b32_e32 v20, 0
	v_lshl_add_u64 v[14:15], v[2:3], 0, s[22:23]
	s_and_saveexec_b64 s[8:9], s[2:3]
	s_cbranch_execnz .LBB133_15
; %bb.11:                               ;   in Loop: Header=BB133_4 Depth=1
	s_or_b64 exec, exec, s[8:9]
	s_and_saveexec_b64 s[26:27], vcc
	s_cbranch_execnz .LBB133_16
.LBB133_12:                             ;   in Loop: Header=BB133_4 Depth=1
	s_or_b64 exec, exec, s[26:27]
	s_and_saveexec_b64 s[8:9], s[6:7]
	s_cbranch_execnz .LBB133_17
.LBB133_13:                             ;   in Loop: Header=BB133_4 Depth=1
	s_or_b64 exec, exec, s[8:9]
	s_and_saveexec_b64 s[6:7], s[4:5]
	s_cbranch_execnz .LBB133_18
.LBB133_14:                             ;   in Loop: Header=BB133_4 Depth=1
	s_or_b64 exec, exec, s[6:7]
	s_and_saveexec_b64 s[4:5], s[2:3]
	s_cbranch_execz .LBB133_3
	s_branch .LBB133_19
.LBB133_15:                             ;   in Loop: Header=BB133_4 Depth=1
	global_load_ushort v20, v[14:15], off
	s_waitcnt vmcnt(0)
	v_lshlrev_b32_e32 v20, 16, v20
	s_or_b64 exec, exec, s[8:9]
	s_and_saveexec_b64 s[26:27], vcc
	s_cbranch_execz .LBB133_12
.LBB133_16:                             ;   in Loop: Header=BB133_4 Depth=1
	v_cmp_u_f32_e32 vcc, v22, v22
	v_cmp_lt_f32_e64 s[8:9], s28, v22
	v_mov_b32_e32 v23, s28
	s_or_b64 vcc, vcc, s[8:9]
	v_cndmask_b32_e32 v22, v23, v22, vcc
	v_bfe_u32 v23, v22, 16, 1
	v_add3_u32 v23, v22, v23, s29
	v_cmp_o_f32_e32 vcc, v22, v22
	s_nop 1
	v_cndmask_b32_sdwa v22, v18, v23, vcc dst_sel:DWORD dst_unused:UNUSED_PAD src0_sel:DWORD src1_sel:WORD_1
	global_store_short v[2:3], v22, off
	s_or_b64 exec, exec, s[26:27]
	s_and_saveexec_b64 s[8:9], s[6:7]
	s_cbranch_execz .LBB133_13
.LBB133_17:                             ;   in Loop: Header=BB133_4 Depth=1
	v_cmp_u_f32_e32 vcc, v21, v21
	v_cmp_lt_f32_e64 s[6:7], s28, v21
	v_mov_b32_e32 v22, s28
	s_or_b64 vcc, vcc, s[6:7]
	v_cndmask_b32_e32 v21, v22, v21, vcc
	v_bfe_u32 v22, v21, 16, 1
	v_add3_u32 v22, v21, v22, s29
	v_cmp_o_f32_e32 vcc, v21, v21
	s_nop 1
	v_cndmask_b32_sdwa v21, v18, v22, vcc dst_sel:DWORD dst_unused:UNUSED_PAD src0_sel:DWORD src1_sel:WORD_1
	global_store_short v[10:11], v21, off
	s_or_b64 exec, exec, s[8:9]
	s_and_saveexec_b64 s[6:7], s[4:5]
	s_cbranch_execz .LBB133_14
.LBB133_18:                             ;   in Loop: Header=BB133_4 Depth=1
	v_cmp_u_f32_e32 vcc, v19, v19
	v_cmp_lt_f32_e64 s[4:5], s28, v19
	v_mov_b32_e32 v21, s28
	s_or_b64 vcc, vcc, s[4:5]
	v_cndmask_b32_e32 v19, v21, v19, vcc
	v_bfe_u32 v21, v19, 16, 1
	v_add3_u32 v21, v19, v21, s29
	v_cmp_o_f32_e32 vcc, v19, v19
	s_nop 1
	v_cndmask_b32_sdwa v19, v18, v21, vcc dst_sel:DWORD dst_unused:UNUSED_PAD src0_sel:DWORD src1_sel:WORD_1
	global_store_short v[16:17], v19, off
	s_or_b64 exec, exec, s[6:7]
	s_and_saveexec_b64 s[4:5], s[2:3]
	s_cbranch_execz .LBB133_3
.LBB133_19:                             ;   in Loop: Header=BB133_4 Depth=1
	v_cmp_u_f32_e32 vcc, v20, v20
	v_cmp_lt_f32_e64 s[2:3], s28, v20
	v_mov_b32_e32 v16, s28
	s_or_b64 vcc, vcc, s[2:3]
	v_cndmask_b32_e32 v16, v16, v20, vcc
	v_bfe_u32 v17, v16, 16, 1
	v_add3_u32 v17, v16, v17, s29
	v_cmp_o_f32_e32 vcc, v16, v16
	s_nop 1
	v_cndmask_b32_sdwa v16, v18, v17, vcc dst_sel:DWORD dst_unused:UNUSED_PAD src0_sel:DWORD src1_sel:WORD_1
	global_store_short v[14:15], v16, off
	s_branch .LBB133_3
.LBB133_20:
	s_cbranch_execz .LBB133_22
	s_branch .LBB133_25
.LBB133_21:
.LBB133_22:
	v_mov_b64_e32 v[4:5], 0x10000
	v_cmp_lt_i64_e32 vcc, s[14:15], v[4:5]
	s_and_b64 s[2:3], vcc, exec
	v_mov_b32_e32 v3, 0
	s_cselect_b32 s15, s15, 0
	s_cselect_b32 s14, s14, 0x10000
	v_lshlrev_b32_e32 v2, 2, v0
	s_mov_b32 s17, 0
	v_cmp_gt_i64_e32 vcc, s[14:15], v[2:3]
	s_and_saveexec_b64 s[2:3], vcc
	s_cbranch_execz .LBB133_25
; %bb.23:
	s_load_dword s0, s[0:1], 0xd3c
	v_lshlrev_b32_e32 v2, 3, v0
	v_mov_b32_e32 v1, v3
	s_mov_b32 s19, s17
	v_mov_b32_e32 v4, s28
	s_waitcnt lgkmcnt(0)
	s_and_b32 s16, s0, 0xffff
	s_add_u32 s0, s10, s12
	s_addc_u32 s1, s11, s13
	s_lshl_b32 s18, s16, 3
	v_lshl_add_u64 v[2:3], s[0:1], 0, v[2:3]
	s_mov_b64 s[12:13], 0
	s_movk_i32 s20, 0x7fff
	v_mov_b32_e32 v5, 0x7fc00000
	v_mov_b32_e32 v6, 0x7fc0
.LBB133_24:                             ; =>This Inner Loop Header: Depth=1
	global_load_dwordx2 v[8:9], v[2:3], off
	v_lshl_add_u64 v[0:1], v[0:1], 0, s[16:17]
	v_lshlrev_b64 v[10:11], 2, v[0:1]
	v_cmp_le_i64_e32 vcc, s[14:15], v[10:11]
	s_waitcnt vmcnt(0)
	v_lshlrev_b32_e32 v7, 16, v8
	v_and_b32_e32 v10, 0xffff0000, v8
	v_alignbit_b32 v8, v9, v8, 16
	v_and_b32_e32 v9, 0xffff0000, v9
	v_cmp_u_f32_e64 s[0:1], v7, v7
	v_cmp_lt_f32_e64 s[2:3], s28, v7
	v_cmp_u_f32_e64 s[4:5], v10, v10
	v_cmp_lt_f32_e64 s[6:7], s28, v10
	v_cmp_u_f32_e64 s[8:9], v9, v9
	v_cmp_lt_f32_e64 s[10:11], s28, v9
	s_or_b64 s[0:1], s[0:1], s[2:3]
	v_cndmask_b32_e64 v7, v4, v7, s[0:1]
	s_or_b64 s[0:1], s[4:5], s[6:7]
	s_or_b64 s[4:5], s[8:9], s[10:11]
	v_and_b32_e32 v8, 0xffff0000, v8
	v_cndmask_b32_e64 v9, v4, v9, s[4:5]
	v_cndmask_b32_e64 v10, v4, v10, s[0:1]
	v_cmp_u_f32_e64 s[0:1], v8, v8
	v_cmp_lt_f32_e64 s[2:3], s28, v8
	v_bfe_u32 v13, v9, 16, 1
	v_bfe_u32 v12, v10, 16, 1
	s_or_b64 s[0:1], s[0:1], s[2:3]
	v_add3_u32 v13, v9, v13, s20
	v_bfe_u32 v11, v7, 16, 1
	v_cndmask_b32_e64 v8, v4, v8, s[0:1]
	v_add3_u32 v12, v10, v12, s20
	s_or_b64 s[12:13], vcc, s[12:13]
	v_and_b32_e32 v13, 0xffff0000, v13
	v_cmp_o_f32_e32 vcc, v9, v9
	v_add3_u32 v11, v7, v11, s20
	v_bfe_u32 v14, v8, 16, 1
	v_and_b32_e32 v12, 0xffff0000, v12
	v_cndmask_b32_e32 v9, v5, v13, vcc
	v_cmp_o_f32_e32 vcc, v10, v10
	v_lshrrev_b32_e32 v11, 16, v11
	v_add3_u32 v14, v8, v14, s20
	v_cndmask_b32_e32 v10, v5, v12, vcc
	v_cmp_o_f32_e32 vcc, v7, v7
	v_lshrrev_b32_e32 v14, 16, v14
	s_nop 0
	v_cndmask_b32_e32 v7, v6, v11, vcc
	v_cmp_o_f32_e32 vcc, v8, v8
	v_or_b32_e32 v7, v7, v10
	s_nop 0
	v_cndmask_b32_e32 v8, v6, v14, vcc
	v_or3_b32 v9, 0, v8, v9
	v_or3_b32 v8, v7, 0, 0
	global_store_dwordx2 v[2:3], v[8:9], off
	v_lshl_add_u64 v[2:3], v[2:3], 0, s[18:19]
	s_andn2_b64 exec, exec, s[12:13]
	s_cbranch_execnz .LBB133_24
.LBB133_25:
	s_endpgm
	.section	.rodata,"a",@progbits
	.p2align	6, 0x0
	.amdhsa_kernel _ZN2at6native12_GLOBAL__N_125multi_tensor_apply_kernelINS1_18TensorListMetadataILi1EEENS1_21BinaryOpScalarFunctorIN3c108BFloat16ELi1ELi1ELi0EEEJNS0_7maximumIfEEfEEEvT_T0_DpT1_
		.amdhsa_group_segment_fixed_size 0
		.amdhsa_private_segment_fixed_size 0
		.amdhsa_kernarg_size 3632
		.amdhsa_user_sgpr_count 2
		.amdhsa_user_sgpr_dispatch_ptr 0
		.amdhsa_user_sgpr_queue_ptr 0
		.amdhsa_user_sgpr_kernarg_segment_ptr 1
		.amdhsa_user_sgpr_dispatch_id 0
		.amdhsa_user_sgpr_kernarg_preload_length 0
		.amdhsa_user_sgpr_kernarg_preload_offset 0
		.amdhsa_user_sgpr_private_segment_size 0
		.amdhsa_uses_dynamic_stack 0
		.amdhsa_enable_private_segment 0
		.amdhsa_system_sgpr_workgroup_id_x 1
		.amdhsa_system_sgpr_workgroup_id_y 0
		.amdhsa_system_sgpr_workgroup_id_z 0
		.amdhsa_system_sgpr_workgroup_info 0
		.amdhsa_system_vgpr_workitem_id 0
		.amdhsa_next_free_vgpr 24
		.amdhsa_next_free_sgpr 30
		.amdhsa_accum_offset 24
		.amdhsa_reserve_vcc 1
		.amdhsa_float_round_mode_32 0
		.amdhsa_float_round_mode_16_64 0
		.amdhsa_float_denorm_mode_32 3
		.amdhsa_float_denorm_mode_16_64 3
		.amdhsa_dx10_clamp 1
		.amdhsa_ieee_mode 1
		.amdhsa_fp16_overflow 0
		.amdhsa_tg_split 0
		.amdhsa_exception_fp_ieee_invalid_op 0
		.amdhsa_exception_fp_denorm_src 0
		.amdhsa_exception_fp_ieee_div_zero 0
		.amdhsa_exception_fp_ieee_overflow 0
		.amdhsa_exception_fp_ieee_underflow 0
		.amdhsa_exception_fp_ieee_inexact 0
		.amdhsa_exception_int_div_zero 0
	.end_amdhsa_kernel
	.section	.text._ZN2at6native12_GLOBAL__N_125multi_tensor_apply_kernelINS1_18TensorListMetadataILi1EEENS1_21BinaryOpScalarFunctorIN3c108BFloat16ELi1ELi1ELi0EEEJNS0_7maximumIfEEfEEEvT_T0_DpT1_,"axG",@progbits,_ZN2at6native12_GLOBAL__N_125multi_tensor_apply_kernelINS1_18TensorListMetadataILi1EEENS1_21BinaryOpScalarFunctorIN3c108BFloat16ELi1ELi1ELi0EEEJNS0_7maximumIfEEfEEEvT_T0_DpT1_,comdat
.Lfunc_end133:
	.size	_ZN2at6native12_GLOBAL__N_125multi_tensor_apply_kernelINS1_18TensorListMetadataILi1EEENS1_21BinaryOpScalarFunctorIN3c108BFloat16ELi1ELi1ELi0EEEJNS0_7maximumIfEEfEEEvT_T0_DpT1_, .Lfunc_end133-_ZN2at6native12_GLOBAL__N_125multi_tensor_apply_kernelINS1_18TensorListMetadataILi1EEENS1_21BinaryOpScalarFunctorIN3c108BFloat16ELi1ELi1ELi0EEEJNS0_7maximumIfEEfEEEvT_T0_DpT1_
                                        ; -- End function
	.set _ZN2at6native12_GLOBAL__N_125multi_tensor_apply_kernelINS1_18TensorListMetadataILi1EEENS1_21BinaryOpScalarFunctorIN3c108BFloat16ELi1ELi1ELi0EEEJNS0_7maximumIfEEfEEEvT_T0_DpT1_.num_vgpr, 24
	.set _ZN2at6native12_GLOBAL__N_125multi_tensor_apply_kernelINS1_18TensorListMetadataILi1EEENS1_21BinaryOpScalarFunctorIN3c108BFloat16ELi1ELi1ELi0EEEJNS0_7maximumIfEEfEEEvT_T0_DpT1_.num_agpr, 0
	.set _ZN2at6native12_GLOBAL__N_125multi_tensor_apply_kernelINS1_18TensorListMetadataILi1EEENS1_21BinaryOpScalarFunctorIN3c108BFloat16ELi1ELi1ELi0EEEJNS0_7maximumIfEEfEEEvT_T0_DpT1_.numbered_sgpr, 30
	.set _ZN2at6native12_GLOBAL__N_125multi_tensor_apply_kernelINS1_18TensorListMetadataILi1EEENS1_21BinaryOpScalarFunctorIN3c108BFloat16ELi1ELi1ELi0EEEJNS0_7maximumIfEEfEEEvT_T0_DpT1_.num_named_barrier, 0
	.set _ZN2at6native12_GLOBAL__N_125multi_tensor_apply_kernelINS1_18TensorListMetadataILi1EEENS1_21BinaryOpScalarFunctorIN3c108BFloat16ELi1ELi1ELi0EEEJNS0_7maximumIfEEfEEEvT_T0_DpT1_.private_seg_size, 0
	.set _ZN2at6native12_GLOBAL__N_125multi_tensor_apply_kernelINS1_18TensorListMetadataILi1EEENS1_21BinaryOpScalarFunctorIN3c108BFloat16ELi1ELi1ELi0EEEJNS0_7maximumIfEEfEEEvT_T0_DpT1_.uses_vcc, 1
	.set _ZN2at6native12_GLOBAL__N_125multi_tensor_apply_kernelINS1_18TensorListMetadataILi1EEENS1_21BinaryOpScalarFunctorIN3c108BFloat16ELi1ELi1ELi0EEEJNS0_7maximumIfEEfEEEvT_T0_DpT1_.uses_flat_scratch, 0
	.set _ZN2at6native12_GLOBAL__N_125multi_tensor_apply_kernelINS1_18TensorListMetadataILi1EEENS1_21BinaryOpScalarFunctorIN3c108BFloat16ELi1ELi1ELi0EEEJNS0_7maximumIfEEfEEEvT_T0_DpT1_.has_dyn_sized_stack, 0
	.set _ZN2at6native12_GLOBAL__N_125multi_tensor_apply_kernelINS1_18TensorListMetadataILi1EEENS1_21BinaryOpScalarFunctorIN3c108BFloat16ELi1ELi1ELi0EEEJNS0_7maximumIfEEfEEEvT_T0_DpT1_.has_recursion, 0
	.set _ZN2at6native12_GLOBAL__N_125multi_tensor_apply_kernelINS1_18TensorListMetadataILi1EEENS1_21BinaryOpScalarFunctorIN3c108BFloat16ELi1ELi1ELi0EEEJNS0_7maximumIfEEfEEEvT_T0_DpT1_.has_indirect_call, 0
	.section	.AMDGPU.csdata,"",@progbits
; Kernel info:
; codeLenInByte = 1448
; TotalNumSgprs: 36
; NumVgprs: 24
; NumAgprs: 0
; TotalNumVgprs: 24
; ScratchSize: 0
; MemoryBound: 0
; FloatMode: 240
; IeeeMode: 1
; LDSByteSize: 0 bytes/workgroup (compile time only)
; SGPRBlocks: 4
; VGPRBlocks: 2
; NumSGPRsForWavesPerEU: 36
; NumVGPRsForWavesPerEU: 24
; AccumOffset: 24
; Occupancy: 8
; WaveLimiterHint : 0
; COMPUTE_PGM_RSRC2:SCRATCH_EN: 0
; COMPUTE_PGM_RSRC2:USER_SGPR: 2
; COMPUTE_PGM_RSRC2:TRAP_HANDLER: 0
; COMPUTE_PGM_RSRC2:TGID_X_EN: 1
; COMPUTE_PGM_RSRC2:TGID_Y_EN: 0
; COMPUTE_PGM_RSRC2:TGID_Z_EN: 0
; COMPUTE_PGM_RSRC2:TIDIG_COMP_CNT: 0
; COMPUTE_PGM_RSRC3_GFX90A:ACCUM_OFFSET: 5
; COMPUTE_PGM_RSRC3_GFX90A:TG_SPLIT: 0
	.section	.text._ZN2at6native12_GLOBAL__N_125multi_tensor_apply_kernelINS1_18TensorListMetadataILi2EEENS1_21BinaryOpScalarFunctorIhLi2ELi1ELi1EEEJNS0_7maximumIhEEhEEEvT_T0_DpT1_,"axG",@progbits,_ZN2at6native12_GLOBAL__N_125multi_tensor_apply_kernelINS1_18TensorListMetadataILi2EEENS1_21BinaryOpScalarFunctorIhLi2ELi1ELi1EEEJNS0_7maximumIhEEhEEEvT_T0_DpT1_,comdat
	.globl	_ZN2at6native12_GLOBAL__N_125multi_tensor_apply_kernelINS1_18TensorListMetadataILi2EEENS1_21BinaryOpScalarFunctorIhLi2ELi1ELi1EEEJNS0_7maximumIhEEhEEEvT_T0_DpT1_ ; -- Begin function _ZN2at6native12_GLOBAL__N_125multi_tensor_apply_kernelINS1_18TensorListMetadataILi2EEENS1_21BinaryOpScalarFunctorIhLi2ELi1ELi1EEEJNS0_7maximumIhEEhEEEvT_T0_DpT1_
	.p2align	8
	.type	_ZN2at6native12_GLOBAL__N_125multi_tensor_apply_kernelINS1_18TensorListMetadataILi2EEENS1_21BinaryOpScalarFunctorIhLi2ELi1ELi1EEEJNS0_7maximumIhEEhEEEvT_T0_DpT1_,@function
_ZN2at6native12_GLOBAL__N_125multi_tensor_apply_kernelINS1_18TensorListMetadataILi2EEENS1_21BinaryOpScalarFunctorIhLi2ELi1ELi1EEEJNS0_7maximumIhEEhEEEvT_T0_DpT1_: ; @_ZN2at6native12_GLOBAL__N_125multi_tensor_apply_kernelINS1_18TensorListMetadataILi2EEENS1_21BinaryOpScalarFunctorIhLi2ELi1ELi1EEEJNS0_7maximumIhEEhEEEvT_T0_DpT1_
; %bb.0:
	v_mov_b32_e32 v1, s2
	global_load_ubyte v1, v1, s[0:1] offset:1536
	s_load_dword s3, s[0:1], 0xc48
	s_mul_hi_u32 s4, s2, 3
	s_mul_i32 s5, s2, 3
	s_waitcnt lgkmcnt(0)
	s_lshr_b32 s22, s3, 16
	s_add_u32 s2, s0, s2
	s_addc_u32 s3, s1, 0
	s_add_u32 s2, s2, s5
	s_addc_u32 s3, s3, s4
	s_load_dword s2, s[2:3], 0x740
	s_waitcnt vmcnt(0)
	v_readfirstlane_b32 s3, v1
	s_lshl_b32 s6, s3, 3
	s_load_dwordx2 s[8:9], s[0:1], s6 offset:0x0
	s_load_dwordx2 s[4:5], s[0:1], s6 offset:0x400
	;; [unrolled: 1-line block ×3, first 2 shown]
	s_waitcnt lgkmcnt(0)
	s_ashr_i32 s3, s2, 31
	s_lshl_b64 s[12:13], s[2:3], 16
	s_add_u32 s2, s8, s12
	s_sub_u32 s14, s4, s12
	s_subb_u32 s15, s5, s13
	s_or_b32 s3, s4, s10
	s_or_b32 s2, s3, s2
	s_and_b32 s2, s2, 3
	s_cmp_eq_u32 s2, 0
	s_mov_b64 s[2:3], -1
	s_cbranch_scc1 .LBB134_21
; %bb.1:
	v_cmp_lt_i64_e64 s[2:3], s[14:15], 1
	s_and_b64 vcc, exec, s[2:3]
	s_cbranch_vccnz .LBB134_20
; %bb.2:
	s_load_dword s2, s[0:1], 0xc5c
	v_mov_b64_e32 v[2:3], 0x10000
	v_cmp_lt_i64_e32 vcc, s[14:15], v[2:3]
	s_and_b64 s[4:5], vcc, exec
	s_cselect_b32 s5, s15, 0
	s_cselect_b32 s4, s14, 0x10000
	s_waitcnt lgkmcnt(0)
	s_and_b32 s2, s2, 0xffff
	v_cmp_lt_u64_e32 vcc, s[14:15], v[2:3]
	s_and_b64 s[6:7], vcc, exec
	s_cselect_b32 s17, s15, 0
	s_cselect_b32 s16, s14, 0x10000
	s_lshl_b32 s6, s2, 1
	s_mul_i32 s18, s2, 3
	s_lshl_b32 s23, s2, 2
	s_mov_b32 s3, 0
	s_add_u32 s20, s12, s18
	v_mov_b32_e32 v1, 0
	s_mov_b32 s19, s3
	s_addc_u32 s21, s13, 0
	v_lshl_add_u64 v[10:11], s[18:19], 0, v[0:1]
	s_add_u32 s18, s12, s6
	v_lshl_add_u64 v[18:19], s[12:13], 0, v[0:1]
	s_addc_u32 s19, s13, 0
	s_mov_b32 s7, s3
	v_lshl_add_u64 v[8:9], s[20:21], 0, v[0:1]
	v_lshl_add_u64 v[14:15], s[18:19], 0, v[0:1]
	;; [unrolled: 1-line block ×13, first 2 shown]
	s_mov_b64 s[18:19], 0
	v_mov_b64_e32 v[24:25], s[4:5]
	s_and_b32 s24, s22, 0xff
	s_branch .LBB134_4
.LBB134_3:                              ;   in Loop: Header=BB134_4 Depth=1
	s_or_b64 exec, exec, s[2:3]
	s_add_u32 s18, s18, s23
	s_addc_u32 s19, s19, 0
	v_cmp_lt_i64_e32 vcc, s[18:19], v[24:25]
	s_cbranch_vccz .LBB134_20
.LBB134_4:                              ; =>This Inner Loop Header: Depth=1
	v_lshl_add_u64 v[26:27], v[0:1], 0, s[18:19]
	v_cmp_gt_u64_e32 vcc, s[16:17], v[26:27]
	v_mov_b32_e32 v26, s22
	s_and_saveexec_b64 s[2:3], vcc
	s_cbranch_execz .LBB134_6
; %bb.5:                                ;   in Loop: Header=BB134_4 Depth=1
	v_lshl_add_u64 v[26:27], v[2:3], 0, s[18:19]
	global_load_ubyte v26, v[26:27], off
	s_waitcnt vmcnt(0)
	v_max_u16_e32 v26, s24, v26
.LBB134_6:                              ;   in Loop: Header=BB134_4 Depth=1
	s_or_b64 exec, exec, s[2:3]
	v_lshl_add_u64 v[28:29], v[22:23], 0, s[18:19]
	v_cmp_gt_u64_e64 s[2:3], s[16:17], v[28:29]
	v_mov_b32_e32 v27, s22
	s_and_saveexec_b64 s[4:5], s[2:3]
	s_cbranch_execz .LBB134_8
; %bb.7:                                ;   in Loop: Header=BB134_4 Depth=1
	v_lshl_add_u64 v[28:29], v[18:19], 0, s[18:19]
	global_load_ubyte v27, v[28:29], off
	s_waitcnt vmcnt(0)
	v_max_u16_e32 v27, s24, v27
.LBB134_8:                              ;   in Loop: Header=BB134_4 Depth=1
	s_or_b64 exec, exec, s[4:5]
	v_lshl_add_u64 v[28:29], v[16:17], 0, s[18:19]
	v_cmp_gt_u64_e64 s[4:5], s[16:17], v[28:29]
	v_mov_b32_e32 v28, s22
	s_and_saveexec_b64 s[6:7], s[4:5]
	s_cbranch_execz .LBB134_10
; %bb.9:                                ;   in Loop: Header=BB134_4 Depth=1
	v_lshl_add_u64 v[28:29], v[12:13], 0, s[18:19]
	global_load_ubyte v28, v[28:29], off
	s_waitcnt vmcnt(0)
	v_max_u16_e32 v28, s24, v28
.LBB134_10:                             ;   in Loop: Header=BB134_4 Depth=1
	s_or_b64 exec, exec, s[6:7]
	v_lshl_add_u64 v[30:31], v[10:11], 0, s[18:19]
	v_cmp_gt_u64_e64 s[6:7], s[16:17], v[30:31]
	v_mov_b32_e32 v29, s22
	s_and_saveexec_b64 s[20:21], s[6:7]
	s_cbranch_execnz .LBB134_15
; %bb.11:                               ;   in Loop: Header=BB134_4 Depth=1
	s_or_b64 exec, exec, s[20:21]
	s_and_saveexec_b64 s[20:21], vcc
	s_cbranch_execnz .LBB134_16
.LBB134_12:                             ;   in Loop: Header=BB134_4 Depth=1
	s_or_b64 exec, exec, s[20:21]
	s_and_saveexec_b64 s[20:21], s[2:3]
	s_cbranch_execnz .LBB134_17
.LBB134_13:                             ;   in Loop: Header=BB134_4 Depth=1
	s_or_b64 exec, exec, s[20:21]
	s_and_saveexec_b64 s[2:3], s[4:5]
	s_cbranch_execnz .LBB134_18
.LBB134_14:                             ;   in Loop: Header=BB134_4 Depth=1
	s_or_b64 exec, exec, s[2:3]
	s_and_saveexec_b64 s[2:3], s[6:7]
	s_cbranch_execz .LBB134_3
	s_branch .LBB134_19
.LBB134_15:                             ;   in Loop: Header=BB134_4 Depth=1
	v_lshl_add_u64 v[30:31], v[6:7], 0, s[18:19]
	global_load_ubyte v29, v[30:31], off
	s_waitcnt vmcnt(0)
	v_max_u16_e32 v29, s24, v29
	s_or_b64 exec, exec, s[20:21]
	s_and_saveexec_b64 s[20:21], vcc
	s_cbranch_execz .LBB134_12
.LBB134_16:                             ;   in Loop: Header=BB134_4 Depth=1
	v_lshl_add_u64 v[30:31], v[4:5], 0, s[18:19]
	global_store_byte v[30:31], v26, off
	s_or_b64 exec, exec, s[20:21]
	s_and_saveexec_b64 s[20:21], s[2:3]
	s_cbranch_execz .LBB134_13
.LBB134_17:                             ;   in Loop: Header=BB134_4 Depth=1
	v_lshl_add_u64 v[30:31], v[20:21], 0, s[18:19]
	global_store_byte v[30:31], v27, off
	s_or_b64 exec, exec, s[20:21]
	s_and_saveexec_b64 s[2:3], s[4:5]
	s_cbranch_execz .LBB134_14
.LBB134_18:                             ;   in Loop: Header=BB134_4 Depth=1
	v_lshl_add_u64 v[26:27], v[14:15], 0, s[18:19]
	global_store_byte v[26:27], v28, off
	s_or_b64 exec, exec, s[2:3]
	s_and_saveexec_b64 s[2:3], s[6:7]
	s_cbranch_execz .LBB134_3
.LBB134_19:                             ;   in Loop: Header=BB134_4 Depth=1
	v_lshl_add_u64 v[26:27], v[8:9], 0, s[18:19]
	global_store_byte v[26:27], v29, off
	s_branch .LBB134_3
.LBB134_20:
	s_mov_b64 s[2:3], 0
.LBB134_21:
	s_andn2_b64 vcc, exec, s[2:3]
	s_cbranch_vccnz .LBB134_25
; %bb.22:
	v_mov_b64_e32 v[4:5], 0x10000
	v_cmp_lt_i64_e32 vcc, s[14:15], v[4:5]
	s_and_b64 s[4:5], vcc, exec
	v_mov_b32_e32 v3, 0
	s_cselect_b32 s5, s15, 0
	s_cselect_b32 s4, s14, 0x10000
	v_lshlrev_b32_e32 v2, 2, v0
	s_mov_b32 s3, 0
	v_cmp_gt_i64_e32 vcc, s[4:5], v[2:3]
	s_and_saveexec_b64 s[6:7], vcc
	s_cbranch_execz .LBB134_25
; %bb.23:
	s_load_dword s0, s[0:1], 0xc5c
	v_mov_b32_e32 v1, v3
	v_lshl_add_u64 v[2:3], s[12:13], 0, v[2:3]
	s_mov_b32 s1, s3
	s_mov_b64 s[6:7], 0
	s_waitcnt lgkmcnt(0)
	s_and_b32 s2, s0, 0xffff
	s_lshl_b32 s0, s2, 2
	s_movk_i32 s12, 0xff
	s_and_b32 s13, s22, 0xff
.LBB134_24:                             ; =>This Inner Loop Header: Depth=1
	v_lshl_add_u64 v[4:5], s[8:9], 0, v[2:3]
	global_load_dword v8, v[4:5], off
	v_lshl_add_u64 v[0:1], v[0:1], 0, s[2:3]
	v_lshlrev_b64 v[6:7], 2, v[0:1]
	v_cmp_le_i64_e32 vcc, s[4:5], v[6:7]
	v_lshl_add_u64 v[4:5], s[10:11], 0, v[2:3]
	v_lshl_add_u64 v[2:3], v[2:3], 0, s[0:1]
	s_or_b64 s[6:7], vcc, s[6:7]
	s_waitcnt vmcnt(0)
	v_lshrrev_b32_e32 v7, 8, v8
	v_and_b32_sdwa v9, v8, s12 dst_sel:DWORD dst_unused:UNUSED_PAD src0_sel:WORD_1 src1_sel:DWORD
	v_max_u16_sdwa v6, v8, s13 dst_sel:DWORD dst_unused:UNUSED_PAD src0_sel:BYTE_0 src1_sel:DWORD
	v_max_u16_sdwa v8, v8, s13 dst_sel:BYTE_1 dst_unused:UNUSED_PAD src0_sel:BYTE_3 src1_sel:DWORD
	v_max_u16_sdwa v7, v7, s13 dst_sel:BYTE_1 dst_unused:UNUSED_PAD src0_sel:BYTE_0 src1_sel:DWORD
	v_max_u16_e32 v9, s13, v9
	v_or_b32_e32 v6, v6, v7
	v_or_b32_sdwa v7, v9, v8 dst_sel:WORD_1 dst_unused:UNUSED_PAD src0_sel:DWORD src1_sel:DWORD
	s_nop 0
	v_or_b32_sdwa v6, v6, v7 dst_sel:DWORD dst_unused:UNUSED_PAD src0_sel:WORD_0 src1_sel:DWORD
	global_store_dword v[4:5], v6, off
	s_andn2_b64 exec, exec, s[6:7]
	s_cbranch_execnz .LBB134_24
.LBB134_25:
	s_endpgm
	.section	.rodata,"a",@progbits
	.p2align	6, 0x0
	.amdhsa_kernel _ZN2at6native12_GLOBAL__N_125multi_tensor_apply_kernelINS1_18TensorListMetadataILi2EEENS1_21BinaryOpScalarFunctorIhLi2ELi1ELi1EEEJNS0_7maximumIhEEhEEEvT_T0_DpT1_
		.amdhsa_group_segment_fixed_size 0
		.amdhsa_private_segment_fixed_size 0
		.amdhsa_kernarg_size 3408
		.amdhsa_user_sgpr_count 2
		.amdhsa_user_sgpr_dispatch_ptr 0
		.amdhsa_user_sgpr_queue_ptr 0
		.amdhsa_user_sgpr_kernarg_segment_ptr 1
		.amdhsa_user_sgpr_dispatch_id 0
		.amdhsa_user_sgpr_kernarg_preload_length 0
		.amdhsa_user_sgpr_kernarg_preload_offset 0
		.amdhsa_user_sgpr_private_segment_size 0
		.amdhsa_uses_dynamic_stack 0
		.amdhsa_enable_private_segment 0
		.amdhsa_system_sgpr_workgroup_id_x 1
		.amdhsa_system_sgpr_workgroup_id_y 0
		.amdhsa_system_sgpr_workgroup_id_z 0
		.amdhsa_system_sgpr_workgroup_info 0
		.amdhsa_system_vgpr_workitem_id 0
		.amdhsa_next_free_vgpr 32
		.amdhsa_next_free_sgpr 25
		.amdhsa_accum_offset 32
		.amdhsa_reserve_vcc 1
		.amdhsa_float_round_mode_32 0
		.amdhsa_float_round_mode_16_64 0
		.amdhsa_float_denorm_mode_32 3
		.amdhsa_float_denorm_mode_16_64 3
		.amdhsa_dx10_clamp 1
		.amdhsa_ieee_mode 1
		.amdhsa_fp16_overflow 0
		.amdhsa_tg_split 0
		.amdhsa_exception_fp_ieee_invalid_op 0
		.amdhsa_exception_fp_denorm_src 0
		.amdhsa_exception_fp_ieee_div_zero 0
		.amdhsa_exception_fp_ieee_overflow 0
		.amdhsa_exception_fp_ieee_underflow 0
		.amdhsa_exception_fp_ieee_inexact 0
		.amdhsa_exception_int_div_zero 0
	.end_amdhsa_kernel
	.section	.text._ZN2at6native12_GLOBAL__N_125multi_tensor_apply_kernelINS1_18TensorListMetadataILi2EEENS1_21BinaryOpScalarFunctorIhLi2ELi1ELi1EEEJNS0_7maximumIhEEhEEEvT_T0_DpT1_,"axG",@progbits,_ZN2at6native12_GLOBAL__N_125multi_tensor_apply_kernelINS1_18TensorListMetadataILi2EEENS1_21BinaryOpScalarFunctorIhLi2ELi1ELi1EEEJNS0_7maximumIhEEhEEEvT_T0_DpT1_,comdat
.Lfunc_end134:
	.size	_ZN2at6native12_GLOBAL__N_125multi_tensor_apply_kernelINS1_18TensorListMetadataILi2EEENS1_21BinaryOpScalarFunctorIhLi2ELi1ELi1EEEJNS0_7maximumIhEEhEEEvT_T0_DpT1_, .Lfunc_end134-_ZN2at6native12_GLOBAL__N_125multi_tensor_apply_kernelINS1_18TensorListMetadataILi2EEENS1_21BinaryOpScalarFunctorIhLi2ELi1ELi1EEEJNS0_7maximumIhEEhEEEvT_T0_DpT1_
                                        ; -- End function
	.set _ZN2at6native12_GLOBAL__N_125multi_tensor_apply_kernelINS1_18TensorListMetadataILi2EEENS1_21BinaryOpScalarFunctorIhLi2ELi1ELi1EEEJNS0_7maximumIhEEhEEEvT_T0_DpT1_.num_vgpr, 32
	.set _ZN2at6native12_GLOBAL__N_125multi_tensor_apply_kernelINS1_18TensorListMetadataILi2EEENS1_21BinaryOpScalarFunctorIhLi2ELi1ELi1EEEJNS0_7maximumIhEEhEEEvT_T0_DpT1_.num_agpr, 0
	.set _ZN2at6native12_GLOBAL__N_125multi_tensor_apply_kernelINS1_18TensorListMetadataILi2EEENS1_21BinaryOpScalarFunctorIhLi2ELi1ELi1EEEJNS0_7maximumIhEEhEEEvT_T0_DpT1_.numbered_sgpr, 25
	.set _ZN2at6native12_GLOBAL__N_125multi_tensor_apply_kernelINS1_18TensorListMetadataILi2EEENS1_21BinaryOpScalarFunctorIhLi2ELi1ELi1EEEJNS0_7maximumIhEEhEEEvT_T0_DpT1_.num_named_barrier, 0
	.set _ZN2at6native12_GLOBAL__N_125multi_tensor_apply_kernelINS1_18TensorListMetadataILi2EEENS1_21BinaryOpScalarFunctorIhLi2ELi1ELi1EEEJNS0_7maximumIhEEhEEEvT_T0_DpT1_.private_seg_size, 0
	.set _ZN2at6native12_GLOBAL__N_125multi_tensor_apply_kernelINS1_18TensorListMetadataILi2EEENS1_21BinaryOpScalarFunctorIhLi2ELi1ELi1EEEJNS0_7maximumIhEEhEEEvT_T0_DpT1_.uses_vcc, 1
	.set _ZN2at6native12_GLOBAL__N_125multi_tensor_apply_kernelINS1_18TensorListMetadataILi2EEENS1_21BinaryOpScalarFunctorIhLi2ELi1ELi1EEEJNS0_7maximumIhEEhEEEvT_T0_DpT1_.uses_flat_scratch, 0
	.set _ZN2at6native12_GLOBAL__N_125multi_tensor_apply_kernelINS1_18TensorListMetadataILi2EEENS1_21BinaryOpScalarFunctorIhLi2ELi1ELi1EEEJNS0_7maximumIhEEhEEEvT_T0_DpT1_.has_dyn_sized_stack, 0
	.set _ZN2at6native12_GLOBAL__N_125multi_tensor_apply_kernelINS1_18TensorListMetadataILi2EEENS1_21BinaryOpScalarFunctorIhLi2ELi1ELi1EEEJNS0_7maximumIhEEhEEEvT_T0_DpT1_.has_recursion, 0
	.set _ZN2at6native12_GLOBAL__N_125multi_tensor_apply_kernelINS1_18TensorListMetadataILi2EEENS1_21BinaryOpScalarFunctorIhLi2ELi1ELi1EEEJNS0_7maximumIhEEhEEEvT_T0_DpT1_.has_indirect_call, 0
	.section	.AMDGPU.csdata,"",@progbits
; Kernel info:
; codeLenInByte = 1080
; TotalNumSgprs: 31
; NumVgprs: 32
; NumAgprs: 0
; TotalNumVgprs: 32
; ScratchSize: 0
; MemoryBound: 0
; FloatMode: 240
; IeeeMode: 1
; LDSByteSize: 0 bytes/workgroup (compile time only)
; SGPRBlocks: 3
; VGPRBlocks: 3
; NumSGPRsForWavesPerEU: 31
; NumVGPRsForWavesPerEU: 32
; AccumOffset: 32
; Occupancy: 8
; WaveLimiterHint : 0
; COMPUTE_PGM_RSRC2:SCRATCH_EN: 0
; COMPUTE_PGM_RSRC2:USER_SGPR: 2
; COMPUTE_PGM_RSRC2:TRAP_HANDLER: 0
; COMPUTE_PGM_RSRC2:TGID_X_EN: 1
; COMPUTE_PGM_RSRC2:TGID_Y_EN: 0
; COMPUTE_PGM_RSRC2:TGID_Z_EN: 0
; COMPUTE_PGM_RSRC2:TIDIG_COMP_CNT: 0
; COMPUTE_PGM_RSRC3_GFX90A:ACCUM_OFFSET: 7
; COMPUTE_PGM_RSRC3_GFX90A:TG_SPLIT: 0
	.section	.text._ZN2at6native12_GLOBAL__N_125multi_tensor_apply_kernelINS1_18TensorListMetadataILi2EEENS1_21BinaryOpScalarFunctorIaLi2ELi1ELi1EEEJNS0_7maximumIaEEaEEEvT_T0_DpT1_,"axG",@progbits,_ZN2at6native12_GLOBAL__N_125multi_tensor_apply_kernelINS1_18TensorListMetadataILi2EEENS1_21BinaryOpScalarFunctorIaLi2ELi1ELi1EEEJNS0_7maximumIaEEaEEEvT_T0_DpT1_,comdat
	.globl	_ZN2at6native12_GLOBAL__N_125multi_tensor_apply_kernelINS1_18TensorListMetadataILi2EEENS1_21BinaryOpScalarFunctorIaLi2ELi1ELi1EEEJNS0_7maximumIaEEaEEEvT_T0_DpT1_ ; -- Begin function _ZN2at6native12_GLOBAL__N_125multi_tensor_apply_kernelINS1_18TensorListMetadataILi2EEENS1_21BinaryOpScalarFunctorIaLi2ELi1ELi1EEEJNS0_7maximumIaEEaEEEvT_T0_DpT1_
	.p2align	8
	.type	_ZN2at6native12_GLOBAL__N_125multi_tensor_apply_kernelINS1_18TensorListMetadataILi2EEENS1_21BinaryOpScalarFunctorIaLi2ELi1ELi1EEEJNS0_7maximumIaEEaEEEvT_T0_DpT1_,@function
_ZN2at6native12_GLOBAL__N_125multi_tensor_apply_kernelINS1_18TensorListMetadataILi2EEENS1_21BinaryOpScalarFunctorIaLi2ELi1ELi1EEEJNS0_7maximumIaEEaEEEvT_T0_DpT1_: ; @_ZN2at6native12_GLOBAL__N_125multi_tensor_apply_kernelINS1_18TensorListMetadataILi2EEENS1_21BinaryOpScalarFunctorIaLi2ELi1ELi1EEEJNS0_7maximumIaEEaEEEvT_T0_DpT1_
; %bb.0:
	v_mov_b32_e32 v1, s2
	global_load_ubyte v1, v1, s[0:1] offset:1536
	s_load_dword s3, s[0:1], 0xc48
	s_mul_hi_u32 s4, s2, 3
	s_mul_i32 s5, s2, 3
	s_waitcnt lgkmcnt(0)
	s_lshr_b32 s22, s3, 16
	s_add_u32 s2, s0, s2
	s_addc_u32 s3, s1, 0
	s_add_u32 s2, s2, s5
	s_addc_u32 s3, s3, s4
	s_load_dword s2, s[2:3], 0x740
	s_waitcnt vmcnt(0)
	v_readfirstlane_b32 s3, v1
	s_lshl_b32 s6, s3, 3
	s_load_dwordx2 s[8:9], s[0:1], s6 offset:0x0
	s_load_dwordx2 s[4:5], s[0:1], s6 offset:0x400
	;; [unrolled: 1-line block ×3, first 2 shown]
	s_waitcnt lgkmcnt(0)
	s_ashr_i32 s3, s2, 31
	s_lshl_b64 s[12:13], s[2:3], 16
	s_add_u32 s2, s8, s12
	s_sub_u32 s14, s4, s12
	s_subb_u32 s15, s5, s13
	s_or_b32 s3, s4, s10
	s_or_b32 s2, s3, s2
	s_and_b32 s2, s2, 3
	s_cmp_eq_u32 s2, 0
	s_mov_b64 s[2:3], -1
	s_cbranch_scc1 .LBB135_21
; %bb.1:
	v_cmp_lt_i64_e64 s[2:3], s[14:15], 1
	s_and_b64 vcc, exec, s[2:3]
	s_cbranch_vccnz .LBB135_20
; %bb.2:
	s_load_dword s2, s[0:1], 0xc5c
	v_mov_b64_e32 v[2:3], 0x10000
	v_cmp_lt_i64_e32 vcc, s[14:15], v[2:3]
	s_and_b64 s[4:5], vcc, exec
	s_cselect_b32 s5, s15, 0
	s_cselect_b32 s4, s14, 0x10000
	s_waitcnt lgkmcnt(0)
	s_and_b32 s2, s2, 0xffff
	v_cmp_lt_u64_e32 vcc, s[14:15], v[2:3]
	s_and_b64 s[6:7], vcc, exec
	s_cselect_b32 s17, s15, 0
	s_cselect_b32 s16, s14, 0x10000
	s_lshl_b32 s6, s2, 1
	s_mul_i32 s18, s2, 3
	s_lshl_b32 s23, s2, 2
	s_mov_b32 s3, 0
	s_add_u32 s20, s12, s18
	v_mov_b32_e32 v1, 0
	s_mov_b32 s19, s3
	s_addc_u32 s21, s13, 0
	v_lshl_add_u64 v[10:11], s[18:19], 0, v[0:1]
	s_add_u32 s18, s12, s6
	v_lshl_add_u64 v[18:19], s[12:13], 0, v[0:1]
	s_addc_u32 s19, s13, 0
	s_mov_b32 s7, s3
	v_lshl_add_u64 v[8:9], s[20:21], 0, v[0:1]
	v_lshl_add_u64 v[14:15], s[18:19], 0, v[0:1]
	;; [unrolled: 1-line block ×13, first 2 shown]
	s_mov_b64 s[18:19], 0
	s_bfe_i32 s24, s22, 0x80000
	v_mov_b64_e32 v[24:25], s[4:5]
	s_branch .LBB135_4
.LBB135_3:                              ;   in Loop: Header=BB135_4 Depth=1
	s_or_b64 exec, exec, s[2:3]
	s_add_u32 s18, s18, s23
	s_addc_u32 s19, s19, 0
	v_cmp_lt_i64_e32 vcc, s[18:19], v[24:25]
	s_cbranch_vccz .LBB135_20
.LBB135_4:                              ; =>This Inner Loop Header: Depth=1
	s_waitcnt vmcnt(0)
	v_lshl_add_u64 v[26:27], v[0:1], 0, s[18:19]
	v_cmp_gt_u64_e32 vcc, s[16:17], v[26:27]
	v_mov_b32_e32 v27, 0
	s_and_saveexec_b64 s[2:3], vcc
	s_cbranch_execz .LBB135_6
; %bb.5:                                ;   in Loop: Header=BB135_4 Depth=1
	v_lshl_add_u64 v[26:27], v[2:3], 0, s[18:19]
	global_load_ubyte v27, v[26:27], off
.LBB135_6:                              ;   in Loop: Header=BB135_4 Depth=1
	s_or_b64 exec, exec, s[2:3]
	v_lshl_add_u64 v[28:29], v[22:23], 0, s[18:19]
	v_cmp_gt_u64_e64 s[2:3], s[16:17], v[28:29]
	v_mov_b32_e32 v26, 0
	v_mov_b32_e32 v28, 0
	s_and_saveexec_b64 s[4:5], s[2:3]
	s_cbranch_execz .LBB135_8
; %bb.7:                                ;   in Loop: Header=BB135_4 Depth=1
	v_lshl_add_u64 v[28:29], v[18:19], 0, s[18:19]
	global_load_ubyte v28, v[28:29], off
.LBB135_8:                              ;   in Loop: Header=BB135_4 Depth=1
	s_or_b64 exec, exec, s[4:5]
	v_lshl_add_u64 v[30:31], v[16:17], 0, s[18:19]
	v_cmp_gt_u64_e64 s[4:5], s[16:17], v[30:31]
	s_and_saveexec_b64 s[6:7], s[4:5]
	s_cbranch_execz .LBB135_10
; %bb.9:                                ;   in Loop: Header=BB135_4 Depth=1
	v_lshl_add_u64 v[30:31], v[12:13], 0, s[18:19]
	global_load_ubyte v26, v[30:31], off
.LBB135_10:                             ;   in Loop: Header=BB135_4 Depth=1
	s_or_b64 exec, exec, s[6:7]
	v_lshl_add_u64 v[30:31], v[10:11], 0, s[18:19]
	v_cmp_gt_u64_e64 s[6:7], s[16:17], v[30:31]
	v_mov_b32_e32 v29, 0
	s_and_saveexec_b64 s[20:21], s[6:7]
	s_cbranch_execnz .LBB135_15
; %bb.11:                               ;   in Loop: Header=BB135_4 Depth=1
	s_or_b64 exec, exec, s[20:21]
	s_and_saveexec_b64 s[20:21], vcc
	s_cbranch_execnz .LBB135_16
.LBB135_12:                             ;   in Loop: Header=BB135_4 Depth=1
	s_or_b64 exec, exec, s[20:21]
	s_and_saveexec_b64 s[20:21], s[2:3]
	s_cbranch_execnz .LBB135_17
.LBB135_13:                             ;   in Loop: Header=BB135_4 Depth=1
	s_or_b64 exec, exec, s[20:21]
	s_and_saveexec_b64 s[2:3], s[4:5]
	s_cbranch_execnz .LBB135_18
.LBB135_14:                             ;   in Loop: Header=BB135_4 Depth=1
	s_or_b64 exec, exec, s[2:3]
	s_and_saveexec_b64 s[2:3], s[6:7]
	s_cbranch_execz .LBB135_3
	s_branch .LBB135_19
.LBB135_15:                             ;   in Loop: Header=BB135_4 Depth=1
	v_lshl_add_u64 v[30:31], v[6:7], 0, s[18:19]
	global_load_ubyte v29, v[30:31], off
	s_or_b64 exec, exec, s[20:21]
	s_and_saveexec_b64 s[20:21], vcc
	s_cbranch_execz .LBB135_12
.LBB135_16:                             ;   in Loop: Header=BB135_4 Depth=1
	s_waitcnt vmcnt(0)
	v_max_i16_sdwa v27, sext(v27), s24 dst_sel:DWORD dst_unused:UNUSED_PAD src0_sel:BYTE_0 src1_sel:DWORD
	v_lshl_add_u64 v[30:31], v[4:5], 0, s[18:19]
	global_store_byte v[30:31], v27, off
	s_or_b64 exec, exec, s[20:21]
	s_and_saveexec_b64 s[20:21], s[2:3]
	s_cbranch_execz .LBB135_13
.LBB135_17:                             ;   in Loop: Header=BB135_4 Depth=1
	s_waitcnt vmcnt(0)
	v_max_i16_sdwa v27, sext(v28), s24 dst_sel:DWORD dst_unused:UNUSED_PAD src0_sel:BYTE_0 src1_sel:DWORD
	v_lshl_add_u64 v[30:31], v[20:21], 0, s[18:19]
	global_store_byte v[30:31], v27, off
	s_or_b64 exec, exec, s[20:21]
	s_and_saveexec_b64 s[2:3], s[4:5]
	s_cbranch_execz .LBB135_14
.LBB135_18:                             ;   in Loop: Header=BB135_4 Depth=1
	s_waitcnt vmcnt(0)
	v_max_i16_sdwa v28, sext(v26), s24 dst_sel:DWORD dst_unused:UNUSED_PAD src0_sel:BYTE_0 src1_sel:DWORD
	v_lshl_add_u64 v[26:27], v[14:15], 0, s[18:19]
	global_store_byte v[26:27], v28, off
	s_or_b64 exec, exec, s[2:3]
	s_and_saveexec_b64 s[2:3], s[6:7]
	s_cbranch_execz .LBB135_3
.LBB135_19:                             ;   in Loop: Header=BB135_4 Depth=1
	s_waitcnt vmcnt(0)
	v_max_i16_sdwa v28, sext(v29), s24 dst_sel:DWORD dst_unused:UNUSED_PAD src0_sel:BYTE_0 src1_sel:DWORD
	v_lshl_add_u64 v[26:27], v[8:9], 0, s[18:19]
	global_store_byte v[26:27], v28, off
	s_branch .LBB135_3
.LBB135_20:
	s_mov_b64 s[2:3], 0
.LBB135_21:
	s_andn2_b64 vcc, exec, s[2:3]
	s_cbranch_vccnz .LBB135_25
; %bb.22:
	v_mov_b64_e32 v[4:5], 0x10000
	v_cmp_lt_i64_e32 vcc, s[14:15], v[4:5]
	s_and_b64 s[4:5], vcc, exec
	v_mov_b32_e32 v3, 0
	s_cselect_b32 s5, s15, 0
	s_cselect_b32 s4, s14, 0x10000
	v_lshlrev_b32_e32 v2, 2, v0
	s_mov_b32 s3, 0
	v_cmp_gt_i64_e32 vcc, s[4:5], v[2:3]
	s_and_saveexec_b64 s[6:7], vcc
	s_cbranch_execz .LBB135_25
; %bb.23:
	s_load_dword s0, s[0:1], 0xc5c
	v_mov_b32_e32 v1, v3
	v_lshl_add_u64 v[2:3], s[12:13], 0, v[2:3]
	s_mov_b32 s1, s3
	s_mov_b64 s[6:7], 0
	s_waitcnt lgkmcnt(0)
	s_and_b32 s2, s0, 0xffff
	s_lshl_b32 s0, s2, 2
	s_bfe_i32 s12, s22, 0x80000
	s_movk_i32 s13, 0xff
.LBB135_24:                             ; =>This Inner Loop Header: Depth=1
	v_lshl_add_u64 v[4:5], s[8:9], 0, v[2:3]
	global_load_dword v8, v[4:5], off
	v_lshl_add_u64 v[0:1], v[0:1], 0, s[2:3]
	v_lshlrev_b64 v[6:7], 2, v[0:1]
	v_cmp_le_i64_e32 vcc, s[4:5], v[6:7]
	v_lshl_add_u64 v[4:5], s[10:11], 0, v[2:3]
	v_lshl_add_u64 v[2:3], v[2:3], 0, s[0:1]
	s_or_b64 s[6:7], vcc, s[6:7]
	s_waitcnt vmcnt(0)
	v_max_i16_sdwa v6, sext(v8), s12 dst_sel:DWORD dst_unused:UNUSED_PAD src0_sel:BYTE_0 src1_sel:DWORD
	v_lshrrev_b32_e32 v7, 8, v8
	v_lshrrev_b32_e32 v9, 16, v8
	;; [unrolled: 1-line block ×3, first 2 shown]
	v_max_i16_sdwa v7, sext(v7), s12 dst_sel:BYTE_1 dst_unused:UNUSED_PAD src0_sel:BYTE_0 src1_sel:DWORD
	v_max_i16_sdwa v9, sext(v9), s12 dst_sel:DWORD dst_unused:UNUSED_PAD src0_sel:BYTE_0 src1_sel:DWORD
	v_max_i16_sdwa v8, sext(v8), s12 dst_sel:BYTE_1 dst_unused:UNUSED_PAD src0_sel:BYTE_0 src1_sel:DWORD
	v_bitop3_b16 v6, v6, v7, s13 bitop3:0xec
	v_bitop3_b16 v7, v9, v8, s13 bitop3:0xec
	v_lshlrev_b32_e32 v7, 16, v7
	v_or_b32_sdwa v6, v6, v7 dst_sel:DWORD dst_unused:UNUSED_PAD src0_sel:WORD_0 src1_sel:DWORD
	global_store_dword v[4:5], v6, off
	s_andn2_b64 exec, exec, s[6:7]
	s_cbranch_execnz .LBB135_24
.LBB135_25:
	s_endpgm
	.section	.rodata,"a",@progbits
	.p2align	6, 0x0
	.amdhsa_kernel _ZN2at6native12_GLOBAL__N_125multi_tensor_apply_kernelINS1_18TensorListMetadataILi2EEENS1_21BinaryOpScalarFunctorIaLi2ELi1ELi1EEEJNS0_7maximumIaEEaEEEvT_T0_DpT1_
		.amdhsa_group_segment_fixed_size 0
		.amdhsa_private_segment_fixed_size 0
		.amdhsa_kernarg_size 3408
		.amdhsa_user_sgpr_count 2
		.amdhsa_user_sgpr_dispatch_ptr 0
		.amdhsa_user_sgpr_queue_ptr 0
		.amdhsa_user_sgpr_kernarg_segment_ptr 1
		.amdhsa_user_sgpr_dispatch_id 0
		.amdhsa_user_sgpr_kernarg_preload_length 0
		.amdhsa_user_sgpr_kernarg_preload_offset 0
		.amdhsa_user_sgpr_private_segment_size 0
		.amdhsa_uses_dynamic_stack 0
		.amdhsa_enable_private_segment 0
		.amdhsa_system_sgpr_workgroup_id_x 1
		.amdhsa_system_sgpr_workgroup_id_y 0
		.amdhsa_system_sgpr_workgroup_id_z 0
		.amdhsa_system_sgpr_workgroup_info 0
		.amdhsa_system_vgpr_workitem_id 0
		.amdhsa_next_free_vgpr 32
		.amdhsa_next_free_sgpr 25
		.amdhsa_accum_offset 32
		.amdhsa_reserve_vcc 1
		.amdhsa_float_round_mode_32 0
		.amdhsa_float_round_mode_16_64 0
		.amdhsa_float_denorm_mode_32 3
		.amdhsa_float_denorm_mode_16_64 3
		.amdhsa_dx10_clamp 1
		.amdhsa_ieee_mode 1
		.amdhsa_fp16_overflow 0
		.amdhsa_tg_split 0
		.amdhsa_exception_fp_ieee_invalid_op 0
		.amdhsa_exception_fp_denorm_src 0
		.amdhsa_exception_fp_ieee_div_zero 0
		.amdhsa_exception_fp_ieee_overflow 0
		.amdhsa_exception_fp_ieee_underflow 0
		.amdhsa_exception_fp_ieee_inexact 0
		.amdhsa_exception_int_div_zero 0
	.end_amdhsa_kernel
	.section	.text._ZN2at6native12_GLOBAL__N_125multi_tensor_apply_kernelINS1_18TensorListMetadataILi2EEENS1_21BinaryOpScalarFunctorIaLi2ELi1ELi1EEEJNS0_7maximumIaEEaEEEvT_T0_DpT1_,"axG",@progbits,_ZN2at6native12_GLOBAL__N_125multi_tensor_apply_kernelINS1_18TensorListMetadataILi2EEENS1_21BinaryOpScalarFunctorIaLi2ELi1ELi1EEEJNS0_7maximumIaEEaEEEvT_T0_DpT1_,comdat
.Lfunc_end135:
	.size	_ZN2at6native12_GLOBAL__N_125multi_tensor_apply_kernelINS1_18TensorListMetadataILi2EEENS1_21BinaryOpScalarFunctorIaLi2ELi1ELi1EEEJNS0_7maximumIaEEaEEEvT_T0_DpT1_, .Lfunc_end135-_ZN2at6native12_GLOBAL__N_125multi_tensor_apply_kernelINS1_18TensorListMetadataILi2EEENS1_21BinaryOpScalarFunctorIaLi2ELi1ELi1EEEJNS0_7maximumIaEEaEEEvT_T0_DpT1_
                                        ; -- End function
	.set _ZN2at6native12_GLOBAL__N_125multi_tensor_apply_kernelINS1_18TensorListMetadataILi2EEENS1_21BinaryOpScalarFunctorIaLi2ELi1ELi1EEEJNS0_7maximumIaEEaEEEvT_T0_DpT1_.num_vgpr, 32
	.set _ZN2at6native12_GLOBAL__N_125multi_tensor_apply_kernelINS1_18TensorListMetadataILi2EEENS1_21BinaryOpScalarFunctorIaLi2ELi1ELi1EEEJNS0_7maximumIaEEaEEEvT_T0_DpT1_.num_agpr, 0
	.set _ZN2at6native12_GLOBAL__N_125multi_tensor_apply_kernelINS1_18TensorListMetadataILi2EEENS1_21BinaryOpScalarFunctorIaLi2ELi1ELi1EEEJNS0_7maximumIaEEaEEEvT_T0_DpT1_.numbered_sgpr, 25
	.set _ZN2at6native12_GLOBAL__N_125multi_tensor_apply_kernelINS1_18TensorListMetadataILi2EEENS1_21BinaryOpScalarFunctorIaLi2ELi1ELi1EEEJNS0_7maximumIaEEaEEEvT_T0_DpT1_.num_named_barrier, 0
	.set _ZN2at6native12_GLOBAL__N_125multi_tensor_apply_kernelINS1_18TensorListMetadataILi2EEENS1_21BinaryOpScalarFunctorIaLi2ELi1ELi1EEEJNS0_7maximumIaEEaEEEvT_T0_DpT1_.private_seg_size, 0
	.set _ZN2at6native12_GLOBAL__N_125multi_tensor_apply_kernelINS1_18TensorListMetadataILi2EEENS1_21BinaryOpScalarFunctorIaLi2ELi1ELi1EEEJNS0_7maximumIaEEaEEEvT_T0_DpT1_.uses_vcc, 1
	.set _ZN2at6native12_GLOBAL__N_125multi_tensor_apply_kernelINS1_18TensorListMetadataILi2EEENS1_21BinaryOpScalarFunctorIaLi2ELi1ELi1EEEJNS0_7maximumIaEEaEEEvT_T0_DpT1_.uses_flat_scratch, 0
	.set _ZN2at6native12_GLOBAL__N_125multi_tensor_apply_kernelINS1_18TensorListMetadataILi2EEENS1_21BinaryOpScalarFunctorIaLi2ELi1ELi1EEEJNS0_7maximumIaEEaEEEvT_T0_DpT1_.has_dyn_sized_stack, 0
	.set _ZN2at6native12_GLOBAL__N_125multi_tensor_apply_kernelINS1_18TensorListMetadataILi2EEENS1_21BinaryOpScalarFunctorIaLi2ELi1ELi1EEEJNS0_7maximumIaEEaEEEvT_T0_DpT1_.has_recursion, 0
	.set _ZN2at6native12_GLOBAL__N_125multi_tensor_apply_kernelINS1_18TensorListMetadataILi2EEENS1_21BinaryOpScalarFunctorIaLi2ELi1ELi1EEEJNS0_7maximumIaEEaEEEvT_T0_DpT1_.has_indirect_call, 0
	.section	.AMDGPU.csdata,"",@progbits
; Kernel info:
; codeLenInByte = 1108
; TotalNumSgprs: 31
; NumVgprs: 32
; NumAgprs: 0
; TotalNumVgprs: 32
; ScratchSize: 0
; MemoryBound: 0
; FloatMode: 240
; IeeeMode: 1
; LDSByteSize: 0 bytes/workgroup (compile time only)
; SGPRBlocks: 3
; VGPRBlocks: 3
; NumSGPRsForWavesPerEU: 31
; NumVGPRsForWavesPerEU: 32
; AccumOffset: 32
; Occupancy: 8
; WaveLimiterHint : 0
; COMPUTE_PGM_RSRC2:SCRATCH_EN: 0
; COMPUTE_PGM_RSRC2:USER_SGPR: 2
; COMPUTE_PGM_RSRC2:TRAP_HANDLER: 0
; COMPUTE_PGM_RSRC2:TGID_X_EN: 1
; COMPUTE_PGM_RSRC2:TGID_Y_EN: 0
; COMPUTE_PGM_RSRC2:TGID_Z_EN: 0
; COMPUTE_PGM_RSRC2:TIDIG_COMP_CNT: 0
; COMPUTE_PGM_RSRC3_GFX90A:ACCUM_OFFSET: 7
; COMPUTE_PGM_RSRC3_GFX90A:TG_SPLIT: 0
	.section	.text._ZN2at6native12_GLOBAL__N_125multi_tensor_apply_kernelINS1_18TensorListMetadataILi2EEENS1_21BinaryOpScalarFunctorIiLi2ELi1ELi1EEEJNS0_7maximumIiEEiEEEvT_T0_DpT1_,"axG",@progbits,_ZN2at6native12_GLOBAL__N_125multi_tensor_apply_kernelINS1_18TensorListMetadataILi2EEENS1_21BinaryOpScalarFunctorIiLi2ELi1ELi1EEEJNS0_7maximumIiEEiEEEvT_T0_DpT1_,comdat
	.globl	_ZN2at6native12_GLOBAL__N_125multi_tensor_apply_kernelINS1_18TensorListMetadataILi2EEENS1_21BinaryOpScalarFunctorIiLi2ELi1ELi1EEEJNS0_7maximumIiEEiEEEvT_T0_DpT1_ ; -- Begin function _ZN2at6native12_GLOBAL__N_125multi_tensor_apply_kernelINS1_18TensorListMetadataILi2EEENS1_21BinaryOpScalarFunctorIiLi2ELi1ELi1EEEJNS0_7maximumIiEEiEEEvT_T0_DpT1_
	.p2align	8
	.type	_ZN2at6native12_GLOBAL__N_125multi_tensor_apply_kernelINS1_18TensorListMetadataILi2EEENS1_21BinaryOpScalarFunctorIiLi2ELi1ELi1EEEJNS0_7maximumIiEEiEEEvT_T0_DpT1_,@function
_ZN2at6native12_GLOBAL__N_125multi_tensor_apply_kernelINS1_18TensorListMetadataILi2EEENS1_21BinaryOpScalarFunctorIiLi2ELi1ELi1EEEJNS0_7maximumIiEEiEEEvT_T0_DpT1_: ; @_ZN2at6native12_GLOBAL__N_125multi_tensor_apply_kernelINS1_18TensorListMetadataILi2EEENS1_21BinaryOpScalarFunctorIiLi2ELi1ELi1EEEJNS0_7maximumIiEEiEEEvT_T0_DpT1_
; %bb.0:
	v_mov_b32_e32 v1, s2
	global_load_ubyte v1, v1, s[0:1] offset:1536
	s_add_u32 s4, s0, s2
	s_mul_hi_u32 s7, s2, 3
	s_mul_i32 s2, s2, 3
	s_addc_u32 s8, s1, 0
	s_add_u32 s6, s4, s2
	s_addc_u32 s7, s8, s7
	s_load_dword s6, s[6:7], 0x740
	s_mov_b32 s3, 0
	s_mov_b32 s5, s3
	s_waitcnt lgkmcnt(0)
	s_ashr_i32 s7, s6, 31
	s_lshl_b64 s[12:13], s[6:7], 18
	s_lshl_b64 s[6:7], s[6:7], 16
	s_waitcnt vmcnt(0)
	v_readfirstlane_b32 s2, v1
	s_lshl_b32 s2, s2, 3
	s_load_dword s24, s[0:1], 0xc4c
	s_load_dwordx2 s[16:17], s[0:1], s2 offset:0x400
	s_load_dwordx2 s[8:9], s[0:1], s2 offset:0x0
	;; [unrolled: 1-line block ×3, first 2 shown]
	s_waitcnt lgkmcnt(0)
	s_add_u32 s2, s8, s12
	s_and_b32 s4, s10, 15
	s_and_b32 s2, s2, 15
	s_sub_u32 s14, s16, s6
	s_subb_u32 s15, s17, s7
	s_and_b32 s6, s16, 3
	s_mov_b32 s7, s3
	s_or_b64 s[4:5], s[4:5], s[6:7]
	s_or_b64 s[2:3], s[4:5], s[2:3]
	s_cmp_eq_u64 s[2:3], 0
	s_mov_b64 s[2:3], -1
	s_cbranch_scc1 .LBB136_21
; %bb.1:
	v_cmp_lt_i64_e64 s[2:3], s[14:15], 1
	s_and_b64 vcc, exec, s[2:3]
	s_cbranch_vccnz .LBB136_20
; %bb.2:
	s_load_dword s2, s[0:1], 0xc5c
	v_mov_b64_e32 v[2:3], 0x10000
	v_cmp_lt_i64_e32 vcc, s[14:15], v[2:3]
	s_and_b64 s[4:5], vcc, exec
	s_mov_b32 s3, 0
	s_cselect_b32 s5, s15, 0
	s_cselect_b32 s4, s14, 0x10000
	s_waitcnt lgkmcnt(0)
	s_and_b32 s2, s2, 0xffff
	v_cmp_lt_u64_e32 vcc, s[14:15], v[2:3]
	v_mov_b32_e32 v1, 0
	s_and_b64 s[6:7], vcc, exec
	s_mul_i32 s20, s2, 3
	s_mov_b32 s21, s3
	s_cselect_b32 s17, s15, 0
	s_cselect_b32 s16, s14, 0x10000
	v_lshlrev_b32_e32 v12, 2, v0
	v_mov_b32_e32 v13, v1
	v_lshl_add_u64 v[10:11], s[20:21], 0, v[0:1]
	s_lshl_b32 s20, s2, 3
	v_lshl_add_u64 v[18:19], v[0:1], 0, s[2:3]
	s_lshl_b32 s6, s2, 1
	s_mov_b32 s7, s3
	v_mad_u64_u32 v[8:9], s[22:23], s2, 12, v[12:13]
	v_lshl_add_u64 v[14:15], s[20:21], 0, v[12:13]
	v_lshlrev_b32_e32 v22, 2, v18
	v_mov_b32_e32 v23, v1
	s_lshl_b32 s25, s2, 2
	v_lshl_add_u64 v[2:3], s[8:9], 0, v[12:13]
	s_lshl_b32 s18, s2, 4
	s_mov_b32 s19, s3
	v_lshl_add_u64 v[4:5], s[10:11], 0, v[12:13]
	v_lshl_add_u64 v[6:7], s[8:9], 0, v[8:9]
	;; [unrolled: 1-line block ×8, first 2 shown]
	s_mov_b64 s[20:21], 0
	v_mov_b64_e32 v[24:25], s[4:5]
	s_branch .LBB136_4
.LBB136_3:                              ;   in Loop: Header=BB136_4 Depth=1
	s_or_b64 exec, exec, s[2:3]
	s_add_u32 s20, s20, s25
	s_addc_u32 s21, s21, 0
	v_cmp_lt_i64_e32 vcc, s[20:21], v[24:25]
	v_lshl_add_u64 v[2:3], v[2:3], 0, s[18:19]
	v_lshl_add_u64 v[4:5], v[4:5], 0, s[18:19]
	;; [unrolled: 1-line block ×8, first 2 shown]
	s_cbranch_vccz .LBB136_20
.LBB136_4:                              ; =>This Inner Loop Header: Depth=1
	s_waitcnt vmcnt(0)
	v_lshl_add_u64 v[26:27], v[0:1], 0, s[20:21]
	v_cmp_gt_u64_e32 vcc, s[16:17], v[26:27]
	v_mov_b32_e32 v27, 0
	s_and_saveexec_b64 s[2:3], vcc
	s_cbranch_execz .LBB136_6
; %bb.5:                                ;   in Loop: Header=BB136_4 Depth=1
	v_lshl_add_u64 v[26:27], v[2:3], 0, s[12:13]
	global_load_dword v27, v[26:27], off
.LBB136_6:                              ;   in Loop: Header=BB136_4 Depth=1
	s_or_b64 exec, exec, s[2:3]
	v_lshl_add_u64 v[28:29], v[18:19], 0, s[20:21]
	v_cmp_gt_u64_e64 s[2:3], s[16:17], v[28:29]
	v_mov_b32_e32 v26, 0
	v_mov_b32_e32 v28, 0
	s_and_saveexec_b64 s[4:5], s[2:3]
	s_cbranch_execz .LBB136_8
; %bb.7:                                ;   in Loop: Header=BB136_4 Depth=1
	v_lshl_add_u64 v[28:29], v[20:21], 0, s[12:13]
	global_load_dword v28, v[28:29], off
.LBB136_8:                              ;   in Loop: Header=BB136_4 Depth=1
	s_or_b64 exec, exec, s[4:5]
	v_lshl_add_u64 v[30:31], v[16:17], 0, s[20:21]
	v_cmp_gt_u64_e64 s[4:5], s[16:17], v[30:31]
	s_and_saveexec_b64 s[6:7], s[4:5]
	s_cbranch_execz .LBB136_10
; %bb.9:                                ;   in Loop: Header=BB136_4 Depth=1
	v_lshl_add_u64 v[30:31], v[12:13], 0, s[12:13]
	global_load_dword v26, v[30:31], off
.LBB136_10:                             ;   in Loop: Header=BB136_4 Depth=1
	s_or_b64 exec, exec, s[6:7]
	v_lshl_add_u64 v[30:31], v[10:11], 0, s[20:21]
	v_cmp_gt_u64_e64 s[6:7], s[16:17], v[30:31]
	v_mov_b32_e32 v29, 0
	s_and_saveexec_b64 s[22:23], s[6:7]
	s_cbranch_execnz .LBB136_15
; %bb.11:                               ;   in Loop: Header=BB136_4 Depth=1
	s_or_b64 exec, exec, s[22:23]
	s_and_saveexec_b64 s[22:23], vcc
	s_cbranch_execnz .LBB136_16
.LBB136_12:                             ;   in Loop: Header=BB136_4 Depth=1
	s_or_b64 exec, exec, s[22:23]
	s_and_saveexec_b64 s[22:23], s[2:3]
	s_cbranch_execnz .LBB136_17
.LBB136_13:                             ;   in Loop: Header=BB136_4 Depth=1
	s_or_b64 exec, exec, s[22:23]
	s_and_saveexec_b64 s[2:3], s[4:5]
	s_cbranch_execnz .LBB136_18
.LBB136_14:                             ;   in Loop: Header=BB136_4 Depth=1
	s_or_b64 exec, exec, s[2:3]
	s_and_saveexec_b64 s[2:3], s[6:7]
	s_cbranch_execz .LBB136_3
	s_branch .LBB136_19
.LBB136_15:                             ;   in Loop: Header=BB136_4 Depth=1
	v_lshl_add_u64 v[30:31], v[6:7], 0, s[12:13]
	global_load_dword v29, v[30:31], off
	s_or_b64 exec, exec, s[22:23]
	s_and_saveexec_b64 s[22:23], vcc
	s_cbranch_execz .LBB136_12
.LBB136_16:                             ;   in Loop: Header=BB136_4 Depth=1
	s_waitcnt vmcnt(0)
	v_max_i32_e32 v27, s24, v27
	v_lshl_add_u64 v[30:31], v[4:5], 0, s[12:13]
	global_store_dword v[30:31], v27, off
	s_or_b64 exec, exec, s[22:23]
	s_and_saveexec_b64 s[22:23], s[2:3]
	s_cbranch_execz .LBB136_13
.LBB136_17:                             ;   in Loop: Header=BB136_4 Depth=1
	s_waitcnt vmcnt(0)
	v_max_i32_e32 v27, s24, v28
	v_lshl_add_u64 v[30:31], v[22:23], 0, s[12:13]
	global_store_dword v[30:31], v27, off
	s_or_b64 exec, exec, s[22:23]
	s_and_saveexec_b64 s[2:3], s[4:5]
	s_cbranch_execz .LBB136_14
.LBB136_18:                             ;   in Loop: Header=BB136_4 Depth=1
	s_waitcnt vmcnt(0)
	v_max_i32_e32 v28, s24, v26
	v_lshl_add_u64 v[26:27], v[14:15], 0, s[12:13]
	global_store_dword v[26:27], v28, off
	s_or_b64 exec, exec, s[2:3]
	s_and_saveexec_b64 s[2:3], s[6:7]
	s_cbranch_execz .LBB136_3
.LBB136_19:                             ;   in Loop: Header=BB136_4 Depth=1
	s_waitcnt vmcnt(0)
	v_max_i32_e32 v28, s24, v29
	v_lshl_add_u64 v[26:27], v[8:9], 0, s[12:13]
	global_store_dword v[26:27], v28, off
	s_branch .LBB136_3
.LBB136_20:
	s_mov_b64 s[2:3], 0
.LBB136_21:
	s_andn2_b64 vcc, exec, s[2:3]
	s_cbranch_vccnz .LBB136_25
; %bb.22:
	v_mov_b64_e32 v[4:5], 0x10000
	v_cmp_lt_i64_e32 vcc, s[14:15], v[4:5]
	s_and_b64 s[4:5], vcc, exec
	v_mov_b32_e32 v3, 0
	s_cselect_b32 s5, s15, 0
	s_cselect_b32 s4, s14, 0x10000
	v_lshlrev_b32_e32 v2, 2, v0
	s_mov_b32 s3, 0
	v_cmp_gt_i64_e32 vcc, s[4:5], v[2:3]
	s_and_saveexec_b64 s[6:7], vcc
	s_cbranch_execz .LBB136_25
; %bb.23:
	s_load_dword s0, s[0:1], 0xc5c
	v_lshlrev_b32_e32 v2, 4, v0
	v_mov_b32_e32 v1, v3
	s_mov_b32 s14, s24
	s_mov_b32 s15, s24
	s_waitcnt lgkmcnt(0)
	s_and_b32 s2, s0, 0xffff
	s_mov_b32 s16, s24
	v_lshl_add_u64 v[2:3], s[12:13], 0, v[2:3]
	s_lshl_b32 s0, s2, 4
	s_mov_b32 s1, s3
	s_mov_b64 s[6:7], 0
.LBB136_24:                             ; =>This Inner Loop Header: Depth=1
	v_lshl_add_u64 v[4:5], s[8:9], 0, v[2:3]
	global_load_dwordx4 v[4:7], v[4:5], off
	v_lshl_add_u64 v[0:1], v[0:1], 0, s[2:3]
	v_lshlrev_b64 v[10:11], 2, v[0:1]
	v_cmp_le_i64_e32 vcc, s[4:5], v[10:11]
	v_lshl_add_u64 v[8:9], s[10:11], 0, v[2:3]
	v_lshl_add_u64 v[2:3], v[2:3], 0, s[0:1]
	s_or_b64 s[6:7], vcc, s[6:7]
	s_waitcnt vmcnt(0)
	v_max_i32_e32 v7, s16, v7
	v_max_i32_e32 v6, s15, v6
	;; [unrolled: 1-line block ×4, first 2 shown]
	global_store_dwordx4 v[8:9], v[4:7], off
	s_andn2_b64 exec, exec, s[6:7]
	s_cbranch_execnz .LBB136_24
.LBB136_25:
	s_endpgm
	.section	.rodata,"a",@progbits
	.p2align	6, 0x0
	.amdhsa_kernel _ZN2at6native12_GLOBAL__N_125multi_tensor_apply_kernelINS1_18TensorListMetadataILi2EEENS1_21BinaryOpScalarFunctorIiLi2ELi1ELi1EEEJNS0_7maximumIiEEiEEEvT_T0_DpT1_
		.amdhsa_group_segment_fixed_size 0
		.amdhsa_private_segment_fixed_size 0
		.amdhsa_kernarg_size 3408
		.amdhsa_user_sgpr_count 2
		.amdhsa_user_sgpr_dispatch_ptr 0
		.amdhsa_user_sgpr_queue_ptr 0
		.amdhsa_user_sgpr_kernarg_segment_ptr 1
		.amdhsa_user_sgpr_dispatch_id 0
		.amdhsa_user_sgpr_kernarg_preload_length 0
		.amdhsa_user_sgpr_kernarg_preload_offset 0
		.amdhsa_user_sgpr_private_segment_size 0
		.amdhsa_uses_dynamic_stack 0
		.amdhsa_enable_private_segment 0
		.amdhsa_system_sgpr_workgroup_id_x 1
		.amdhsa_system_sgpr_workgroup_id_y 0
		.amdhsa_system_sgpr_workgroup_id_z 0
		.amdhsa_system_sgpr_workgroup_info 0
		.amdhsa_system_vgpr_workitem_id 0
		.amdhsa_next_free_vgpr 32
		.amdhsa_next_free_sgpr 26
		.amdhsa_accum_offset 32
		.amdhsa_reserve_vcc 1
		.amdhsa_float_round_mode_32 0
		.amdhsa_float_round_mode_16_64 0
		.amdhsa_float_denorm_mode_32 3
		.amdhsa_float_denorm_mode_16_64 3
		.amdhsa_dx10_clamp 1
		.amdhsa_ieee_mode 1
		.amdhsa_fp16_overflow 0
		.amdhsa_tg_split 0
		.amdhsa_exception_fp_ieee_invalid_op 0
		.amdhsa_exception_fp_denorm_src 0
		.amdhsa_exception_fp_ieee_div_zero 0
		.amdhsa_exception_fp_ieee_overflow 0
		.amdhsa_exception_fp_ieee_underflow 0
		.amdhsa_exception_fp_ieee_inexact 0
		.amdhsa_exception_int_div_zero 0
	.end_amdhsa_kernel
	.section	.text._ZN2at6native12_GLOBAL__N_125multi_tensor_apply_kernelINS1_18TensorListMetadataILi2EEENS1_21BinaryOpScalarFunctorIiLi2ELi1ELi1EEEJNS0_7maximumIiEEiEEEvT_T0_DpT1_,"axG",@progbits,_ZN2at6native12_GLOBAL__N_125multi_tensor_apply_kernelINS1_18TensorListMetadataILi2EEENS1_21BinaryOpScalarFunctorIiLi2ELi1ELi1EEEJNS0_7maximumIiEEiEEEvT_T0_DpT1_,comdat
.Lfunc_end136:
	.size	_ZN2at6native12_GLOBAL__N_125multi_tensor_apply_kernelINS1_18TensorListMetadataILi2EEENS1_21BinaryOpScalarFunctorIiLi2ELi1ELi1EEEJNS0_7maximumIiEEiEEEvT_T0_DpT1_, .Lfunc_end136-_ZN2at6native12_GLOBAL__N_125multi_tensor_apply_kernelINS1_18TensorListMetadataILi2EEENS1_21BinaryOpScalarFunctorIiLi2ELi1ELi1EEEJNS0_7maximumIiEEiEEEvT_T0_DpT1_
                                        ; -- End function
	.set _ZN2at6native12_GLOBAL__N_125multi_tensor_apply_kernelINS1_18TensorListMetadataILi2EEENS1_21BinaryOpScalarFunctorIiLi2ELi1ELi1EEEJNS0_7maximumIiEEiEEEvT_T0_DpT1_.num_vgpr, 32
	.set _ZN2at6native12_GLOBAL__N_125multi_tensor_apply_kernelINS1_18TensorListMetadataILi2EEENS1_21BinaryOpScalarFunctorIiLi2ELi1ELi1EEEJNS0_7maximumIiEEiEEEvT_T0_DpT1_.num_agpr, 0
	.set _ZN2at6native12_GLOBAL__N_125multi_tensor_apply_kernelINS1_18TensorListMetadataILi2EEENS1_21BinaryOpScalarFunctorIiLi2ELi1ELi1EEEJNS0_7maximumIiEEiEEEvT_T0_DpT1_.numbered_sgpr, 26
	.set _ZN2at6native12_GLOBAL__N_125multi_tensor_apply_kernelINS1_18TensorListMetadataILi2EEENS1_21BinaryOpScalarFunctorIiLi2ELi1ELi1EEEJNS0_7maximumIiEEiEEEvT_T0_DpT1_.num_named_barrier, 0
	.set _ZN2at6native12_GLOBAL__N_125multi_tensor_apply_kernelINS1_18TensorListMetadataILi2EEENS1_21BinaryOpScalarFunctorIiLi2ELi1ELi1EEEJNS0_7maximumIiEEiEEEvT_T0_DpT1_.private_seg_size, 0
	.set _ZN2at6native12_GLOBAL__N_125multi_tensor_apply_kernelINS1_18TensorListMetadataILi2EEENS1_21BinaryOpScalarFunctorIiLi2ELi1ELi1EEEJNS0_7maximumIiEEiEEEvT_T0_DpT1_.uses_vcc, 1
	.set _ZN2at6native12_GLOBAL__N_125multi_tensor_apply_kernelINS1_18TensorListMetadataILi2EEENS1_21BinaryOpScalarFunctorIiLi2ELi1ELi1EEEJNS0_7maximumIiEEiEEEvT_T0_DpT1_.uses_flat_scratch, 0
	.set _ZN2at6native12_GLOBAL__N_125multi_tensor_apply_kernelINS1_18TensorListMetadataILi2EEENS1_21BinaryOpScalarFunctorIiLi2ELi1ELi1EEEJNS0_7maximumIiEEiEEEvT_T0_DpT1_.has_dyn_sized_stack, 0
	.set _ZN2at6native12_GLOBAL__N_125multi_tensor_apply_kernelINS1_18TensorListMetadataILi2EEENS1_21BinaryOpScalarFunctorIiLi2ELi1ELi1EEEJNS0_7maximumIiEEiEEEvT_T0_DpT1_.has_recursion, 0
	.set _ZN2at6native12_GLOBAL__N_125multi_tensor_apply_kernelINS1_18TensorListMetadataILi2EEENS1_21BinaryOpScalarFunctorIiLi2ELi1ELi1EEEJNS0_7maximumIiEEiEEEvT_T0_DpT1_.has_indirect_call, 0
	.section	.AMDGPU.csdata,"",@progbits
; Kernel info:
; codeLenInByte = 1112
; TotalNumSgprs: 32
; NumVgprs: 32
; NumAgprs: 0
; TotalNumVgprs: 32
; ScratchSize: 0
; MemoryBound: 0
; FloatMode: 240
; IeeeMode: 1
; LDSByteSize: 0 bytes/workgroup (compile time only)
; SGPRBlocks: 3
; VGPRBlocks: 3
; NumSGPRsForWavesPerEU: 32
; NumVGPRsForWavesPerEU: 32
; AccumOffset: 32
; Occupancy: 8
; WaveLimiterHint : 0
; COMPUTE_PGM_RSRC2:SCRATCH_EN: 0
; COMPUTE_PGM_RSRC2:USER_SGPR: 2
; COMPUTE_PGM_RSRC2:TRAP_HANDLER: 0
; COMPUTE_PGM_RSRC2:TGID_X_EN: 1
; COMPUTE_PGM_RSRC2:TGID_Y_EN: 0
; COMPUTE_PGM_RSRC2:TGID_Z_EN: 0
; COMPUTE_PGM_RSRC2:TIDIG_COMP_CNT: 0
; COMPUTE_PGM_RSRC3_GFX90A:ACCUM_OFFSET: 7
; COMPUTE_PGM_RSRC3_GFX90A:TG_SPLIT: 0
	.section	.text._ZN2at6native12_GLOBAL__N_125multi_tensor_apply_kernelINS1_18TensorListMetadataILi2EEENS1_21BinaryOpScalarFunctorIlLi2ELi1ELi1EEEJNS0_7maximumIlEElEEEvT_T0_DpT1_,"axG",@progbits,_ZN2at6native12_GLOBAL__N_125multi_tensor_apply_kernelINS1_18TensorListMetadataILi2EEENS1_21BinaryOpScalarFunctorIlLi2ELi1ELi1EEEJNS0_7maximumIlEElEEEvT_T0_DpT1_,comdat
	.globl	_ZN2at6native12_GLOBAL__N_125multi_tensor_apply_kernelINS1_18TensorListMetadataILi2EEENS1_21BinaryOpScalarFunctorIlLi2ELi1ELi1EEEJNS0_7maximumIlEElEEEvT_T0_DpT1_ ; -- Begin function _ZN2at6native12_GLOBAL__N_125multi_tensor_apply_kernelINS1_18TensorListMetadataILi2EEENS1_21BinaryOpScalarFunctorIlLi2ELi1ELi1EEEJNS0_7maximumIlEElEEEvT_T0_DpT1_
	.p2align	8
	.type	_ZN2at6native12_GLOBAL__N_125multi_tensor_apply_kernelINS1_18TensorListMetadataILi2EEENS1_21BinaryOpScalarFunctorIlLi2ELi1ELi1EEEJNS0_7maximumIlEElEEEvT_T0_DpT1_,@function
_ZN2at6native12_GLOBAL__N_125multi_tensor_apply_kernelINS1_18TensorListMetadataILi2EEENS1_21BinaryOpScalarFunctorIlLi2ELi1ELi1EEEJNS0_7maximumIlEElEEEvT_T0_DpT1_: ; @_ZN2at6native12_GLOBAL__N_125multi_tensor_apply_kernelINS1_18TensorListMetadataILi2EEENS1_21BinaryOpScalarFunctorIlLi2ELi1ELi1EEEJNS0_7maximumIlEElEEEvT_T0_DpT1_
; %bb.0:
	v_mov_b32_e32 v1, s2
	global_load_ubyte v1, v1, s[0:1] offset:1536
	s_add_u32 s4, s0, s2
	s_mul_hi_u32 s7, s2, 3
	s_mul_i32 s2, s2, 3
	s_addc_u32 s8, s1, 0
	s_add_u32 s6, s4, s2
	s_addc_u32 s7, s8, s7
	s_load_dword s6, s[6:7], 0x740
	s_mov_b32 s3, 0
	s_mov_b32 s5, s3
	s_waitcnt lgkmcnt(0)
	s_ashr_i32 s7, s6, 31
	s_lshl_b64 s[14:15], s[6:7], 19
	s_lshl_b64 s[6:7], s[6:7], 16
	s_waitcnt vmcnt(0)
	v_readfirstlane_b32 s2, v1
	s_lshl_b32 s2, s2, 3
	s_load_dwordx2 s[8:9], s[0:1], 0xc50
	s_load_dwordx2 s[18:19], s[0:1], s2 offset:0x400
	s_load_dwordx2 s[10:11], s[0:1], s2 offset:0x0
	s_load_dwordx2 s[12:13], s[0:1], s2 offset:0x200
	s_waitcnt lgkmcnt(0)
	s_add_u32 s2, s10, s14
	s_and_b32 s4, s12, 31
	s_and_b32 s2, s2, 31
	s_sub_u32 s16, s18, s6
	s_subb_u32 s17, s19, s7
	s_and_b32 s6, s18, 3
	s_mov_b32 s7, s3
	s_or_b64 s[4:5], s[4:5], s[6:7]
	s_or_b64 s[2:3], s[4:5], s[2:3]
	s_cmp_eq_u64 s[2:3], 0
	s_mov_b64 s[2:3], -1
	s_cbranch_scc1 .LBB137_21
; %bb.1:
	v_cmp_lt_i64_e64 s[2:3], s[16:17], 1
	s_and_b64 vcc, exec, s[2:3]
	s_cbranch_vccnz .LBB137_20
; %bb.2:
	s_load_dword s2, s[0:1], 0xc64
	v_mov_b64_e32 v[2:3], 0x10000
	v_cmp_lt_i64_e32 vcc, s[16:17], v[2:3]
	s_and_b64 s[4:5], vcc, exec
	s_mov_b32 s3, 0
	s_cselect_b32 s19, s17, 0
	s_cselect_b32 s18, s16, 0x10000
	s_waitcnt lgkmcnt(0)
	s_and_b32 s2, s2, 0xffff
	v_cmp_lt_u64_e32 vcc, s[16:17], v[2:3]
	v_mov_b32_e32 v1, 0
	s_and_b64 s[4:5], vcc, exec
	s_mul_i32 s6, s2, 3
	s_mov_b32 s7, s3
	s_cselect_b32 s21, s17, 0
	s_cselect_b32 s20, s16, 0x10000
	v_lshlrev_b32_e32 v12, 3, v0
	v_mov_b32_e32 v13, v1
	v_lshl_add_u64 v[10:11], s[6:7], 0, v[0:1]
	s_lshl_b32 s6, s2, 4
	v_lshl_add_u64 v[18:19], v[0:1], 0, s[2:3]
	s_lshl_b32 s4, s2, 1
	s_mov_b32 s5, s3
	v_mad_u64_u32 v[8:9], s[24:25], s2, 24, v[12:13]
	v_lshl_add_u64 v[14:15], s[6:7], 0, v[12:13]
	v_lshlrev_b32_e32 v22, 3, v18
	v_mov_b32_e32 v23, v1
	s_lshl_b32 s28, s2, 2
	v_lshl_add_u64 v[2:3], s[10:11], 0, v[12:13]
	s_lshl_b32 s22, s2, 5
	s_mov_b32 s23, s3
	v_lshl_add_u64 v[4:5], s[12:13], 0, v[12:13]
	v_lshl_add_u64 v[6:7], s[10:11], 0, v[8:9]
	v_lshl_add_u64 v[8:9], s[12:13], 0, v[8:9]
	v_lshl_add_u64 v[12:13], s[10:11], 0, v[14:15]
	v_lshl_add_u64 v[14:15], s[12:13], 0, v[14:15]
	v_lshl_add_u64 v[16:17], s[4:5], 0, v[0:1]
	v_lshl_add_u64 v[20:21], s[10:11], 0, v[22:23]
	v_lshl_add_u64 v[22:23], s[12:13], 0, v[22:23]
	s_mov_b64 s[24:25], 0
	s_branch .LBB137_4
.LBB137_3:                              ;   in Loop: Header=BB137_4 Depth=1
	s_or_b64 exec, exec, s[2:3]
	s_add_u32 s24, s24, s28
	s_addc_u32 s25, s25, 0
	s_waitcnt vmcnt(0)
	v_mov_b64_e32 v[24:25], s[18:19]
	v_cmp_lt_i64_e32 vcc, s[24:25], v[24:25]
	v_lshl_add_u64 v[2:3], v[2:3], 0, s[22:23]
	v_lshl_add_u64 v[4:5], v[4:5], 0, s[22:23]
	;; [unrolled: 1-line block ×8, first 2 shown]
	s_cbranch_vccz .LBB137_20
.LBB137_4:                              ; =>This Inner Loop Header: Depth=1
	v_lshl_add_u64 v[24:25], v[0:1], 0, s[24:25]
	v_cmp_gt_u64_e64 s[6:7], s[20:21], v[24:25]
	v_mov_b64_e32 v[26:27], 0
	v_mov_b64_e32 v[30:31], 0
	s_and_saveexec_b64 s[2:3], s[6:7]
	s_cbranch_execz .LBB137_6
; %bb.5:                                ;   in Loop: Header=BB137_4 Depth=1
	v_lshl_add_u64 v[24:25], v[2:3], 0, s[14:15]
	global_load_dwordx2 v[30:31], v[24:25], off
.LBB137_6:                              ;   in Loop: Header=BB137_4 Depth=1
	s_or_b64 exec, exec, s[2:3]
	v_lshl_add_u64 v[24:25], v[18:19], 0, s[24:25]
	v_cmp_gt_u64_e64 s[4:5], s[20:21], v[24:25]
	s_and_saveexec_b64 s[2:3], s[4:5]
	s_cbranch_execz .LBB137_8
; %bb.7:                                ;   in Loop: Header=BB137_4 Depth=1
	v_lshl_add_u64 v[24:25], v[20:21], 0, s[14:15]
	global_load_dwordx2 v[26:27], v[24:25], off
.LBB137_8:                              ;   in Loop: Header=BB137_4 Depth=1
	s_or_b64 exec, exec, s[2:3]
	v_lshl_add_u64 v[24:25], v[16:17], 0, s[24:25]
	v_cmp_gt_u64_e64 s[2:3], s[20:21], v[24:25]
	v_mov_b64_e32 v[24:25], 0
	v_mov_b64_e32 v[28:29], 0
	s_and_saveexec_b64 s[26:27], s[2:3]
	s_cbranch_execz .LBB137_10
; %bb.9:                                ;   in Loop: Header=BB137_4 Depth=1
	v_lshl_add_u64 v[28:29], v[12:13], 0, s[14:15]
	global_load_dwordx2 v[28:29], v[28:29], off
.LBB137_10:                             ;   in Loop: Header=BB137_4 Depth=1
	s_or_b64 exec, exec, s[26:27]
	v_lshl_add_u64 v[32:33], v[10:11], 0, s[24:25]
	v_cmp_gt_u64_e32 vcc, s[20:21], v[32:33]
	s_and_saveexec_b64 s[26:27], vcc
	s_cbranch_execnz .LBB137_15
; %bb.11:                               ;   in Loop: Header=BB137_4 Depth=1
	s_or_b64 exec, exec, s[26:27]
	s_and_saveexec_b64 s[26:27], s[6:7]
	s_cbranch_execnz .LBB137_16
.LBB137_12:                             ;   in Loop: Header=BB137_4 Depth=1
	s_or_b64 exec, exec, s[26:27]
	s_and_saveexec_b64 s[6:7], s[4:5]
	s_cbranch_execnz .LBB137_17
.LBB137_13:                             ;   in Loop: Header=BB137_4 Depth=1
	s_or_b64 exec, exec, s[6:7]
	s_and_saveexec_b64 s[4:5], s[2:3]
	s_cbranch_execnz .LBB137_18
.LBB137_14:                             ;   in Loop: Header=BB137_4 Depth=1
	s_or_b64 exec, exec, s[4:5]
	s_and_saveexec_b64 s[2:3], vcc
	s_cbranch_execz .LBB137_3
	s_branch .LBB137_19
.LBB137_15:                             ;   in Loop: Header=BB137_4 Depth=1
	v_lshl_add_u64 v[24:25], v[6:7], 0, s[14:15]
	global_load_dwordx2 v[24:25], v[24:25], off
	s_or_b64 exec, exec, s[26:27]
	s_and_saveexec_b64 s[26:27], s[6:7]
	s_cbranch_execz .LBB137_12
.LBB137_16:                             ;   in Loop: Header=BB137_4 Depth=1
	v_mov_b32_e32 v32, s9
	s_waitcnt vmcnt(0)
	v_cmp_lt_i64_e64 s[6:7], s[8:9], v[30:31]
	s_nop 1
	v_cndmask_b32_e64 v31, v32, v31, s[6:7]
	v_mov_b32_e32 v32, s8
	v_cndmask_b32_e64 v30, v32, v30, s[6:7]
	v_lshl_add_u64 v[32:33], v[4:5], 0, s[14:15]
	global_store_dwordx2 v[32:33], v[30:31], off
	s_or_b64 exec, exec, s[26:27]
	s_and_saveexec_b64 s[6:7], s[4:5]
	s_cbranch_execz .LBB137_13
.LBB137_17:                             ;   in Loop: Header=BB137_4 Depth=1
	s_waitcnt vmcnt(0)
	v_mov_b32_e32 v30, s9
	v_cmp_lt_i64_e64 s[4:5], s[8:9], v[26:27]
	s_nop 1
	v_cndmask_b32_e64 v27, v30, v27, s[4:5]
	v_mov_b32_e32 v30, s8
	v_cndmask_b32_e64 v26, v30, v26, s[4:5]
	v_lshl_add_u64 v[30:31], v[22:23], 0, s[14:15]
	global_store_dwordx2 v[30:31], v[26:27], off
	s_or_b64 exec, exec, s[6:7]
	s_and_saveexec_b64 s[4:5], s[2:3]
	s_cbranch_execz .LBB137_14
.LBB137_18:                             ;   in Loop: Header=BB137_4 Depth=1
	s_waitcnt vmcnt(0)
	v_mov_b32_e32 v26, s9
	v_cmp_lt_i64_e64 s[2:3], s[8:9], v[28:29]
	s_nop 1
	v_cndmask_b32_e64 v27, v26, v29, s[2:3]
	v_mov_b32_e32 v26, s8
	v_cndmask_b32_e64 v26, v26, v28, s[2:3]
	v_lshl_add_u64 v[28:29], v[14:15], 0, s[14:15]
	global_store_dwordx2 v[28:29], v[26:27], off
	s_or_b64 exec, exec, s[4:5]
	s_and_saveexec_b64 s[2:3], vcc
	s_cbranch_execz .LBB137_3
.LBB137_19:                             ;   in Loop: Header=BB137_4 Depth=1
	s_waitcnt vmcnt(0)
	v_mov_b32_e32 v26, s9
	v_cmp_lt_i64_e32 vcc, s[8:9], v[24:25]
	s_nop 1
	v_cndmask_b32_e32 v25, v26, v25, vcc
	v_mov_b32_e32 v26, s8
	v_cndmask_b32_e32 v24, v26, v24, vcc
	v_lshl_add_u64 v[26:27], v[8:9], 0, s[14:15]
	global_store_dwordx2 v[26:27], v[24:25], off
	s_branch .LBB137_3
.LBB137_20:
	s_mov_b64 s[2:3], 0
.LBB137_21:
	s_andn2_b64 vcc, exec, s[2:3]
	s_cbranch_vccnz .LBB137_25
; %bb.22:
	v_mov_b64_e32 v[4:5], 0x10000
	v_cmp_lt_i64_e32 vcc, s[16:17], v[4:5]
	s_and_b64 s[2:3], vcc, exec
	v_mov_b32_e32 v3, 0
	s_cselect_b32 s17, s17, 0
	s_cselect_b32 s16, s16, 0x10000
	v_lshlrev_b32_e32 v2, 2, v0
	s_mov_b32 s7, 0
	v_cmp_gt_i64_e32 vcc, s[16:17], v[2:3]
	s_and_saveexec_b64 s[2:3], vcc
	s_cbranch_execz .LBB137_25
; %bb.23:
	s_load_dword s0, s[0:1], 0xc64
	v_lshlrev_b32_e32 v2, 5, v0
	v_mov_b32_e32 v1, v3
	s_mov_b32 s19, s7
	v_lshl_add_u64 v[2:3], s[14:15], 0, v[2:3]
	s_waitcnt lgkmcnt(0)
	s_and_b32 s6, s0, 0xffff
	s_lshl_b32 s18, s6, 5
	s_mov_b64 s[14:15], 0
	v_mov_b32_e32 v4, s9
	v_mov_b32_e32 v5, s8
.LBB137_24:                             ; =>This Inner Loop Header: Depth=1
	v_lshl_add_u64 v[14:15], s[10:11], 0, v[2:3]
	global_load_dwordx4 v[6:9], v[14:15], off
	global_load_dwordx4 v[10:13], v[14:15], off offset:16
	v_lshl_add_u64 v[0:1], v[0:1], 0, s[6:7]
	v_lshlrev_b64 v[16:17], 2, v[0:1]
	v_cmp_le_i64_e32 vcc, s[16:17], v[16:17]
	s_or_b64 s[14:15], vcc, s[14:15]
	v_lshl_add_u64 v[14:15], s[12:13], 0, v[2:3]
	v_lshl_add_u64 v[2:3], v[2:3], 0, s[18:19]
	s_waitcnt vmcnt(1)
	v_cmp_lt_i64_e32 vcc, s[8:9], v[6:7]
	v_cmp_lt_i64_e64 s[0:1], s[8:9], v[8:9]
	s_nop 0
	v_cndmask_b32_e32 v7, v4, v7, vcc
	s_waitcnt vmcnt(0)
	v_cmp_lt_i64_e64 s[2:3], s[8:9], v[10:11]
	v_cndmask_b32_e64 v9, v4, v9, s[0:1]
	v_cmp_lt_i64_e64 s[4:5], s[8:9], v[12:13]
	v_cndmask_b32_e32 v6, v5, v6, vcc
	v_cndmask_b32_e64 v8, v5, v8, s[0:1]
	v_cndmask_b32_e64 v11, v4, v11, s[2:3]
	;; [unrolled: 1-line block ×5, first 2 shown]
	global_store_dwordx4 v[14:15], v[6:9], off
	global_store_dwordx4 v[14:15], v[10:13], off offset:16
	s_andn2_b64 exec, exec, s[14:15]
	s_cbranch_execnz .LBB137_24
.LBB137_25:
	s_endpgm
	.section	.rodata,"a",@progbits
	.p2align	6, 0x0
	.amdhsa_kernel _ZN2at6native12_GLOBAL__N_125multi_tensor_apply_kernelINS1_18TensorListMetadataILi2EEENS1_21BinaryOpScalarFunctorIlLi2ELi1ELi1EEEJNS0_7maximumIlEElEEEvT_T0_DpT1_
		.amdhsa_group_segment_fixed_size 0
		.amdhsa_private_segment_fixed_size 0
		.amdhsa_kernarg_size 3416
		.amdhsa_user_sgpr_count 2
		.amdhsa_user_sgpr_dispatch_ptr 0
		.amdhsa_user_sgpr_queue_ptr 0
		.amdhsa_user_sgpr_kernarg_segment_ptr 1
		.amdhsa_user_sgpr_dispatch_id 0
		.amdhsa_user_sgpr_kernarg_preload_length 0
		.amdhsa_user_sgpr_kernarg_preload_offset 0
		.amdhsa_user_sgpr_private_segment_size 0
		.amdhsa_uses_dynamic_stack 0
		.amdhsa_enable_private_segment 0
		.amdhsa_system_sgpr_workgroup_id_x 1
		.amdhsa_system_sgpr_workgroup_id_y 0
		.amdhsa_system_sgpr_workgroup_id_z 0
		.amdhsa_system_sgpr_workgroup_info 0
		.amdhsa_system_vgpr_workitem_id 0
		.amdhsa_next_free_vgpr 34
		.amdhsa_next_free_sgpr 29
		.amdhsa_accum_offset 36
		.amdhsa_reserve_vcc 1
		.amdhsa_float_round_mode_32 0
		.amdhsa_float_round_mode_16_64 0
		.amdhsa_float_denorm_mode_32 3
		.amdhsa_float_denorm_mode_16_64 3
		.amdhsa_dx10_clamp 1
		.amdhsa_ieee_mode 1
		.amdhsa_fp16_overflow 0
		.amdhsa_tg_split 0
		.amdhsa_exception_fp_ieee_invalid_op 0
		.amdhsa_exception_fp_denorm_src 0
		.amdhsa_exception_fp_ieee_div_zero 0
		.amdhsa_exception_fp_ieee_overflow 0
		.amdhsa_exception_fp_ieee_underflow 0
		.amdhsa_exception_fp_ieee_inexact 0
		.amdhsa_exception_int_div_zero 0
	.end_amdhsa_kernel
	.section	.text._ZN2at6native12_GLOBAL__N_125multi_tensor_apply_kernelINS1_18TensorListMetadataILi2EEENS1_21BinaryOpScalarFunctorIlLi2ELi1ELi1EEEJNS0_7maximumIlEElEEEvT_T0_DpT1_,"axG",@progbits,_ZN2at6native12_GLOBAL__N_125multi_tensor_apply_kernelINS1_18TensorListMetadataILi2EEENS1_21BinaryOpScalarFunctorIlLi2ELi1ELi1EEEJNS0_7maximumIlEElEEEvT_T0_DpT1_,comdat
.Lfunc_end137:
	.size	_ZN2at6native12_GLOBAL__N_125multi_tensor_apply_kernelINS1_18TensorListMetadataILi2EEENS1_21BinaryOpScalarFunctorIlLi2ELi1ELi1EEEJNS0_7maximumIlEElEEEvT_T0_DpT1_, .Lfunc_end137-_ZN2at6native12_GLOBAL__N_125multi_tensor_apply_kernelINS1_18TensorListMetadataILi2EEENS1_21BinaryOpScalarFunctorIlLi2ELi1ELi1EEEJNS0_7maximumIlEElEEEvT_T0_DpT1_
                                        ; -- End function
	.set _ZN2at6native12_GLOBAL__N_125multi_tensor_apply_kernelINS1_18TensorListMetadataILi2EEENS1_21BinaryOpScalarFunctorIlLi2ELi1ELi1EEEJNS0_7maximumIlEElEEEvT_T0_DpT1_.num_vgpr, 34
	.set _ZN2at6native12_GLOBAL__N_125multi_tensor_apply_kernelINS1_18TensorListMetadataILi2EEENS1_21BinaryOpScalarFunctorIlLi2ELi1ELi1EEEJNS0_7maximumIlEElEEEvT_T0_DpT1_.num_agpr, 0
	.set _ZN2at6native12_GLOBAL__N_125multi_tensor_apply_kernelINS1_18TensorListMetadataILi2EEENS1_21BinaryOpScalarFunctorIlLi2ELi1ELi1EEEJNS0_7maximumIlEElEEEvT_T0_DpT1_.numbered_sgpr, 29
	.set _ZN2at6native12_GLOBAL__N_125multi_tensor_apply_kernelINS1_18TensorListMetadataILi2EEENS1_21BinaryOpScalarFunctorIlLi2ELi1ELi1EEEJNS0_7maximumIlEElEEEvT_T0_DpT1_.num_named_barrier, 0
	.set _ZN2at6native12_GLOBAL__N_125multi_tensor_apply_kernelINS1_18TensorListMetadataILi2EEENS1_21BinaryOpScalarFunctorIlLi2ELi1ELi1EEEJNS0_7maximumIlEElEEEvT_T0_DpT1_.private_seg_size, 0
	.set _ZN2at6native12_GLOBAL__N_125multi_tensor_apply_kernelINS1_18TensorListMetadataILi2EEENS1_21BinaryOpScalarFunctorIlLi2ELi1ELi1EEEJNS0_7maximumIlEElEEEvT_T0_DpT1_.uses_vcc, 1
	.set _ZN2at6native12_GLOBAL__N_125multi_tensor_apply_kernelINS1_18TensorListMetadataILi2EEENS1_21BinaryOpScalarFunctorIlLi2ELi1ELi1EEEJNS0_7maximumIlEElEEEvT_T0_DpT1_.uses_flat_scratch, 0
	.set _ZN2at6native12_GLOBAL__N_125multi_tensor_apply_kernelINS1_18TensorListMetadataILi2EEENS1_21BinaryOpScalarFunctorIlLi2ELi1ELi1EEEJNS0_7maximumIlEElEEEvT_T0_DpT1_.has_dyn_sized_stack, 0
	.set _ZN2at6native12_GLOBAL__N_125multi_tensor_apply_kernelINS1_18TensorListMetadataILi2EEENS1_21BinaryOpScalarFunctorIlLi2ELi1ELi1EEEJNS0_7maximumIlEElEEEvT_T0_DpT1_.has_recursion, 0
	.set _ZN2at6native12_GLOBAL__N_125multi_tensor_apply_kernelINS1_18TensorListMetadataILi2EEENS1_21BinaryOpScalarFunctorIlLi2ELi1ELi1EEEJNS0_7maximumIlEElEEEvT_T0_DpT1_.has_indirect_call, 0
	.section	.AMDGPU.csdata,"",@progbits
; Kernel info:
; codeLenInByte = 1316
; TotalNumSgprs: 35
; NumVgprs: 34
; NumAgprs: 0
; TotalNumVgprs: 34
; ScratchSize: 0
; MemoryBound: 0
; FloatMode: 240
; IeeeMode: 1
; LDSByteSize: 0 bytes/workgroup (compile time only)
; SGPRBlocks: 4
; VGPRBlocks: 4
; NumSGPRsForWavesPerEU: 35
; NumVGPRsForWavesPerEU: 34
; AccumOffset: 36
; Occupancy: 8
; WaveLimiterHint : 0
; COMPUTE_PGM_RSRC2:SCRATCH_EN: 0
; COMPUTE_PGM_RSRC2:USER_SGPR: 2
; COMPUTE_PGM_RSRC2:TRAP_HANDLER: 0
; COMPUTE_PGM_RSRC2:TGID_X_EN: 1
; COMPUTE_PGM_RSRC2:TGID_Y_EN: 0
; COMPUTE_PGM_RSRC2:TGID_Z_EN: 0
; COMPUTE_PGM_RSRC2:TIDIG_COMP_CNT: 0
; COMPUTE_PGM_RSRC3_GFX90A:ACCUM_OFFSET: 8
; COMPUTE_PGM_RSRC3_GFX90A:TG_SPLIT: 0
	.section	.text._ZN2at6native12_GLOBAL__N_125multi_tensor_apply_kernelINS1_18TensorListMetadataILi2EEENS1_21BinaryOpScalarFunctorIsLi2ELi1ELi1EEEJNS0_7maximumIsEEsEEEvT_T0_DpT1_,"axG",@progbits,_ZN2at6native12_GLOBAL__N_125multi_tensor_apply_kernelINS1_18TensorListMetadataILi2EEENS1_21BinaryOpScalarFunctorIsLi2ELi1ELi1EEEJNS0_7maximumIsEEsEEEvT_T0_DpT1_,comdat
	.globl	_ZN2at6native12_GLOBAL__N_125multi_tensor_apply_kernelINS1_18TensorListMetadataILi2EEENS1_21BinaryOpScalarFunctorIsLi2ELi1ELi1EEEJNS0_7maximumIsEEsEEEvT_T0_DpT1_ ; -- Begin function _ZN2at6native12_GLOBAL__N_125multi_tensor_apply_kernelINS1_18TensorListMetadataILi2EEENS1_21BinaryOpScalarFunctorIsLi2ELi1ELi1EEEJNS0_7maximumIsEEsEEEvT_T0_DpT1_
	.p2align	8
	.type	_ZN2at6native12_GLOBAL__N_125multi_tensor_apply_kernelINS1_18TensorListMetadataILi2EEENS1_21BinaryOpScalarFunctorIsLi2ELi1ELi1EEEJNS0_7maximumIsEEsEEEvT_T0_DpT1_,@function
_ZN2at6native12_GLOBAL__N_125multi_tensor_apply_kernelINS1_18TensorListMetadataILi2EEENS1_21BinaryOpScalarFunctorIsLi2ELi1ELi1EEEJNS0_7maximumIsEEsEEEvT_T0_DpT1_: ; @_ZN2at6native12_GLOBAL__N_125multi_tensor_apply_kernelINS1_18TensorListMetadataILi2EEENS1_21BinaryOpScalarFunctorIsLi2ELi1ELi1EEEJNS0_7maximumIsEEsEEEvT_T0_DpT1_
; %bb.0:
	v_mov_b32_e32 v1, s2
	global_load_ubyte v1, v1, s[0:1] offset:1536
	s_load_dword s4, s[0:1], 0xc48
	s_mul_hi_u32 s7, s2, 3
	s_mul_i32 s6, s2, 3
	s_mov_b32 s3, 0
	s_mov_b32 s5, s3
	s_waitcnt lgkmcnt(0)
	s_lshr_b32 s26, s4, 16
	s_add_u32 s2, s0, s2
	s_addc_u32 s4, s1, 0
	s_add_u32 s6, s2, s6
	s_addc_u32 s7, s4, s7
	s_load_dword s6, s[6:7], 0x740
	s_waitcnt lgkmcnt(0)
	s_ashr_i32 s7, s6, 31
	s_lshl_b64 s[12:13], s[6:7], 17
	s_lshl_b64 s[6:7], s[6:7], 16
	s_waitcnt vmcnt(0)
	v_readfirstlane_b32 s2, v1
	s_lshl_b32 s2, s2, 3
	s_load_dwordx2 s[16:17], s[0:1], s2 offset:0x400
	s_load_dwordx2 s[8:9], s[0:1], s2 offset:0x0
	;; [unrolled: 1-line block ×3, first 2 shown]
	s_waitcnt lgkmcnt(0)
	s_add_u32 s2, s8, s12
	s_and_b32 s4, s10, 7
	s_and_b32 s2, s2, 7
	s_sub_u32 s14, s16, s6
	s_subb_u32 s15, s17, s7
	s_and_b32 s6, s16, 3
	s_mov_b32 s7, s3
	s_or_b64 s[4:5], s[4:5], s[6:7]
	s_or_b64 s[2:3], s[4:5], s[2:3]
	s_cmp_eq_u64 s[2:3], 0
	s_mov_b64 s[2:3], -1
	s_cbranch_scc1 .LBB138_21
; %bb.1:
	v_cmp_lt_i64_e64 s[2:3], s[14:15], 1
	s_and_b64 vcc, exec, s[2:3]
	s_cbranch_vccnz .LBB138_20
; %bb.2:
	s_load_dword s2, s[0:1], 0xc5c
	v_mov_b64_e32 v[2:3], 0x10000
	v_cmp_lt_i64_e32 vcc, s[14:15], v[2:3]
	s_and_b64 s[4:5], vcc, exec
	s_cselect_b32 s5, s15, 0
	s_cselect_b32 s4, s14, 0x10000
	s_waitcnt lgkmcnt(0)
	s_and_b32 s2, s2, 0xffff
	v_cmp_lt_u64_e32 vcc, s[14:15], v[2:3]
	s_mov_b32 s3, 0
	v_mov_b32_e32 v1, 0
	s_and_b64 s[6:7], vcc, exec
	s_cselect_b32 s17, s15, 0
	s_cselect_b32 s16, s14, 0x10000
	s_lshl_b32 s18, s2, 2
	s_mov_b32 s19, s3
	v_lshlrev_b32_e32 v12, 1, v0
	v_mov_b32_e32 v13, v1
	v_lshl_add_u64 v[18:19], v[0:1], 0, s[2:3]
	s_lshl_b32 s6, s2, 1
	s_mov_b32 s7, s3
	s_mul_i32 s22, s2, 3
	s_mov_b32 s23, s3
	v_mad_u64_u32 v[8:9], s[24:25], s2, 6, v[12:13]
	v_lshl_add_u64 v[14:15], s[18:19], 0, v[12:13]
	v_lshlrev_b32_e32 v22, 1, v18
	v_mov_b32_e32 v23, v1
	v_lshl_add_u64 v[2:3], s[8:9], 0, v[12:13]
	s_lshl_b32 s20, s2, 3
	s_mov_b32 s21, s3
	v_lshl_add_u64 v[4:5], s[10:11], 0, v[12:13]
	v_lshl_add_u64 v[6:7], s[8:9], 0, v[8:9]
	;; [unrolled: 1-line block ×9, first 2 shown]
	s_mov_b64 s[22:23], 0
	v_mov_b64_e32 v[24:25], s[4:5]
	s_branch .LBB138_4
.LBB138_3:                              ;   in Loop: Header=BB138_4 Depth=1
	s_or_b64 exec, exec, s[2:3]
	s_add_u32 s22, s22, s18
	s_addc_u32 s23, s23, 0
	v_cmp_lt_i64_e32 vcc, s[22:23], v[24:25]
	v_lshl_add_u64 v[2:3], v[2:3], 0, s[20:21]
	v_lshl_add_u64 v[4:5], v[4:5], 0, s[20:21]
	;; [unrolled: 1-line block ×8, first 2 shown]
	s_cbranch_vccz .LBB138_20
.LBB138_4:                              ; =>This Inner Loop Header: Depth=1
	s_waitcnt vmcnt(0)
	v_lshl_add_u64 v[26:27], v[0:1], 0, s[22:23]
	v_cmp_gt_u64_e32 vcc, s[16:17], v[26:27]
	v_mov_b32_e32 v27, 0
	s_and_saveexec_b64 s[2:3], vcc
	s_cbranch_execz .LBB138_6
; %bb.5:                                ;   in Loop: Header=BB138_4 Depth=1
	v_lshl_add_u64 v[26:27], v[2:3], 0, s[12:13]
	global_load_ushort v27, v[26:27], off
.LBB138_6:                              ;   in Loop: Header=BB138_4 Depth=1
	s_or_b64 exec, exec, s[2:3]
	v_lshl_add_u64 v[28:29], v[18:19], 0, s[22:23]
	v_cmp_gt_u64_e64 s[2:3], s[16:17], v[28:29]
	v_mov_b32_e32 v26, 0
	v_mov_b32_e32 v28, 0
	s_and_saveexec_b64 s[4:5], s[2:3]
	s_cbranch_execz .LBB138_8
; %bb.7:                                ;   in Loop: Header=BB138_4 Depth=1
	v_lshl_add_u64 v[28:29], v[20:21], 0, s[12:13]
	global_load_ushort v28, v[28:29], off
.LBB138_8:                              ;   in Loop: Header=BB138_4 Depth=1
	s_or_b64 exec, exec, s[4:5]
	v_lshl_add_u64 v[30:31], v[16:17], 0, s[22:23]
	v_cmp_gt_u64_e64 s[4:5], s[16:17], v[30:31]
	s_and_saveexec_b64 s[6:7], s[4:5]
	s_cbranch_execz .LBB138_10
; %bb.9:                                ;   in Loop: Header=BB138_4 Depth=1
	v_lshl_add_u64 v[30:31], v[12:13], 0, s[12:13]
	global_load_ushort v26, v[30:31], off
.LBB138_10:                             ;   in Loop: Header=BB138_4 Depth=1
	s_or_b64 exec, exec, s[6:7]
	v_lshl_add_u64 v[30:31], v[10:11], 0, s[22:23]
	v_cmp_gt_u64_e64 s[6:7], s[16:17], v[30:31]
	v_mov_b32_e32 v29, 0
	s_and_saveexec_b64 s[24:25], s[6:7]
	s_cbranch_execnz .LBB138_15
; %bb.11:                               ;   in Loop: Header=BB138_4 Depth=1
	s_or_b64 exec, exec, s[24:25]
	s_and_saveexec_b64 s[24:25], vcc
	s_cbranch_execnz .LBB138_16
.LBB138_12:                             ;   in Loop: Header=BB138_4 Depth=1
	s_or_b64 exec, exec, s[24:25]
	s_and_saveexec_b64 s[24:25], s[2:3]
	s_cbranch_execnz .LBB138_17
.LBB138_13:                             ;   in Loop: Header=BB138_4 Depth=1
	s_or_b64 exec, exec, s[24:25]
	s_and_saveexec_b64 s[2:3], s[4:5]
	s_cbranch_execnz .LBB138_18
.LBB138_14:                             ;   in Loop: Header=BB138_4 Depth=1
	s_or_b64 exec, exec, s[2:3]
	s_and_saveexec_b64 s[2:3], s[6:7]
	s_cbranch_execz .LBB138_3
	s_branch .LBB138_19
.LBB138_15:                             ;   in Loop: Header=BB138_4 Depth=1
	v_lshl_add_u64 v[30:31], v[6:7], 0, s[12:13]
	global_load_ushort v29, v[30:31], off
	s_or_b64 exec, exec, s[24:25]
	s_and_saveexec_b64 s[24:25], vcc
	s_cbranch_execz .LBB138_12
.LBB138_16:                             ;   in Loop: Header=BB138_4 Depth=1
	s_waitcnt vmcnt(0)
	v_max_i16_e32 v27, s26, v27
	v_lshl_add_u64 v[30:31], v[4:5], 0, s[12:13]
	global_store_short v[30:31], v27, off
	s_or_b64 exec, exec, s[24:25]
	s_and_saveexec_b64 s[24:25], s[2:3]
	s_cbranch_execz .LBB138_13
.LBB138_17:                             ;   in Loop: Header=BB138_4 Depth=1
	s_waitcnt vmcnt(0)
	v_max_i16_e32 v27, s26, v28
	v_lshl_add_u64 v[30:31], v[22:23], 0, s[12:13]
	global_store_short v[30:31], v27, off
	s_or_b64 exec, exec, s[24:25]
	s_and_saveexec_b64 s[2:3], s[4:5]
	s_cbranch_execz .LBB138_14
.LBB138_18:                             ;   in Loop: Header=BB138_4 Depth=1
	s_waitcnt vmcnt(0)
	v_max_i16_e32 v28, s26, v26
	v_lshl_add_u64 v[26:27], v[14:15], 0, s[12:13]
	global_store_short v[26:27], v28, off
	s_or_b64 exec, exec, s[2:3]
	s_and_saveexec_b64 s[2:3], s[6:7]
	s_cbranch_execz .LBB138_3
.LBB138_19:                             ;   in Loop: Header=BB138_4 Depth=1
	s_waitcnt vmcnt(0)
	v_max_i16_e32 v28, s26, v29
	v_lshl_add_u64 v[26:27], v[8:9], 0, s[12:13]
	global_store_short v[26:27], v28, off
	s_branch .LBB138_3
.LBB138_20:
	s_mov_b64 s[2:3], 0
.LBB138_21:
	s_andn2_b64 vcc, exec, s[2:3]
	s_cbranch_vccnz .LBB138_25
; %bb.22:
	v_mov_b64_e32 v[4:5], 0x10000
	v_cmp_lt_i64_e32 vcc, s[14:15], v[4:5]
	s_and_b64 s[4:5], vcc, exec
	v_mov_b32_e32 v3, 0
	s_cselect_b32 s5, s15, 0
	s_cselect_b32 s4, s14, 0x10000
	v_lshlrev_b32_e32 v2, 2, v0
	s_mov_b32 s3, 0
	v_cmp_gt_i64_e32 vcc, s[4:5], v[2:3]
	s_and_saveexec_b64 s[6:7], vcc
	s_cbranch_execz .LBB138_25
; %bb.23:
	s_load_dword s0, s[0:1], 0xc5c
	v_lshlrev_b32_e32 v2, 3, v0
	v_mov_b32_e32 v1, v3
	s_mov_b32 s14, 0xffff
	s_pack_ll_b32_b16 s15, s26, s26
	s_waitcnt lgkmcnt(0)
	s_and_b32 s2, s0, 0xffff
	v_lshl_add_u64 v[2:3], s[12:13], 0, v[2:3]
	s_lshl_b32 s0, s2, 3
	s_mov_b32 s1, s3
	s_mov_b64 s[6:7], 0
.LBB138_24:                             ; =>This Inner Loop Header: Depth=1
	v_lshl_add_u64 v[4:5], s[8:9], 0, v[2:3]
	global_load_dwordx2 v[4:5], v[4:5], off
	v_lshl_add_u64 v[0:1], v[0:1], 0, s[2:3]
	v_lshlrev_b64 v[8:9], 2, v[0:1]
	v_cmp_le_i64_e32 vcc, s[4:5], v[8:9]
	v_lshl_add_u64 v[6:7], s[10:11], 0, v[2:3]
	v_lshl_add_u64 v[2:3], v[2:3], 0, s[0:1]
	s_or_b64 s[6:7], vcc, s[6:7]
	s_waitcnt vmcnt(0)
	v_bfi_b32 v4, s14, v4, v4
	v_pk_max_i16 v5, v5, s15
	v_pk_max_i16 v4, v4, s15
	global_store_dwordx2 v[6:7], v[4:5], off
	s_andn2_b64 exec, exec, s[6:7]
	s_cbranch_execnz .LBB138_24
.LBB138_25:
	s_endpgm
	.section	.rodata,"a",@progbits
	.p2align	6, 0x0
	.amdhsa_kernel _ZN2at6native12_GLOBAL__N_125multi_tensor_apply_kernelINS1_18TensorListMetadataILi2EEENS1_21BinaryOpScalarFunctorIsLi2ELi1ELi1EEEJNS0_7maximumIsEEsEEEvT_T0_DpT1_
		.amdhsa_group_segment_fixed_size 0
		.amdhsa_private_segment_fixed_size 0
		.amdhsa_kernarg_size 3408
		.amdhsa_user_sgpr_count 2
		.amdhsa_user_sgpr_dispatch_ptr 0
		.amdhsa_user_sgpr_queue_ptr 0
		.amdhsa_user_sgpr_kernarg_segment_ptr 1
		.amdhsa_user_sgpr_dispatch_id 0
		.amdhsa_user_sgpr_kernarg_preload_length 0
		.amdhsa_user_sgpr_kernarg_preload_offset 0
		.amdhsa_user_sgpr_private_segment_size 0
		.amdhsa_uses_dynamic_stack 0
		.amdhsa_enable_private_segment 0
		.amdhsa_system_sgpr_workgroup_id_x 1
		.amdhsa_system_sgpr_workgroup_id_y 0
		.amdhsa_system_sgpr_workgroup_id_z 0
		.amdhsa_system_sgpr_workgroup_info 0
		.amdhsa_system_vgpr_workitem_id 0
		.amdhsa_next_free_vgpr 32
		.amdhsa_next_free_sgpr 27
		.amdhsa_accum_offset 32
		.amdhsa_reserve_vcc 1
		.amdhsa_float_round_mode_32 0
		.amdhsa_float_round_mode_16_64 0
		.amdhsa_float_denorm_mode_32 3
		.amdhsa_float_denorm_mode_16_64 3
		.amdhsa_dx10_clamp 1
		.amdhsa_ieee_mode 1
		.amdhsa_fp16_overflow 0
		.amdhsa_tg_split 0
		.amdhsa_exception_fp_ieee_invalid_op 0
		.amdhsa_exception_fp_denorm_src 0
		.amdhsa_exception_fp_ieee_div_zero 0
		.amdhsa_exception_fp_ieee_overflow 0
		.amdhsa_exception_fp_ieee_underflow 0
		.amdhsa_exception_fp_ieee_inexact 0
		.amdhsa_exception_int_div_zero 0
	.end_amdhsa_kernel
	.section	.text._ZN2at6native12_GLOBAL__N_125multi_tensor_apply_kernelINS1_18TensorListMetadataILi2EEENS1_21BinaryOpScalarFunctorIsLi2ELi1ELi1EEEJNS0_7maximumIsEEsEEEvT_T0_DpT1_,"axG",@progbits,_ZN2at6native12_GLOBAL__N_125multi_tensor_apply_kernelINS1_18TensorListMetadataILi2EEENS1_21BinaryOpScalarFunctorIsLi2ELi1ELi1EEEJNS0_7maximumIsEEsEEEvT_T0_DpT1_,comdat
.Lfunc_end138:
	.size	_ZN2at6native12_GLOBAL__N_125multi_tensor_apply_kernelINS1_18TensorListMetadataILi2EEENS1_21BinaryOpScalarFunctorIsLi2ELi1ELi1EEEJNS0_7maximumIsEEsEEEvT_T0_DpT1_, .Lfunc_end138-_ZN2at6native12_GLOBAL__N_125multi_tensor_apply_kernelINS1_18TensorListMetadataILi2EEENS1_21BinaryOpScalarFunctorIsLi2ELi1ELi1EEEJNS0_7maximumIsEEsEEEvT_T0_DpT1_
                                        ; -- End function
	.set _ZN2at6native12_GLOBAL__N_125multi_tensor_apply_kernelINS1_18TensorListMetadataILi2EEENS1_21BinaryOpScalarFunctorIsLi2ELi1ELi1EEEJNS0_7maximumIsEEsEEEvT_T0_DpT1_.num_vgpr, 32
	.set _ZN2at6native12_GLOBAL__N_125multi_tensor_apply_kernelINS1_18TensorListMetadataILi2EEENS1_21BinaryOpScalarFunctorIsLi2ELi1ELi1EEEJNS0_7maximumIsEEsEEEvT_T0_DpT1_.num_agpr, 0
	.set _ZN2at6native12_GLOBAL__N_125multi_tensor_apply_kernelINS1_18TensorListMetadataILi2EEENS1_21BinaryOpScalarFunctorIsLi2ELi1ELi1EEEJNS0_7maximumIsEEsEEEvT_T0_DpT1_.numbered_sgpr, 27
	.set _ZN2at6native12_GLOBAL__N_125multi_tensor_apply_kernelINS1_18TensorListMetadataILi2EEENS1_21BinaryOpScalarFunctorIsLi2ELi1ELi1EEEJNS0_7maximumIsEEsEEEvT_T0_DpT1_.num_named_barrier, 0
	.set _ZN2at6native12_GLOBAL__N_125multi_tensor_apply_kernelINS1_18TensorListMetadataILi2EEENS1_21BinaryOpScalarFunctorIsLi2ELi1ELi1EEEJNS0_7maximumIsEEsEEEvT_T0_DpT1_.private_seg_size, 0
	.set _ZN2at6native12_GLOBAL__N_125multi_tensor_apply_kernelINS1_18TensorListMetadataILi2EEENS1_21BinaryOpScalarFunctorIsLi2ELi1ELi1EEEJNS0_7maximumIsEEsEEEvT_T0_DpT1_.uses_vcc, 1
	.set _ZN2at6native12_GLOBAL__N_125multi_tensor_apply_kernelINS1_18TensorListMetadataILi2EEENS1_21BinaryOpScalarFunctorIsLi2ELi1ELi1EEEJNS0_7maximumIsEEsEEEvT_T0_DpT1_.uses_flat_scratch, 0
	.set _ZN2at6native12_GLOBAL__N_125multi_tensor_apply_kernelINS1_18TensorListMetadataILi2EEENS1_21BinaryOpScalarFunctorIsLi2ELi1ELi1EEEJNS0_7maximumIsEEsEEEvT_T0_DpT1_.has_dyn_sized_stack, 0
	.set _ZN2at6native12_GLOBAL__N_125multi_tensor_apply_kernelINS1_18TensorListMetadataILi2EEENS1_21BinaryOpScalarFunctorIsLi2ELi1ELi1EEEJNS0_7maximumIsEEsEEEvT_T0_DpT1_.has_recursion, 0
	.set _ZN2at6native12_GLOBAL__N_125multi_tensor_apply_kernelINS1_18TensorListMetadataILi2EEENS1_21BinaryOpScalarFunctorIsLi2ELi1ELi1EEEJNS0_7maximumIsEEsEEEvT_T0_DpT1_.has_indirect_call, 0
	.section	.AMDGPU.csdata,"",@progbits
; Kernel info:
; codeLenInByte = 1128
; TotalNumSgprs: 33
; NumVgprs: 32
; NumAgprs: 0
; TotalNumVgprs: 32
; ScratchSize: 0
; MemoryBound: 0
; FloatMode: 240
; IeeeMode: 1
; LDSByteSize: 0 bytes/workgroup (compile time only)
; SGPRBlocks: 4
; VGPRBlocks: 3
; NumSGPRsForWavesPerEU: 33
; NumVGPRsForWavesPerEU: 32
; AccumOffset: 32
; Occupancy: 8
; WaveLimiterHint : 0
; COMPUTE_PGM_RSRC2:SCRATCH_EN: 0
; COMPUTE_PGM_RSRC2:USER_SGPR: 2
; COMPUTE_PGM_RSRC2:TRAP_HANDLER: 0
; COMPUTE_PGM_RSRC2:TGID_X_EN: 1
; COMPUTE_PGM_RSRC2:TGID_Y_EN: 0
; COMPUTE_PGM_RSRC2:TGID_Z_EN: 0
; COMPUTE_PGM_RSRC2:TIDIG_COMP_CNT: 0
; COMPUTE_PGM_RSRC3_GFX90A:ACCUM_OFFSET: 7
; COMPUTE_PGM_RSRC3_GFX90A:TG_SPLIT: 0
	.section	.text._ZN2at6native12_GLOBAL__N_125multi_tensor_apply_kernelINS1_18TensorListMetadataILi2EEENS1_21BinaryOpScalarFunctorIdLi2ELi1ELi1EEEJNS0_7maximumIdEEdEEEvT_T0_DpT1_,"axG",@progbits,_ZN2at6native12_GLOBAL__N_125multi_tensor_apply_kernelINS1_18TensorListMetadataILi2EEENS1_21BinaryOpScalarFunctorIdLi2ELi1ELi1EEEJNS0_7maximumIdEEdEEEvT_T0_DpT1_,comdat
	.globl	_ZN2at6native12_GLOBAL__N_125multi_tensor_apply_kernelINS1_18TensorListMetadataILi2EEENS1_21BinaryOpScalarFunctorIdLi2ELi1ELi1EEEJNS0_7maximumIdEEdEEEvT_T0_DpT1_ ; -- Begin function _ZN2at6native12_GLOBAL__N_125multi_tensor_apply_kernelINS1_18TensorListMetadataILi2EEENS1_21BinaryOpScalarFunctorIdLi2ELi1ELi1EEEJNS0_7maximumIdEEdEEEvT_T0_DpT1_
	.p2align	8
	.type	_ZN2at6native12_GLOBAL__N_125multi_tensor_apply_kernelINS1_18TensorListMetadataILi2EEENS1_21BinaryOpScalarFunctorIdLi2ELi1ELi1EEEJNS0_7maximumIdEEdEEEvT_T0_DpT1_,@function
_ZN2at6native12_GLOBAL__N_125multi_tensor_apply_kernelINS1_18TensorListMetadataILi2EEENS1_21BinaryOpScalarFunctorIdLi2ELi1ELi1EEEJNS0_7maximumIdEEdEEEvT_T0_DpT1_: ; @_ZN2at6native12_GLOBAL__N_125multi_tensor_apply_kernelINS1_18TensorListMetadataILi2EEENS1_21BinaryOpScalarFunctorIdLi2ELi1ELi1EEEJNS0_7maximumIdEEdEEEvT_T0_DpT1_
; %bb.0:
	v_mov_b32_e32 v1, s2
	global_load_ubyte v1, v1, s[0:1] offset:1536
	s_add_u32 s4, s0, s2
	s_mul_hi_u32 s7, s2, 3
	s_mul_i32 s2, s2, 3
	s_addc_u32 s8, s1, 0
	s_add_u32 s6, s4, s2
	s_addc_u32 s7, s8, s7
	s_load_dword s6, s[6:7], 0x740
	s_mov_b32 s3, 0
	s_mov_b32 s5, s3
	s_waitcnt lgkmcnt(0)
	s_ashr_i32 s7, s6, 31
	s_lshl_b64 s[10:11], s[6:7], 19
	s_lshl_b64 s[6:7], s[6:7], 16
	s_waitcnt vmcnt(0)
	v_readfirstlane_b32 s2, v1
	s_lshl_b32 s2, s2, 3
	s_load_dwordx2 s[16:17], s[0:1], 0xc50
	s_load_dwordx2 s[8:9], s[0:1], s2 offset:0x400
	s_load_dwordx2 s[18:19], s[0:1], s2 offset:0x0
	;; [unrolled: 1-line block ×3, first 2 shown]
	s_waitcnt lgkmcnt(0)
	s_add_u32 s2, s18, s10
	s_and_b32 s4, s20, 31
	s_and_b32 s2, s2, 31
	s_sub_u32 s12, s8, s6
	s_subb_u32 s13, s9, s7
	s_and_b32 s6, s8, 3
	s_mov_b32 s7, s3
	s_or_b64 s[4:5], s[4:5], s[6:7]
	s_or_b64 s[2:3], s[4:5], s[2:3]
	s_cmp_eq_u64 s[2:3], 0
	s_mov_b64 s[2:3], -1
	s_cbranch_scc1 .LBB139_21
; %bb.1:
	v_cmp_lt_i64_e64 s[2:3], s[12:13], 1
	s_and_b64 vcc, exec, s[2:3]
	s_cbranch_vccnz .LBB139_20
; %bb.2:
	s_load_dword s2, s[0:1], 0xc64
	v_mov_b64_e32 v[2:3], 0x10000
	v_cmp_lt_i64_e32 vcc, s[12:13], v[2:3]
	s_and_b64 s[4:5], vcc, exec
	s_mov_b32 s3, 0
	s_cselect_b32 s15, s13, 0
	s_cselect_b32 s14, s12, 0x10000
	s_waitcnt lgkmcnt(0)
	s_and_b32 s2, s2, 0xffff
	v_cmp_lt_u64_e32 vcc, s[12:13], v[2:3]
	v_mov_b32_e32 v1, 0
	s_and_b64 s[4:5], vcc, exec
	s_mul_i32 s6, s2, 3
	s_mov_b32 s7, s3
	s_cselect_b32 s23, s13, 0
	s_cselect_b32 s22, s12, 0x10000
	v_lshlrev_b32_e32 v12, 3, v0
	v_mov_b32_e32 v13, v1
	v_lshl_add_u64 v[10:11], s[6:7], 0, v[0:1]
	s_lshl_b32 s6, s2, 4
	v_lshl_add_u64 v[18:19], v[0:1], 0, s[2:3]
	s_lshl_b32 s4, s2, 1
	s_mov_b32 s5, s3
	v_mad_u64_u32 v[8:9], s[8:9], s2, 24, v[12:13]
	v_lshl_add_u64 v[14:15], s[6:7], 0, v[12:13]
	v_lshlrev_b32_e32 v22, 3, v18
	v_mov_b32_e32 v23, v1
	s_lshl_b32 s30, s2, 2
	v_lshl_add_u64 v[2:3], s[18:19], 0, v[12:13]
	s_lshl_b32 s24, s2, 5
	s_mov_b32 s25, s3
	v_lshl_add_u64 v[4:5], s[20:21], 0, v[12:13]
	v_lshl_add_u64 v[6:7], s[18:19], 0, v[8:9]
	;; [unrolled: 1-line block ×8, first 2 shown]
	s_mov_b64 s[26:27], 0
	s_branch .LBB139_4
.LBB139_3:                              ;   in Loop: Header=BB139_4 Depth=1
	s_or_b64 exec, exec, s[4:5]
	s_add_u32 s26, s26, s30
	s_addc_u32 s27, s27, 0
	s_waitcnt vmcnt(0)
	v_mov_b64_e32 v[24:25], s[14:15]
	v_cmp_lt_i64_e32 vcc, s[26:27], v[24:25]
	v_lshl_add_u64 v[2:3], v[2:3], 0, s[24:25]
	v_lshl_add_u64 v[4:5], v[4:5], 0, s[24:25]
	;; [unrolled: 1-line block ×8, first 2 shown]
	s_cbranch_vccz .LBB139_20
.LBB139_4:                              ; =>This Inner Loop Header: Depth=1
	v_lshl_add_u64 v[24:25], v[0:1], 0, s[26:27]
	v_cmp_gt_u64_e64 s[6:7], s[22:23], v[24:25]
	v_mov_b64_e32 v[26:27], 0
	v_mov_b64_e32 v[30:31], 0
	s_and_saveexec_b64 s[2:3], s[6:7]
	s_cbranch_execz .LBB139_6
; %bb.5:                                ;   in Loop: Header=BB139_4 Depth=1
	v_lshl_add_u64 v[24:25], v[2:3], 0, s[10:11]
	global_load_dwordx2 v[30:31], v[24:25], off
.LBB139_6:                              ;   in Loop: Header=BB139_4 Depth=1
	s_or_b64 exec, exec, s[2:3]
	v_lshl_add_u64 v[24:25], v[18:19], 0, s[26:27]
	v_cmp_gt_u64_e64 s[4:5], s[22:23], v[24:25]
	s_and_saveexec_b64 s[2:3], s[4:5]
	s_cbranch_execz .LBB139_8
; %bb.7:                                ;   in Loop: Header=BB139_4 Depth=1
	v_lshl_add_u64 v[24:25], v[20:21], 0, s[10:11]
	global_load_dwordx2 v[26:27], v[24:25], off
.LBB139_8:                              ;   in Loop: Header=BB139_4 Depth=1
	s_or_b64 exec, exec, s[2:3]
	v_lshl_add_u64 v[24:25], v[16:17], 0, s[26:27]
	v_cmp_gt_u64_e64 s[2:3], s[22:23], v[24:25]
	v_mov_b64_e32 v[24:25], 0
	v_mov_b64_e32 v[28:29], 0
	s_and_saveexec_b64 s[8:9], s[2:3]
	s_cbranch_execz .LBB139_10
; %bb.9:                                ;   in Loop: Header=BB139_4 Depth=1
	v_lshl_add_u64 v[28:29], v[12:13], 0, s[10:11]
	global_load_dwordx2 v[28:29], v[28:29], off
.LBB139_10:                             ;   in Loop: Header=BB139_4 Depth=1
	s_or_b64 exec, exec, s[8:9]
	v_lshl_add_u64 v[32:33], v[10:11], 0, s[26:27]
	v_cmp_gt_u64_e32 vcc, s[22:23], v[32:33]
	s_and_saveexec_b64 s[8:9], vcc
	s_cbranch_execnz .LBB139_15
; %bb.11:                               ;   in Loop: Header=BB139_4 Depth=1
	s_or_b64 exec, exec, s[8:9]
	s_and_saveexec_b64 s[28:29], s[6:7]
	s_cbranch_execnz .LBB139_16
.LBB139_12:                             ;   in Loop: Header=BB139_4 Depth=1
	s_or_b64 exec, exec, s[28:29]
	s_and_saveexec_b64 s[8:9], s[4:5]
	s_cbranch_execnz .LBB139_17
.LBB139_13:                             ;   in Loop: Header=BB139_4 Depth=1
	s_or_b64 exec, exec, s[8:9]
	s_and_saveexec_b64 s[6:7], s[2:3]
	s_cbranch_execnz .LBB139_18
.LBB139_14:                             ;   in Loop: Header=BB139_4 Depth=1
	s_or_b64 exec, exec, s[6:7]
	s_and_saveexec_b64 s[4:5], vcc
	s_cbranch_execz .LBB139_3
	s_branch .LBB139_19
.LBB139_15:                             ;   in Loop: Header=BB139_4 Depth=1
	v_lshl_add_u64 v[24:25], v[6:7], 0, s[10:11]
	global_load_dwordx2 v[24:25], v[24:25], off
	s_or_b64 exec, exec, s[8:9]
	s_and_saveexec_b64 s[28:29], s[6:7]
	s_cbranch_execz .LBB139_12
.LBB139_16:                             ;   in Loop: Header=BB139_4 Depth=1
	s_waitcnt vmcnt(0)
	v_cmp_u_f64_e64 s[6:7], v[30:31], v[30:31]
	v_cmp_lt_f64_e64 s[8:9], s[16:17], v[30:31]
	v_mov_b32_e32 v32, s17
	s_or_b64 s[6:7], s[6:7], s[8:9]
	v_cndmask_b32_e64 v31, v32, v31, s[6:7]
	v_mov_b32_e32 v32, s16
	v_cndmask_b32_e64 v30, v32, v30, s[6:7]
	v_lshl_add_u64 v[32:33], v[4:5], 0, s[10:11]
	global_store_dwordx2 v[32:33], v[30:31], off
	s_or_b64 exec, exec, s[28:29]
	s_and_saveexec_b64 s[8:9], s[4:5]
	s_cbranch_execz .LBB139_13
.LBB139_17:                             ;   in Loop: Header=BB139_4 Depth=1
	s_waitcnt vmcnt(0)
	v_cmp_u_f64_e64 s[4:5], v[26:27], v[26:27]
	v_cmp_lt_f64_e64 s[6:7], s[16:17], v[26:27]
	v_mov_b32_e32 v30, s17
	s_or_b64 s[4:5], s[4:5], s[6:7]
	v_cndmask_b32_e64 v27, v30, v27, s[4:5]
	v_mov_b32_e32 v30, s16
	v_cndmask_b32_e64 v26, v30, v26, s[4:5]
	v_lshl_add_u64 v[30:31], v[22:23], 0, s[10:11]
	global_store_dwordx2 v[30:31], v[26:27], off
	s_or_b64 exec, exec, s[8:9]
	s_and_saveexec_b64 s[6:7], s[2:3]
	s_cbranch_execz .LBB139_14
.LBB139_18:                             ;   in Loop: Header=BB139_4 Depth=1
	s_waitcnt vmcnt(0)
	v_cmp_u_f64_e64 s[2:3], v[28:29], v[28:29]
	v_cmp_lt_f64_e64 s[4:5], s[16:17], v[28:29]
	v_mov_b32_e32 v26, s17
	s_or_b64 s[2:3], s[2:3], s[4:5]
	v_cndmask_b32_e64 v27, v26, v29, s[2:3]
	v_mov_b32_e32 v26, s16
	v_cndmask_b32_e64 v26, v26, v28, s[2:3]
	v_lshl_add_u64 v[28:29], v[14:15], 0, s[10:11]
	global_store_dwordx2 v[28:29], v[26:27], off
	s_or_b64 exec, exec, s[6:7]
	s_and_saveexec_b64 s[4:5], vcc
	s_cbranch_execz .LBB139_3
.LBB139_19:                             ;   in Loop: Header=BB139_4 Depth=1
	s_waitcnt vmcnt(0)
	v_cmp_u_f64_e32 vcc, v[24:25], v[24:25]
	v_cmp_lt_f64_e64 s[2:3], s[16:17], v[24:25]
	v_mov_b32_e32 v26, s17
	s_or_b64 vcc, vcc, s[2:3]
	v_cndmask_b32_e32 v25, v26, v25, vcc
	v_mov_b32_e32 v26, s16
	v_cndmask_b32_e32 v24, v26, v24, vcc
	v_lshl_add_u64 v[26:27], v[8:9], 0, s[10:11]
	global_store_dwordx2 v[26:27], v[24:25], off
	s_branch .LBB139_3
.LBB139_20:
	s_mov_b64 s[2:3], 0
.LBB139_21:
	s_andn2_b64 vcc, exec, s[2:3]
	s_cbranch_vccnz .LBB139_25
; %bb.22:
	v_mov_b64_e32 v[4:5], 0x10000
	v_cmp_lt_i64_e32 vcc, s[12:13], v[4:5]
	s_and_b64 s[2:3], vcc, exec
	v_mov_b32_e32 v3, 0
	s_cselect_b32 s25, s13, 0
	s_cselect_b32 s24, s12, 0x10000
	v_lshlrev_b32_e32 v2, 2, v0
	s_mov_b32 s23, 0
	v_cmp_gt_i64_e32 vcc, s[24:25], v[2:3]
	s_and_saveexec_b64 s[2:3], vcc
	s_cbranch_execz .LBB139_25
; %bb.23:
	s_load_dword s0, s[0:1], 0xc64
	v_lshlrev_b32_e32 v2, 5, v0
	v_mov_b32_e32 v1, v3
	s_mov_b32 s27, s23
	v_lshl_add_u64 v[2:3], s[10:11], 0, v[2:3]
	s_waitcnt lgkmcnt(0)
	s_and_b32 s22, s0, 0xffff
	s_lshl_b32 s26, s22, 5
	s_mov_b64 s[28:29], 0
	v_mov_b32_e32 v4, s17
	v_mov_b32_e32 v5, s16
.LBB139_24:                             ; =>This Inner Loop Header: Depth=1
	v_lshl_add_u64 v[14:15], s[18:19], 0, v[2:3]
	global_load_dwordx4 v[6:9], v[14:15], off
	global_load_dwordx4 v[10:13], v[14:15], off offset:16
	v_lshl_add_u64 v[0:1], v[0:1], 0, s[22:23]
	v_lshlrev_b64 v[16:17], 2, v[0:1]
	v_cmp_le_i64_e32 vcc, s[24:25], v[16:17]
	v_lshl_add_u64 v[14:15], s[20:21], 0, v[2:3]
	v_lshl_add_u64 v[2:3], v[2:3], 0, s[26:27]
	s_waitcnt vmcnt(1)
	v_cmp_u_f64_e64 s[0:1], v[6:7], v[6:7]
	v_cmp_lt_f64_e64 s[2:3], s[16:17], v[6:7]
	v_cmp_u_f64_e64 s[4:5], v[8:9], v[8:9]
	v_cmp_lt_f64_e64 s[6:7], s[16:17], v[8:9]
	s_waitcnt vmcnt(0)
	v_cmp_u_f64_e64 s[8:9], v[10:11], v[10:11]
	v_cmp_lt_f64_e64 s[10:11], s[16:17], v[10:11]
	v_cmp_u_f64_e64 s[12:13], v[12:13], v[12:13]
	v_cmp_lt_f64_e64 s[14:15], s[16:17], v[12:13]
	s_or_b64 s[0:1], s[0:1], s[2:3]
	s_or_b64 s[2:3], s[4:5], s[6:7]
	;; [unrolled: 1-line block ×4, first 2 shown]
	v_cndmask_b32_e64 v7, v4, v7, s[0:1]
	v_cndmask_b32_e64 v9, v4, v9, s[2:3]
	;; [unrolled: 1-line block ×4, first 2 shown]
	s_or_b64 s[28:29], vcc, s[28:29]
	v_cndmask_b32_e64 v11, v4, v11, s[4:5]
	v_cndmask_b32_e64 v13, v4, v13, s[6:7]
	;; [unrolled: 1-line block ×4, first 2 shown]
	global_store_dwordx4 v[14:15], v[6:9], off
	global_store_dwordx4 v[14:15], v[10:13], off offset:16
	s_andn2_b64 exec, exec, s[28:29]
	s_cbranch_execnz .LBB139_24
.LBB139_25:
	s_endpgm
	.section	.rodata,"a",@progbits
	.p2align	6, 0x0
	.amdhsa_kernel _ZN2at6native12_GLOBAL__N_125multi_tensor_apply_kernelINS1_18TensorListMetadataILi2EEENS1_21BinaryOpScalarFunctorIdLi2ELi1ELi1EEEJNS0_7maximumIdEEdEEEvT_T0_DpT1_
		.amdhsa_group_segment_fixed_size 0
		.amdhsa_private_segment_fixed_size 0
		.amdhsa_kernarg_size 3416
		.amdhsa_user_sgpr_count 2
		.amdhsa_user_sgpr_dispatch_ptr 0
		.amdhsa_user_sgpr_queue_ptr 0
		.amdhsa_user_sgpr_kernarg_segment_ptr 1
		.amdhsa_user_sgpr_dispatch_id 0
		.amdhsa_user_sgpr_kernarg_preload_length 0
		.amdhsa_user_sgpr_kernarg_preload_offset 0
		.amdhsa_user_sgpr_private_segment_size 0
		.amdhsa_uses_dynamic_stack 0
		.amdhsa_enable_private_segment 0
		.amdhsa_system_sgpr_workgroup_id_x 1
		.amdhsa_system_sgpr_workgroup_id_y 0
		.amdhsa_system_sgpr_workgroup_id_z 0
		.amdhsa_system_sgpr_workgroup_info 0
		.amdhsa_system_vgpr_workitem_id 0
		.amdhsa_next_free_vgpr 34
		.amdhsa_next_free_sgpr 31
		.amdhsa_accum_offset 36
		.amdhsa_reserve_vcc 1
		.amdhsa_float_round_mode_32 0
		.amdhsa_float_round_mode_16_64 0
		.amdhsa_float_denorm_mode_32 3
		.amdhsa_float_denorm_mode_16_64 3
		.amdhsa_dx10_clamp 1
		.amdhsa_ieee_mode 1
		.amdhsa_fp16_overflow 0
		.amdhsa_tg_split 0
		.amdhsa_exception_fp_ieee_invalid_op 0
		.amdhsa_exception_fp_denorm_src 0
		.amdhsa_exception_fp_ieee_div_zero 0
		.amdhsa_exception_fp_ieee_overflow 0
		.amdhsa_exception_fp_ieee_underflow 0
		.amdhsa_exception_fp_ieee_inexact 0
		.amdhsa_exception_int_div_zero 0
	.end_amdhsa_kernel
	.section	.text._ZN2at6native12_GLOBAL__N_125multi_tensor_apply_kernelINS1_18TensorListMetadataILi2EEENS1_21BinaryOpScalarFunctorIdLi2ELi1ELi1EEEJNS0_7maximumIdEEdEEEvT_T0_DpT1_,"axG",@progbits,_ZN2at6native12_GLOBAL__N_125multi_tensor_apply_kernelINS1_18TensorListMetadataILi2EEENS1_21BinaryOpScalarFunctorIdLi2ELi1ELi1EEEJNS0_7maximumIdEEdEEEvT_T0_DpT1_,comdat
.Lfunc_end139:
	.size	_ZN2at6native12_GLOBAL__N_125multi_tensor_apply_kernelINS1_18TensorListMetadataILi2EEENS1_21BinaryOpScalarFunctorIdLi2ELi1ELi1EEEJNS0_7maximumIdEEdEEEvT_T0_DpT1_, .Lfunc_end139-_ZN2at6native12_GLOBAL__N_125multi_tensor_apply_kernelINS1_18TensorListMetadataILi2EEENS1_21BinaryOpScalarFunctorIdLi2ELi1ELi1EEEJNS0_7maximumIdEEdEEEvT_T0_DpT1_
                                        ; -- End function
	.set _ZN2at6native12_GLOBAL__N_125multi_tensor_apply_kernelINS1_18TensorListMetadataILi2EEENS1_21BinaryOpScalarFunctorIdLi2ELi1ELi1EEEJNS0_7maximumIdEEdEEEvT_T0_DpT1_.num_vgpr, 34
	.set _ZN2at6native12_GLOBAL__N_125multi_tensor_apply_kernelINS1_18TensorListMetadataILi2EEENS1_21BinaryOpScalarFunctorIdLi2ELi1ELi1EEEJNS0_7maximumIdEEdEEEvT_T0_DpT1_.num_agpr, 0
	.set _ZN2at6native12_GLOBAL__N_125multi_tensor_apply_kernelINS1_18TensorListMetadataILi2EEENS1_21BinaryOpScalarFunctorIdLi2ELi1ELi1EEEJNS0_7maximumIdEEdEEEvT_T0_DpT1_.numbered_sgpr, 31
	.set _ZN2at6native12_GLOBAL__N_125multi_tensor_apply_kernelINS1_18TensorListMetadataILi2EEENS1_21BinaryOpScalarFunctorIdLi2ELi1ELi1EEEJNS0_7maximumIdEEdEEEvT_T0_DpT1_.num_named_barrier, 0
	.set _ZN2at6native12_GLOBAL__N_125multi_tensor_apply_kernelINS1_18TensorListMetadataILi2EEENS1_21BinaryOpScalarFunctorIdLi2ELi1ELi1EEEJNS0_7maximumIdEEdEEEvT_T0_DpT1_.private_seg_size, 0
	.set _ZN2at6native12_GLOBAL__N_125multi_tensor_apply_kernelINS1_18TensorListMetadataILi2EEENS1_21BinaryOpScalarFunctorIdLi2ELi1ELi1EEEJNS0_7maximumIdEEdEEEvT_T0_DpT1_.uses_vcc, 1
	.set _ZN2at6native12_GLOBAL__N_125multi_tensor_apply_kernelINS1_18TensorListMetadataILi2EEENS1_21BinaryOpScalarFunctorIdLi2ELi1ELi1EEEJNS0_7maximumIdEEdEEEvT_T0_DpT1_.uses_flat_scratch, 0
	.set _ZN2at6native12_GLOBAL__N_125multi_tensor_apply_kernelINS1_18TensorListMetadataILi2EEENS1_21BinaryOpScalarFunctorIdLi2ELi1ELi1EEEJNS0_7maximumIdEEdEEEvT_T0_DpT1_.has_dyn_sized_stack, 0
	.set _ZN2at6native12_GLOBAL__N_125multi_tensor_apply_kernelINS1_18TensorListMetadataILi2EEENS1_21BinaryOpScalarFunctorIdLi2ELi1ELi1EEEJNS0_7maximumIdEEdEEEvT_T0_DpT1_.has_recursion, 0
	.set _ZN2at6native12_GLOBAL__N_125multi_tensor_apply_kernelINS1_18TensorListMetadataILi2EEENS1_21BinaryOpScalarFunctorIdLi2ELi1ELi1EEEJNS0_7maximumIdEEdEEEvT_T0_DpT1_.has_indirect_call, 0
	.section	.AMDGPU.csdata,"",@progbits
; Kernel info:
; codeLenInByte = 1404
; TotalNumSgprs: 37
; NumVgprs: 34
; NumAgprs: 0
; TotalNumVgprs: 34
; ScratchSize: 0
; MemoryBound: 0
; FloatMode: 240
; IeeeMode: 1
; LDSByteSize: 0 bytes/workgroup (compile time only)
; SGPRBlocks: 4
; VGPRBlocks: 4
; NumSGPRsForWavesPerEU: 37
; NumVGPRsForWavesPerEU: 34
; AccumOffset: 36
; Occupancy: 8
; WaveLimiterHint : 0
; COMPUTE_PGM_RSRC2:SCRATCH_EN: 0
; COMPUTE_PGM_RSRC2:USER_SGPR: 2
; COMPUTE_PGM_RSRC2:TRAP_HANDLER: 0
; COMPUTE_PGM_RSRC2:TGID_X_EN: 1
; COMPUTE_PGM_RSRC2:TGID_Y_EN: 0
; COMPUTE_PGM_RSRC2:TGID_Z_EN: 0
; COMPUTE_PGM_RSRC2:TIDIG_COMP_CNT: 0
; COMPUTE_PGM_RSRC3_GFX90A:ACCUM_OFFSET: 8
; COMPUTE_PGM_RSRC3_GFX90A:TG_SPLIT: 0
	.section	.text._ZN2at6native12_GLOBAL__N_125multi_tensor_apply_kernelINS1_18TensorListMetadataILi2EEENS1_21BinaryOpScalarFunctorIfLi2ELi1ELi1EEEJNS0_7maximumIfEEfEEEvT_T0_DpT1_,"axG",@progbits,_ZN2at6native12_GLOBAL__N_125multi_tensor_apply_kernelINS1_18TensorListMetadataILi2EEENS1_21BinaryOpScalarFunctorIfLi2ELi1ELi1EEEJNS0_7maximumIfEEfEEEvT_T0_DpT1_,comdat
	.globl	_ZN2at6native12_GLOBAL__N_125multi_tensor_apply_kernelINS1_18TensorListMetadataILi2EEENS1_21BinaryOpScalarFunctorIfLi2ELi1ELi1EEEJNS0_7maximumIfEEfEEEvT_T0_DpT1_ ; -- Begin function _ZN2at6native12_GLOBAL__N_125multi_tensor_apply_kernelINS1_18TensorListMetadataILi2EEENS1_21BinaryOpScalarFunctorIfLi2ELi1ELi1EEEJNS0_7maximumIfEEfEEEvT_T0_DpT1_
	.p2align	8
	.type	_ZN2at6native12_GLOBAL__N_125multi_tensor_apply_kernelINS1_18TensorListMetadataILi2EEENS1_21BinaryOpScalarFunctorIfLi2ELi1ELi1EEEJNS0_7maximumIfEEfEEEvT_T0_DpT1_,@function
_ZN2at6native12_GLOBAL__N_125multi_tensor_apply_kernelINS1_18TensorListMetadataILi2EEENS1_21BinaryOpScalarFunctorIfLi2ELi1ELi1EEEJNS0_7maximumIfEEfEEEvT_T0_DpT1_: ; @_ZN2at6native12_GLOBAL__N_125multi_tensor_apply_kernelINS1_18TensorListMetadataILi2EEENS1_21BinaryOpScalarFunctorIfLi2ELi1ELi1EEEJNS0_7maximumIfEEfEEEvT_T0_DpT1_
; %bb.0:
	v_mov_b32_e32 v1, s2
	global_load_ubyte v1, v1, s[0:1] offset:1536
	s_add_u32 s4, s0, s2
	s_mul_hi_u32 s7, s2, 3
	s_mul_i32 s2, s2, 3
	s_addc_u32 s8, s1, 0
	s_add_u32 s6, s4, s2
	s_addc_u32 s7, s8, s7
	s_load_dword s6, s[6:7], 0x740
	s_mov_b32 s3, 0
	s_mov_b32 s5, s3
	s_waitcnt lgkmcnt(0)
	s_ashr_i32 s7, s6, 31
	s_lshl_b64 s[12:13], s[6:7], 18
	s_lshl_b64 s[6:7], s[6:7], 16
	s_waitcnt vmcnt(0)
	v_readfirstlane_b32 s2, v1
	s_lshl_b32 s2, s2, 3
	s_load_dword s28, s[0:1], 0xc4c
	s_load_dwordx2 s[8:9], s[0:1], s2 offset:0x400
	s_load_dwordx2 s[10:11], s[0:1], s2 offset:0x0
	;; [unrolled: 1-line block ×3, first 2 shown]
	s_waitcnt lgkmcnt(0)
	s_add_u32 s2, s10, s12
	s_and_b32 s4, s16, 15
	s_and_b32 s2, s2, 15
	s_sub_u32 s14, s8, s6
	s_subb_u32 s15, s9, s7
	s_and_b32 s6, s8, 3
	s_mov_b32 s7, s3
	s_or_b64 s[4:5], s[4:5], s[6:7]
	s_or_b64 s[2:3], s[4:5], s[2:3]
	s_cmp_eq_u64 s[2:3], 0
	s_mov_b64 s[2:3], -1
	s_cbranch_scc1 .LBB140_21
; %bb.1:
	v_cmp_lt_i64_e64 s[2:3], s[14:15], 1
	s_and_b64 vcc, exec, s[2:3]
	s_cbranch_vccnz .LBB140_20
; %bb.2:
	s_load_dword s2, s[0:1], 0xc5c
	v_mov_b64_e32 v[2:3], 0x10000
	v_cmp_lt_i64_e32 vcc, s[14:15], v[2:3]
	s_and_b64 s[4:5], vcc, exec
	s_mov_b32 s3, 0
	s_cselect_b32 s5, s15, 0
	s_cselect_b32 s4, s14, 0x10000
	s_waitcnt lgkmcnt(0)
	s_and_b32 s2, s2, 0xffff
	v_cmp_lt_u64_e32 vcc, s[14:15], v[2:3]
	v_mov_b32_e32 v1, 0
	s_and_b64 s[6:7], vcc, exec
	s_mul_i32 s8, s2, 3
	s_mov_b32 s9, s3
	s_cselect_b32 s19, s15, 0
	s_cselect_b32 s18, s14, 0x10000
	v_lshlrev_b32_e32 v12, 2, v0
	v_mov_b32_e32 v13, v1
	v_lshl_add_u64 v[10:11], s[8:9], 0, v[0:1]
	s_lshl_b32 s8, s2, 3
	v_lshl_add_u64 v[18:19], v[0:1], 0, s[2:3]
	s_lshl_b32 s6, s2, 1
	s_mov_b32 s7, s3
	v_mad_u64_u32 v[8:9], s[22:23], s2, 12, v[12:13]
	v_lshl_add_u64 v[14:15], s[8:9], 0, v[12:13]
	v_lshlrev_b32_e32 v22, 2, v18
	v_mov_b32_e32 v23, v1
	s_lshl_b32 s26, s2, 2
	v_lshl_add_u64 v[2:3], s[10:11], 0, v[12:13]
	s_lshl_b32 s20, s2, 4
	s_mov_b32 s21, s3
	v_lshl_add_u64 v[4:5], s[16:17], 0, v[12:13]
	v_lshl_add_u64 v[6:7], s[10:11], 0, v[8:9]
	;; [unrolled: 1-line block ×8, first 2 shown]
	s_mov_b64 s[22:23], 0
	v_mov_b64_e32 v[24:25], s[4:5]
	s_branch .LBB140_4
.LBB140_3:                              ;   in Loop: Header=BB140_4 Depth=1
	s_or_b64 exec, exec, s[4:5]
	s_add_u32 s22, s22, s26
	s_addc_u32 s23, s23, 0
	v_cmp_lt_i64_e32 vcc, s[22:23], v[24:25]
	v_lshl_add_u64 v[2:3], v[2:3], 0, s[20:21]
	v_lshl_add_u64 v[4:5], v[4:5], 0, s[20:21]
	;; [unrolled: 1-line block ×8, first 2 shown]
	s_cbranch_vccz .LBB140_20
.LBB140_4:                              ; =>This Inner Loop Header: Depth=1
	s_waitcnt vmcnt(0)
	v_lshl_add_u64 v[26:27], v[0:1], 0, s[22:23]
	v_cmp_gt_u64_e64 s[6:7], s[18:19], v[26:27]
	v_mov_b32_e32 v28, 0
	s_and_saveexec_b64 s[2:3], s[6:7]
	s_cbranch_execz .LBB140_6
; %bb.5:                                ;   in Loop: Header=BB140_4 Depth=1
	v_lshl_add_u64 v[26:27], v[2:3], 0, s[12:13]
	global_load_dword v28, v[26:27], off
.LBB140_6:                              ;   in Loop: Header=BB140_4 Depth=1
	s_or_b64 exec, exec, s[2:3]
	v_lshl_add_u64 v[26:27], v[18:19], 0, s[22:23]
	v_cmp_gt_u64_e64 s[2:3], s[18:19], v[26:27]
	v_mov_b32_e32 v26, 0
	v_mov_b32_e32 v29, 0
	s_and_saveexec_b64 s[4:5], s[2:3]
	s_cbranch_execz .LBB140_8
; %bb.7:                                ;   in Loop: Header=BB140_4 Depth=1
	v_lshl_add_u64 v[30:31], v[20:21], 0, s[12:13]
	global_load_dword v29, v[30:31], off
.LBB140_8:                              ;   in Loop: Header=BB140_4 Depth=1
	s_or_b64 exec, exec, s[4:5]
	v_lshl_add_u64 v[30:31], v[16:17], 0, s[22:23]
	v_cmp_gt_u64_e64 s[4:5], s[18:19], v[30:31]
	s_and_saveexec_b64 s[8:9], s[4:5]
	s_cbranch_execz .LBB140_10
; %bb.9:                                ;   in Loop: Header=BB140_4 Depth=1
	v_lshl_add_u64 v[26:27], v[12:13], 0, s[12:13]
	global_load_dword v26, v[26:27], off
.LBB140_10:                             ;   in Loop: Header=BB140_4 Depth=1
	s_or_b64 exec, exec, s[8:9]
	v_lshl_add_u64 v[30:31], v[10:11], 0, s[22:23]
	v_cmp_gt_u64_e32 vcc, s[18:19], v[30:31]
	v_mov_b32_e32 v27, 0
	s_and_saveexec_b64 s[8:9], vcc
	s_cbranch_execnz .LBB140_15
; %bb.11:                               ;   in Loop: Header=BB140_4 Depth=1
	s_or_b64 exec, exec, s[8:9]
	s_and_saveexec_b64 s[24:25], s[6:7]
	s_cbranch_execnz .LBB140_16
.LBB140_12:                             ;   in Loop: Header=BB140_4 Depth=1
	s_or_b64 exec, exec, s[24:25]
	s_and_saveexec_b64 s[8:9], s[2:3]
	s_cbranch_execnz .LBB140_17
.LBB140_13:                             ;   in Loop: Header=BB140_4 Depth=1
	s_or_b64 exec, exec, s[8:9]
	s_and_saveexec_b64 s[6:7], s[4:5]
	s_cbranch_execnz .LBB140_18
.LBB140_14:                             ;   in Loop: Header=BB140_4 Depth=1
	s_or_b64 exec, exec, s[6:7]
	s_and_saveexec_b64 s[4:5], vcc
	s_cbranch_execz .LBB140_3
	s_branch .LBB140_19
.LBB140_15:                             ;   in Loop: Header=BB140_4 Depth=1
	v_lshl_add_u64 v[30:31], v[6:7], 0, s[12:13]
	global_load_dword v27, v[30:31], off
	s_or_b64 exec, exec, s[8:9]
	s_and_saveexec_b64 s[24:25], s[6:7]
	s_cbranch_execz .LBB140_12
.LBB140_16:                             ;   in Loop: Header=BB140_4 Depth=1
	s_waitcnt vmcnt(0)
	v_cmp_u_f32_e64 s[6:7], v28, v28
	v_cmp_lt_f32_e64 s[8:9], s28, v28
	v_mov_b32_e32 v30, s28
	s_or_b64 s[6:7], s[6:7], s[8:9]
	v_cndmask_b32_e64 v28, v30, v28, s[6:7]
	v_lshl_add_u64 v[30:31], v[4:5], 0, s[12:13]
	global_store_dword v[30:31], v28, off
	s_or_b64 exec, exec, s[24:25]
	s_and_saveexec_b64 s[8:9], s[2:3]
	s_cbranch_execz .LBB140_13
.LBB140_17:                             ;   in Loop: Header=BB140_4 Depth=1
	s_waitcnt vmcnt(0)
	v_cmp_u_f32_e64 s[2:3], v29, v29
	v_cmp_lt_f32_e64 s[6:7], s28, v29
	v_mov_b32_e32 v28, s28
	s_or_b64 s[2:3], s[2:3], s[6:7]
	v_cndmask_b32_e64 v30, v28, v29, s[2:3]
	v_lshl_add_u64 v[28:29], v[22:23], 0, s[12:13]
	global_store_dword v[28:29], v30, off
	s_or_b64 exec, exec, s[8:9]
	s_and_saveexec_b64 s[6:7], s[4:5]
	s_cbranch_execz .LBB140_14
.LBB140_18:                             ;   in Loop: Header=BB140_4 Depth=1
	s_waitcnt vmcnt(0)
	v_cmp_u_f32_e64 s[2:3], v26, v26
	v_cmp_lt_f32_e64 s[4:5], s28, v26
	v_mov_b32_e32 v28, s28
	s_or_b64 s[2:3], s[2:3], s[4:5]
	v_cndmask_b32_e64 v26, v28, v26, s[2:3]
	v_lshl_add_u64 v[28:29], v[14:15], 0, s[12:13]
	global_store_dword v[28:29], v26, off
	s_or_b64 exec, exec, s[6:7]
	s_and_saveexec_b64 s[4:5], vcc
	s_cbranch_execz .LBB140_3
.LBB140_19:                             ;   in Loop: Header=BB140_4 Depth=1
	s_waitcnt vmcnt(0)
	v_cmp_u_f32_e32 vcc, v27, v27
	v_cmp_lt_f32_e64 s[2:3], s28, v27
	v_mov_b32_e32 v26, s28
	s_or_b64 vcc, vcc, s[2:3]
	v_cndmask_b32_e32 v28, v26, v27, vcc
	v_lshl_add_u64 v[26:27], v[8:9], 0, s[12:13]
	global_store_dword v[26:27], v28, off
	s_branch .LBB140_3
.LBB140_20:
	s_mov_b64 s[2:3], 0
.LBB140_21:
	s_andn2_b64 vcc, exec, s[2:3]
	s_cbranch_vccnz .LBB140_25
; %bb.22:
	v_mov_b64_e32 v[4:5], 0x10000
	v_cmp_lt_i64_e32 vcc, s[14:15], v[4:5]
	s_and_b64 s[2:3], vcc, exec
	v_mov_b32_e32 v3, 0
	s_cselect_b32 s21, s15, 0
	s_cselect_b32 s20, s14, 0x10000
	v_lshlrev_b32_e32 v2, 2, v0
	s_mov_b32 s19, 0
	v_cmp_gt_i64_e32 vcc, s[20:21], v[2:3]
	s_and_saveexec_b64 s[2:3], vcc
	s_cbranch_execz .LBB140_25
; %bb.23:
	s_load_dword s0, s[0:1], 0xc5c
	v_lshlrev_b32_e32 v2, 4, v0
	v_mov_b32_e32 v1, v3
	s_mov_b32 s29, s28
	v_lshl_add_u64 v[2:3], s[12:13], 0, v[2:3]
	s_waitcnt lgkmcnt(0)
	s_and_b32 s18, s0, 0xffff
	s_lshl_b32 s22, s18, 4
	s_add_u32 s24, s10, 8
	s_mov_b32 s23, s19
	s_addc_u32 s25, s11, 0
	s_mov_b64 s[26:27], 0
	v_mov_b32_e32 v4, s28
	v_mov_b32_e32 v5, s28
.LBB140_24:                             ; =>This Inner Loop Header: Depth=1
	v_lshl_add_u64 v[6:7], s[24:25], 0, v[2:3]
	global_load_dwordx4 v[6:9], v[6:7], off offset:-8
	v_lshl_add_u64 v[0:1], v[0:1], 0, s[18:19]
	v_lshlrev_b64 v[12:13], 2, v[0:1]
	v_cmp_le_i64_e32 vcc, s[20:21], v[12:13]
	v_lshl_add_u64 v[10:11], s[16:17], 0, v[2:3]
	v_lshl_add_u64 v[2:3], v[2:3], 0, s[22:23]
	s_waitcnt vmcnt(0)
	v_cmp_u_f32_e64 s[0:1], v7, v7
	v_cmp_lt_f32_e64 s[4:5], s29, v7
	v_cmp_u_f32_e64 s[2:3], v6, v6
	v_cmp_lt_f32_e64 s[6:7], s28, v6
	s_or_b64 s[0:1], s[0:1], s[4:5]
	v_cmp_u_f32_e64 s[8:9], v9, v9
	v_cmp_lt_f32_e64 s[12:13], s29, v9
	v_cndmask_b32_e64 v7, v4, v7, s[0:1]
	s_or_b64 s[0:1], s[2:3], s[6:7]
	v_cmp_u_f32_e64 s[10:11], v8, v8
	v_cmp_lt_f32_e64 s[14:15], s28, v8
	v_cndmask_b32_e64 v6, v5, v6, s[0:1]
	s_or_b64 s[0:1], s[8:9], s[12:13]
	v_cndmask_b32_e64 v9, v4, v9, s[0:1]
	s_or_b64 s[0:1], s[10:11], s[14:15]
	v_cndmask_b32_e64 v8, v5, v8, s[0:1]
	s_or_b64 s[26:27], vcc, s[26:27]
	global_store_dwordx4 v[10:11], v[6:9], off
	s_andn2_b64 exec, exec, s[26:27]
	s_cbranch_execnz .LBB140_24
.LBB140_25:
	s_endpgm
	.section	.rodata,"a",@progbits
	.p2align	6, 0x0
	.amdhsa_kernel _ZN2at6native12_GLOBAL__N_125multi_tensor_apply_kernelINS1_18TensorListMetadataILi2EEENS1_21BinaryOpScalarFunctorIfLi2ELi1ELi1EEEJNS0_7maximumIfEEfEEEvT_T0_DpT1_
		.amdhsa_group_segment_fixed_size 0
		.amdhsa_private_segment_fixed_size 0
		.amdhsa_kernarg_size 3408
		.amdhsa_user_sgpr_count 2
		.amdhsa_user_sgpr_dispatch_ptr 0
		.amdhsa_user_sgpr_queue_ptr 0
		.amdhsa_user_sgpr_kernarg_segment_ptr 1
		.amdhsa_user_sgpr_dispatch_id 0
		.amdhsa_user_sgpr_kernarg_preload_length 0
		.amdhsa_user_sgpr_kernarg_preload_offset 0
		.amdhsa_user_sgpr_private_segment_size 0
		.amdhsa_uses_dynamic_stack 0
		.amdhsa_enable_private_segment 0
		.amdhsa_system_sgpr_workgroup_id_x 1
		.amdhsa_system_sgpr_workgroup_id_y 0
		.amdhsa_system_sgpr_workgroup_id_z 0
		.amdhsa_system_sgpr_workgroup_info 0
		.amdhsa_system_vgpr_workitem_id 0
		.amdhsa_next_free_vgpr 32
		.amdhsa_next_free_sgpr 30
		.amdhsa_accum_offset 32
		.amdhsa_reserve_vcc 1
		.amdhsa_float_round_mode_32 0
		.amdhsa_float_round_mode_16_64 0
		.amdhsa_float_denorm_mode_32 3
		.amdhsa_float_denorm_mode_16_64 3
		.amdhsa_dx10_clamp 1
		.amdhsa_ieee_mode 1
		.amdhsa_fp16_overflow 0
		.amdhsa_tg_split 0
		.amdhsa_exception_fp_ieee_invalid_op 0
		.amdhsa_exception_fp_denorm_src 0
		.amdhsa_exception_fp_ieee_div_zero 0
		.amdhsa_exception_fp_ieee_overflow 0
		.amdhsa_exception_fp_ieee_underflow 0
		.amdhsa_exception_fp_ieee_inexact 0
		.amdhsa_exception_int_div_zero 0
	.end_amdhsa_kernel
	.section	.text._ZN2at6native12_GLOBAL__N_125multi_tensor_apply_kernelINS1_18TensorListMetadataILi2EEENS1_21BinaryOpScalarFunctorIfLi2ELi1ELi1EEEJNS0_7maximumIfEEfEEEvT_T0_DpT1_,"axG",@progbits,_ZN2at6native12_GLOBAL__N_125multi_tensor_apply_kernelINS1_18TensorListMetadataILi2EEENS1_21BinaryOpScalarFunctorIfLi2ELi1ELi1EEEJNS0_7maximumIfEEfEEEvT_T0_DpT1_,comdat
.Lfunc_end140:
	.size	_ZN2at6native12_GLOBAL__N_125multi_tensor_apply_kernelINS1_18TensorListMetadataILi2EEENS1_21BinaryOpScalarFunctorIfLi2ELi1ELi1EEEJNS0_7maximumIfEEfEEEvT_T0_DpT1_, .Lfunc_end140-_ZN2at6native12_GLOBAL__N_125multi_tensor_apply_kernelINS1_18TensorListMetadataILi2EEENS1_21BinaryOpScalarFunctorIfLi2ELi1ELi1EEEJNS0_7maximumIfEEfEEEvT_T0_DpT1_
                                        ; -- End function
	.set _ZN2at6native12_GLOBAL__N_125multi_tensor_apply_kernelINS1_18TensorListMetadataILi2EEENS1_21BinaryOpScalarFunctorIfLi2ELi1ELi1EEEJNS0_7maximumIfEEfEEEvT_T0_DpT1_.num_vgpr, 32
	.set _ZN2at6native12_GLOBAL__N_125multi_tensor_apply_kernelINS1_18TensorListMetadataILi2EEENS1_21BinaryOpScalarFunctorIfLi2ELi1ELi1EEEJNS0_7maximumIfEEfEEEvT_T0_DpT1_.num_agpr, 0
	.set _ZN2at6native12_GLOBAL__N_125multi_tensor_apply_kernelINS1_18TensorListMetadataILi2EEENS1_21BinaryOpScalarFunctorIfLi2ELi1ELi1EEEJNS0_7maximumIfEEfEEEvT_T0_DpT1_.numbered_sgpr, 30
	.set _ZN2at6native12_GLOBAL__N_125multi_tensor_apply_kernelINS1_18TensorListMetadataILi2EEENS1_21BinaryOpScalarFunctorIfLi2ELi1ELi1EEEJNS0_7maximumIfEEfEEEvT_T0_DpT1_.num_named_barrier, 0
	.set _ZN2at6native12_GLOBAL__N_125multi_tensor_apply_kernelINS1_18TensorListMetadataILi2EEENS1_21BinaryOpScalarFunctorIfLi2ELi1ELi1EEEJNS0_7maximumIfEEfEEEvT_T0_DpT1_.private_seg_size, 0
	.set _ZN2at6native12_GLOBAL__N_125multi_tensor_apply_kernelINS1_18TensorListMetadataILi2EEENS1_21BinaryOpScalarFunctorIfLi2ELi1ELi1EEEJNS0_7maximumIfEEfEEEvT_T0_DpT1_.uses_vcc, 1
	.set _ZN2at6native12_GLOBAL__N_125multi_tensor_apply_kernelINS1_18TensorListMetadataILi2EEENS1_21BinaryOpScalarFunctorIfLi2ELi1ELi1EEEJNS0_7maximumIfEEfEEEvT_T0_DpT1_.uses_flat_scratch, 0
	.set _ZN2at6native12_GLOBAL__N_125multi_tensor_apply_kernelINS1_18TensorListMetadataILi2EEENS1_21BinaryOpScalarFunctorIfLi2ELi1ELi1EEEJNS0_7maximumIfEEfEEEvT_T0_DpT1_.has_dyn_sized_stack, 0
	.set _ZN2at6native12_GLOBAL__N_125multi_tensor_apply_kernelINS1_18TensorListMetadataILi2EEENS1_21BinaryOpScalarFunctorIfLi2ELi1ELi1EEEJNS0_7maximumIfEEfEEEvT_T0_DpT1_.has_recursion, 0
	.set _ZN2at6native12_GLOBAL__N_125multi_tensor_apply_kernelINS1_18TensorListMetadataILi2EEENS1_21BinaryOpScalarFunctorIfLi2ELi1ELi1EEEJNS0_7maximumIfEEfEEEvT_T0_DpT1_.has_indirect_call, 0
	.section	.AMDGPU.csdata,"",@progbits
; Kernel info:
; codeLenInByte = 1320
; TotalNumSgprs: 36
; NumVgprs: 32
; NumAgprs: 0
; TotalNumVgprs: 32
; ScratchSize: 0
; MemoryBound: 0
; FloatMode: 240
; IeeeMode: 1
; LDSByteSize: 0 bytes/workgroup (compile time only)
; SGPRBlocks: 4
; VGPRBlocks: 3
; NumSGPRsForWavesPerEU: 36
; NumVGPRsForWavesPerEU: 32
; AccumOffset: 32
; Occupancy: 8
; WaveLimiterHint : 0
; COMPUTE_PGM_RSRC2:SCRATCH_EN: 0
; COMPUTE_PGM_RSRC2:USER_SGPR: 2
; COMPUTE_PGM_RSRC2:TRAP_HANDLER: 0
; COMPUTE_PGM_RSRC2:TGID_X_EN: 1
; COMPUTE_PGM_RSRC2:TGID_Y_EN: 0
; COMPUTE_PGM_RSRC2:TGID_Z_EN: 0
; COMPUTE_PGM_RSRC2:TIDIG_COMP_CNT: 0
; COMPUTE_PGM_RSRC3_GFX90A:ACCUM_OFFSET: 7
; COMPUTE_PGM_RSRC3_GFX90A:TG_SPLIT: 0
	.section	.text._ZN2at6native12_GLOBAL__N_125multi_tensor_apply_kernelINS1_18TensorListMetadataILi2EEENS1_21BinaryOpScalarFunctorIN3c104HalfELi2ELi1ELi1EEEJNS0_7maximumIfEEfEEEvT_T0_DpT1_,"axG",@progbits,_ZN2at6native12_GLOBAL__N_125multi_tensor_apply_kernelINS1_18TensorListMetadataILi2EEENS1_21BinaryOpScalarFunctorIN3c104HalfELi2ELi1ELi1EEEJNS0_7maximumIfEEfEEEvT_T0_DpT1_,comdat
	.globl	_ZN2at6native12_GLOBAL__N_125multi_tensor_apply_kernelINS1_18TensorListMetadataILi2EEENS1_21BinaryOpScalarFunctorIN3c104HalfELi2ELi1ELi1EEEJNS0_7maximumIfEEfEEEvT_T0_DpT1_ ; -- Begin function _ZN2at6native12_GLOBAL__N_125multi_tensor_apply_kernelINS1_18TensorListMetadataILi2EEENS1_21BinaryOpScalarFunctorIN3c104HalfELi2ELi1ELi1EEEJNS0_7maximumIfEEfEEEvT_T0_DpT1_
	.p2align	8
	.type	_ZN2at6native12_GLOBAL__N_125multi_tensor_apply_kernelINS1_18TensorListMetadataILi2EEENS1_21BinaryOpScalarFunctorIN3c104HalfELi2ELi1ELi1EEEJNS0_7maximumIfEEfEEEvT_T0_DpT1_,@function
_ZN2at6native12_GLOBAL__N_125multi_tensor_apply_kernelINS1_18TensorListMetadataILi2EEENS1_21BinaryOpScalarFunctorIN3c104HalfELi2ELi1ELi1EEEJNS0_7maximumIfEEfEEEvT_T0_DpT1_: ; @_ZN2at6native12_GLOBAL__N_125multi_tensor_apply_kernelINS1_18TensorListMetadataILi2EEENS1_21BinaryOpScalarFunctorIN3c104HalfELi2ELi1ELi1EEEJNS0_7maximumIfEEfEEEvT_T0_DpT1_
; %bb.0:
	v_mov_b32_e32 v1, s2
	global_load_ubyte v1, v1, s[0:1] offset:1536
	s_add_u32 s4, s0, s2
	s_mul_hi_u32 s7, s2, 3
	s_mul_i32 s2, s2, 3
	s_addc_u32 s8, s1, 0
	s_add_u32 s6, s4, s2
	s_addc_u32 s7, s8, s7
	s_load_dword s6, s[6:7], 0x740
	s_mov_b32 s3, 0
	s_mov_b32 s5, s3
	s_waitcnt lgkmcnt(0)
	s_ashr_i32 s7, s6, 31
	s_lshl_b64 s[10:11], s[6:7], 17
	s_lshl_b64 s[6:7], s[6:7], 16
	s_waitcnt vmcnt(0)
	v_readfirstlane_b32 s2, v1
	s_lshl_b32 s2, s2, 3
	s_load_dword s28, s[0:1], 0xc4c
	s_load_dwordx2 s[8:9], s[0:1], s2 offset:0x400
	s_load_dwordx2 s[16:17], s[0:1], s2 offset:0x0
	;; [unrolled: 1-line block ×3, first 2 shown]
	s_waitcnt lgkmcnt(0)
	s_add_u32 s2, s16, s10
	s_and_b32 s4, s18, 7
	s_and_b32 s2, s2, 7
	s_sub_u32 s12, s8, s6
	s_subb_u32 s13, s9, s7
	s_and_b32 s6, s8, 3
	s_mov_b32 s7, s3
	s_or_b64 s[4:5], s[4:5], s[6:7]
	s_or_b64 s[2:3], s[4:5], s[2:3]
	s_cmp_eq_u64 s[2:3], 0
	s_mov_b64 s[2:3], -1
	s_cbranch_scc1 .LBB141_21
; %bb.1:
	v_cmp_lt_i64_e64 s[2:3], s[12:13], 1
	s_and_b64 vcc, exec, s[2:3]
	s_cbranch_vccnz .LBB141_20
; %bb.2:
	s_load_dword s2, s[0:1], 0xc5c
	v_mov_b64_e32 v[2:3], 0x10000
	v_cmp_lt_i64_e32 vcc, s[12:13], v[2:3]
	s_and_b64 s[4:5], vcc, exec
	s_cselect_b32 s5, s13, 0
	s_cselect_b32 s4, s12, 0x10000
	s_waitcnt lgkmcnt(0)
	s_and_b32 s2, s2, 0xffff
	v_cmp_lt_u64_e32 vcc, s[12:13], v[2:3]
	s_mov_b32 s3, 0
	v_mov_b32_e32 v1, 0
	s_and_b64 s[6:7], vcc, exec
	v_cvt_f16_f32_e32 v26, s28
	s_cselect_b32 s15, s13, 0
	s_cselect_b32 s14, s12, 0x10000
	s_lshl_b32 s20, s2, 2
	s_mov_b32 s21, s3
	v_lshlrev_b32_e32 v12, 1, v0
	v_mov_b32_e32 v13, v1
	v_lshl_add_u64 v[18:19], v[0:1], 0, s[2:3]
	s_lshl_b32 s6, s2, 1
	s_mov_b32 s7, s3
	s_mul_i32 s8, s2, 3
	s_mov_b32 s9, s3
	v_mad_u64_u32 v[8:9], s[24:25], s2, 6, v[12:13]
	v_lshl_add_u64 v[14:15], s[20:21], 0, v[12:13]
	v_lshlrev_b32_e32 v22, 1, v18
	v_mov_b32_e32 v23, v1
	v_lshl_add_u64 v[2:3], s[16:17], 0, v[12:13]
	s_lshl_b32 s22, s2, 3
	s_mov_b32 s23, s3
	v_lshl_add_u64 v[4:5], s[18:19], 0, v[12:13]
	v_lshl_add_u64 v[6:7], s[16:17], 0, v[8:9]
	;; [unrolled: 1-line block ×9, first 2 shown]
	s_mov_b64 s[24:25], 0
	v_mov_b64_e32 v[24:25], s[4:5]
	s_branch .LBB141_4
.LBB141_3:                              ;   in Loop: Header=BB141_4 Depth=1
	s_or_b64 exec, exec, s[4:5]
	s_add_u32 s24, s24, s20
	s_addc_u32 s25, s25, 0
	v_cmp_lt_i64_e32 vcc, s[24:25], v[24:25]
	v_lshl_add_u64 v[2:3], v[2:3], 0, s[22:23]
	v_lshl_add_u64 v[4:5], v[4:5], 0, s[22:23]
	;; [unrolled: 1-line block ×8, first 2 shown]
	s_cbranch_vccz .LBB141_20
.LBB141_4:                              ; =>This Inner Loop Header: Depth=1
	s_waitcnt vmcnt(0)
	v_lshl_add_u64 v[28:29], v[0:1], 0, s[24:25]
	v_cmp_gt_u64_e64 s[2:3], s[14:15], v[28:29]
	v_mov_b32_e32 v28, 0
	s_and_saveexec_b64 s[4:5], s[2:3]
	s_cbranch_execz .LBB141_6
; %bb.5:                                ;   in Loop: Header=BB141_4 Depth=1
	v_lshl_add_u64 v[28:29], v[2:3], 0, s[10:11]
	global_load_ushort v28, v[28:29], off
.LBB141_6:                              ;   in Loop: Header=BB141_4 Depth=1
	s_or_b64 exec, exec, s[4:5]
	v_lshl_add_u64 v[30:31], v[18:19], 0, s[24:25]
	v_cmp_gt_u64_e32 vcc, s[14:15], v[30:31]
	v_mov_b32_e32 v27, 0
	v_mov_b32_e32 v29, 0
	s_and_saveexec_b64 s[4:5], vcc
	s_cbranch_execz .LBB141_8
; %bb.7:                                ;   in Loop: Header=BB141_4 Depth=1
	v_lshl_add_u64 v[30:31], v[20:21], 0, s[10:11]
	global_load_ushort v29, v[30:31], off
.LBB141_8:                              ;   in Loop: Header=BB141_4 Depth=1
	s_or_b64 exec, exec, s[4:5]
	v_lshl_add_u64 v[30:31], v[16:17], 0, s[24:25]
	v_cmp_gt_u64_e64 s[4:5], s[14:15], v[30:31]
	s_and_saveexec_b64 s[6:7], s[4:5]
	s_cbranch_execz .LBB141_10
; %bb.9:                                ;   in Loop: Header=BB141_4 Depth=1
	v_lshl_add_u64 v[30:31], v[12:13], 0, s[10:11]
	global_load_ushort v27, v[30:31], off
.LBB141_10:                             ;   in Loop: Header=BB141_4 Depth=1
	s_or_b64 exec, exec, s[6:7]
	v_lshl_add_u64 v[30:31], v[10:11], 0, s[24:25]
	v_cmp_gt_u64_e64 s[6:7], s[14:15], v[30:31]
	v_mov_b32_e32 v30, 0
	s_and_saveexec_b64 s[8:9], s[6:7]
	s_cbranch_execnz .LBB141_15
; %bb.11:                               ;   in Loop: Header=BB141_4 Depth=1
	s_or_b64 exec, exec, s[8:9]
	s_and_saveexec_b64 s[26:27], s[2:3]
	s_cbranch_execnz .LBB141_16
.LBB141_12:                             ;   in Loop: Header=BB141_4 Depth=1
	s_or_b64 exec, exec, s[26:27]
	s_and_saveexec_b64 s[8:9], vcc
	s_cbranch_execnz .LBB141_17
.LBB141_13:                             ;   in Loop: Header=BB141_4 Depth=1
	s_or_b64 exec, exec, s[8:9]
	s_and_saveexec_b64 s[8:9], s[4:5]
	s_cbranch_execnz .LBB141_18
.LBB141_14:                             ;   in Loop: Header=BB141_4 Depth=1
	s_or_b64 exec, exec, s[8:9]
	s_and_saveexec_b64 s[4:5], s[6:7]
	s_cbranch_execz .LBB141_3
	s_branch .LBB141_19
.LBB141_15:                             ;   in Loop: Header=BB141_4 Depth=1
	v_lshl_add_u64 v[30:31], v[6:7], 0, s[10:11]
	global_load_ushort v30, v[30:31], off
	s_or_b64 exec, exec, s[8:9]
	s_and_saveexec_b64 s[26:27], s[2:3]
	s_cbranch_execz .LBB141_12
.LBB141_16:                             ;   in Loop: Header=BB141_4 Depth=1
	s_waitcnt vmcnt(0)
	v_cvt_f32_f16_e32 v31, v28
	v_cmp_u_f16_e64 s[2:3], v28, v28
	v_lshl_add_u64 v[32:33], v[4:5], 0, s[10:11]
	v_cmp_lt_f32_e64 s[8:9], s28, v31
	s_or_b64 s[2:3], s[2:3], s[8:9]
	v_cndmask_b32_e64 v28, v26, v28, s[2:3]
	global_store_short v[32:33], v28, off
	s_or_b64 exec, exec, s[26:27]
	s_and_saveexec_b64 s[8:9], vcc
	s_cbranch_execz .LBB141_13
.LBB141_17:                             ;   in Loop: Header=BB141_4 Depth=1
	s_waitcnt vmcnt(0)
	v_cvt_f32_f16_e32 v28, v29
	v_cmp_u_f16_e32 vcc, v29, v29
	v_cmp_lt_f32_e64 s[2:3], s28, v28
	s_or_b64 vcc, vcc, s[2:3]
	v_cndmask_b32_e32 v31, v26, v29, vcc
	v_lshl_add_u64 v[28:29], v[22:23], 0, s[10:11]
	global_store_short v[28:29], v31, off
	s_or_b64 exec, exec, s[8:9]
	s_and_saveexec_b64 s[8:9], s[4:5]
	s_cbranch_execz .LBB141_14
.LBB141_18:                             ;   in Loop: Header=BB141_4 Depth=1
	s_waitcnt vmcnt(0)
	v_cvt_f32_f16_e32 v28, v27
	v_cmp_u_f16_e32 vcc, v27, v27
	v_cmp_lt_f32_e64 s[2:3], s28, v28
	s_or_b64 vcc, vcc, s[2:3]
	v_cndmask_b32_e32 v27, v26, v27, vcc
	v_lshl_add_u64 v[28:29], v[14:15], 0, s[10:11]
	global_store_short v[28:29], v27, off
	s_or_b64 exec, exec, s[8:9]
	s_and_saveexec_b64 s[4:5], s[6:7]
	s_cbranch_execz .LBB141_3
.LBB141_19:                             ;   in Loop: Header=BB141_4 Depth=1
	s_waitcnt vmcnt(0)
	v_cvt_f32_f16_e32 v27, v30
	v_cmp_u_f16_e32 vcc, v30, v30
	v_lshl_add_u64 v[28:29], v[8:9], 0, s[10:11]
	v_cmp_lt_f32_e64 s[2:3], s28, v27
	s_or_b64 vcc, vcc, s[2:3]
	v_cndmask_b32_e32 v27, v26, v30, vcc
	global_store_short v[28:29], v27, off
	s_branch .LBB141_3
.LBB141_20:
	s_mov_b64 s[2:3], 0
.LBB141_21:
	s_andn2_b64 vcc, exec, s[2:3]
	s_cbranch_vccnz .LBB141_25
; %bb.22:
	v_mov_b64_e32 v[4:5], 0x10000
	v_cmp_lt_i64_e32 vcc, s[12:13], v[4:5]
	s_and_b64 s[2:3], vcc, exec
	v_mov_b32_e32 v3, 0
	s_cselect_b32 s23, s13, 0
	s_cselect_b32 s22, s12, 0x10000
	v_lshlrev_b32_e32 v2, 2, v0
	s_mov_b32 s21, 0
	v_cmp_gt_i64_e32 vcc, s[22:23], v[2:3]
	s_and_saveexec_b64 s[2:3], vcc
	s_cbranch_execz .LBB141_25
; %bb.23:
	s_load_dword s0, s[0:1], 0xc5c
	v_cvt_f16_f32_e32 v2, s28
	v_mov_b32_e32 v1, v3
	s_mov_b32 s29, s28
	s_mov_b32 s30, s28
	s_waitcnt lgkmcnt(0)
	s_and_b32 s20, s0, 0xffff
	v_lshl_or_b32 v4, v2, 16, v2
	v_lshlrev_b32_e32 v2, 3, v0
	s_mov_b32 s31, s28
	v_lshl_add_u64 v[2:3], s[10:11], 0, v[2:3]
	s_lshl_b32 s24, s20, 3
	s_mov_b32 s25, s21
	s_mov_b64 s[26:27], 0
	v_lshrrev_b32_e32 v5, 16, v4
	s_mov_b32 s33, 0x5040100
.LBB141_24:                             ; =>This Inner Loop Header: Depth=1
	v_lshl_add_u64 v[6:7], s[16:17], 0, v[2:3]
	global_load_dwordx2 v[6:7], v[6:7], off
	v_lshl_add_u64 v[0:1], v[0:1], 0, s[20:21]
	v_lshlrev_b64 v[10:11], 2, v[0:1]
	v_cmp_le_i64_e32 vcc, s[22:23], v[10:11]
	v_lshl_add_u64 v[8:9], s[18:19], 0, v[2:3]
	v_lshl_add_u64 v[2:3], v[2:3], 0, s[24:25]
	s_waitcnt vmcnt(0)
	v_cvt_f32_f16_e32 v13, v7
	v_cvt_f32_f16_e32 v11, v6
	v_lshrrev_b32_e32 v12, 16, v7
	v_lshrrev_b32_e32 v10, 16, v6
	v_cvt_f32_f16_e32 v15, v12
	v_cvt_f32_f16_e32 v14, v10
	v_cmp_u_f16_e64 s[0:1], v7, v7
	v_cmp_lt_f32_e64 s[8:9], s30, v13
	v_cmp_u_f16_e64 s[2:3], v6, v6
	v_cmp_lt_f32_e64 s[10:11], s28, v11
	s_or_b64 s[0:1], s[0:1], s[8:9]
	v_cmp_u_f16_e64 s[4:5], v12, v12
	v_cmp_lt_f32_e64 s[12:13], s31, v15
	v_cndmask_b32_e64 v7, v4, v7, s[0:1]
	s_or_b64 s[0:1], s[2:3], s[10:11]
	v_cmp_u_f16_e64 s[6:7], v10, v10
	v_cmp_lt_f32_e64 s[14:15], s29, v14
	v_cndmask_b32_e64 v6, v4, v6, s[0:1]
	s_or_b64 s[0:1], s[4:5], s[12:13]
	v_cndmask_b32_e64 v11, v5, v12, s[0:1]
	s_or_b64 s[0:1], s[6:7], s[14:15]
	v_cndmask_b32_e64 v10, v5, v10, s[0:1]
	v_perm_b32 v7, v11, v7, s33
	v_perm_b32 v6, v10, v6, s33
	s_or_b64 s[26:27], vcc, s[26:27]
	global_store_dwordx2 v[8:9], v[6:7], off
	s_andn2_b64 exec, exec, s[26:27]
	s_cbranch_execnz .LBB141_24
.LBB141_25:
	s_endpgm
	.section	.rodata,"a",@progbits
	.p2align	6, 0x0
	.amdhsa_kernel _ZN2at6native12_GLOBAL__N_125multi_tensor_apply_kernelINS1_18TensorListMetadataILi2EEENS1_21BinaryOpScalarFunctorIN3c104HalfELi2ELi1ELi1EEEJNS0_7maximumIfEEfEEEvT_T0_DpT1_
		.amdhsa_group_segment_fixed_size 0
		.amdhsa_private_segment_fixed_size 0
		.amdhsa_kernarg_size 3408
		.amdhsa_user_sgpr_count 2
		.amdhsa_user_sgpr_dispatch_ptr 0
		.amdhsa_user_sgpr_queue_ptr 0
		.amdhsa_user_sgpr_kernarg_segment_ptr 1
		.amdhsa_user_sgpr_dispatch_id 0
		.amdhsa_user_sgpr_kernarg_preload_length 0
		.amdhsa_user_sgpr_kernarg_preload_offset 0
		.amdhsa_user_sgpr_private_segment_size 0
		.amdhsa_uses_dynamic_stack 0
		.amdhsa_enable_private_segment 0
		.amdhsa_system_sgpr_workgroup_id_x 1
		.amdhsa_system_sgpr_workgroup_id_y 0
		.amdhsa_system_sgpr_workgroup_id_z 0
		.amdhsa_system_sgpr_workgroup_info 0
		.amdhsa_system_vgpr_workitem_id 0
		.amdhsa_next_free_vgpr 34
		.amdhsa_next_free_sgpr 34
		.amdhsa_accum_offset 36
		.amdhsa_reserve_vcc 1
		.amdhsa_float_round_mode_32 0
		.amdhsa_float_round_mode_16_64 0
		.amdhsa_float_denorm_mode_32 3
		.amdhsa_float_denorm_mode_16_64 3
		.amdhsa_dx10_clamp 1
		.amdhsa_ieee_mode 1
		.amdhsa_fp16_overflow 0
		.amdhsa_tg_split 0
		.amdhsa_exception_fp_ieee_invalid_op 0
		.amdhsa_exception_fp_denorm_src 0
		.amdhsa_exception_fp_ieee_div_zero 0
		.amdhsa_exception_fp_ieee_overflow 0
		.amdhsa_exception_fp_ieee_underflow 0
		.amdhsa_exception_fp_ieee_inexact 0
		.amdhsa_exception_int_div_zero 0
	.end_amdhsa_kernel
	.section	.text._ZN2at6native12_GLOBAL__N_125multi_tensor_apply_kernelINS1_18TensorListMetadataILi2EEENS1_21BinaryOpScalarFunctorIN3c104HalfELi2ELi1ELi1EEEJNS0_7maximumIfEEfEEEvT_T0_DpT1_,"axG",@progbits,_ZN2at6native12_GLOBAL__N_125multi_tensor_apply_kernelINS1_18TensorListMetadataILi2EEENS1_21BinaryOpScalarFunctorIN3c104HalfELi2ELi1ELi1EEEJNS0_7maximumIfEEfEEEvT_T0_DpT1_,comdat
.Lfunc_end141:
	.size	_ZN2at6native12_GLOBAL__N_125multi_tensor_apply_kernelINS1_18TensorListMetadataILi2EEENS1_21BinaryOpScalarFunctorIN3c104HalfELi2ELi1ELi1EEEJNS0_7maximumIfEEfEEEvT_T0_DpT1_, .Lfunc_end141-_ZN2at6native12_GLOBAL__N_125multi_tensor_apply_kernelINS1_18TensorListMetadataILi2EEENS1_21BinaryOpScalarFunctorIN3c104HalfELi2ELi1ELi1EEEJNS0_7maximumIfEEfEEEvT_T0_DpT1_
                                        ; -- End function
	.set _ZN2at6native12_GLOBAL__N_125multi_tensor_apply_kernelINS1_18TensorListMetadataILi2EEENS1_21BinaryOpScalarFunctorIN3c104HalfELi2ELi1ELi1EEEJNS0_7maximumIfEEfEEEvT_T0_DpT1_.num_vgpr, 34
	.set _ZN2at6native12_GLOBAL__N_125multi_tensor_apply_kernelINS1_18TensorListMetadataILi2EEENS1_21BinaryOpScalarFunctorIN3c104HalfELi2ELi1ELi1EEEJNS0_7maximumIfEEfEEEvT_T0_DpT1_.num_agpr, 0
	.set _ZN2at6native12_GLOBAL__N_125multi_tensor_apply_kernelINS1_18TensorListMetadataILi2EEENS1_21BinaryOpScalarFunctorIN3c104HalfELi2ELi1ELi1EEEJNS0_7maximumIfEEfEEEvT_T0_DpT1_.numbered_sgpr, 34
	.set _ZN2at6native12_GLOBAL__N_125multi_tensor_apply_kernelINS1_18TensorListMetadataILi2EEENS1_21BinaryOpScalarFunctorIN3c104HalfELi2ELi1ELi1EEEJNS0_7maximumIfEEfEEEvT_T0_DpT1_.num_named_barrier, 0
	.set _ZN2at6native12_GLOBAL__N_125multi_tensor_apply_kernelINS1_18TensorListMetadataILi2EEENS1_21BinaryOpScalarFunctorIN3c104HalfELi2ELi1ELi1EEEJNS0_7maximumIfEEfEEEvT_T0_DpT1_.private_seg_size, 0
	.set _ZN2at6native12_GLOBAL__N_125multi_tensor_apply_kernelINS1_18TensorListMetadataILi2EEENS1_21BinaryOpScalarFunctorIN3c104HalfELi2ELi1ELi1EEEJNS0_7maximumIfEEfEEEvT_T0_DpT1_.uses_vcc, 1
	.set _ZN2at6native12_GLOBAL__N_125multi_tensor_apply_kernelINS1_18TensorListMetadataILi2EEENS1_21BinaryOpScalarFunctorIN3c104HalfELi2ELi1ELi1EEEJNS0_7maximumIfEEfEEEvT_T0_DpT1_.uses_flat_scratch, 0
	.set _ZN2at6native12_GLOBAL__N_125multi_tensor_apply_kernelINS1_18TensorListMetadataILi2EEENS1_21BinaryOpScalarFunctorIN3c104HalfELi2ELi1ELi1EEEJNS0_7maximumIfEEfEEEvT_T0_DpT1_.has_dyn_sized_stack, 0
	.set _ZN2at6native12_GLOBAL__N_125multi_tensor_apply_kernelINS1_18TensorListMetadataILi2EEENS1_21BinaryOpScalarFunctorIN3c104HalfELi2ELi1ELi1EEEJNS0_7maximumIfEEfEEEvT_T0_DpT1_.has_recursion, 0
	.set _ZN2at6native12_GLOBAL__N_125multi_tensor_apply_kernelINS1_18TensorListMetadataILi2EEENS1_21BinaryOpScalarFunctorIN3c104HalfELi2ELi1ELi1EEEJNS0_7maximumIfEEfEEEvT_T0_DpT1_.has_indirect_call, 0
	.section	.AMDGPU.csdata,"",@progbits
; Kernel info:
; codeLenInByte = 1364
; TotalNumSgprs: 40
; NumVgprs: 34
; NumAgprs: 0
; TotalNumVgprs: 34
; ScratchSize: 0
; MemoryBound: 0
; FloatMode: 240
; IeeeMode: 1
; LDSByteSize: 0 bytes/workgroup (compile time only)
; SGPRBlocks: 4
; VGPRBlocks: 4
; NumSGPRsForWavesPerEU: 40
; NumVGPRsForWavesPerEU: 34
; AccumOffset: 36
; Occupancy: 8
; WaveLimiterHint : 0
; COMPUTE_PGM_RSRC2:SCRATCH_EN: 0
; COMPUTE_PGM_RSRC2:USER_SGPR: 2
; COMPUTE_PGM_RSRC2:TRAP_HANDLER: 0
; COMPUTE_PGM_RSRC2:TGID_X_EN: 1
; COMPUTE_PGM_RSRC2:TGID_Y_EN: 0
; COMPUTE_PGM_RSRC2:TGID_Z_EN: 0
; COMPUTE_PGM_RSRC2:TIDIG_COMP_CNT: 0
; COMPUTE_PGM_RSRC3_GFX90A:ACCUM_OFFSET: 8
; COMPUTE_PGM_RSRC3_GFX90A:TG_SPLIT: 0
	.section	.text._ZN2at6native12_GLOBAL__N_125multi_tensor_apply_kernelINS1_18TensorListMetadataILi2EEENS1_21BinaryOpScalarFunctorIN3c108BFloat16ELi2ELi1ELi1EEEJNS0_7maximumIfEEfEEEvT_T0_DpT1_,"axG",@progbits,_ZN2at6native12_GLOBAL__N_125multi_tensor_apply_kernelINS1_18TensorListMetadataILi2EEENS1_21BinaryOpScalarFunctorIN3c108BFloat16ELi2ELi1ELi1EEEJNS0_7maximumIfEEfEEEvT_T0_DpT1_,comdat
	.globl	_ZN2at6native12_GLOBAL__N_125multi_tensor_apply_kernelINS1_18TensorListMetadataILi2EEENS1_21BinaryOpScalarFunctorIN3c108BFloat16ELi2ELi1ELi1EEEJNS0_7maximumIfEEfEEEvT_T0_DpT1_ ; -- Begin function _ZN2at6native12_GLOBAL__N_125multi_tensor_apply_kernelINS1_18TensorListMetadataILi2EEENS1_21BinaryOpScalarFunctorIN3c108BFloat16ELi2ELi1ELi1EEEJNS0_7maximumIfEEfEEEvT_T0_DpT1_
	.p2align	8
	.type	_ZN2at6native12_GLOBAL__N_125multi_tensor_apply_kernelINS1_18TensorListMetadataILi2EEENS1_21BinaryOpScalarFunctorIN3c108BFloat16ELi2ELi1ELi1EEEJNS0_7maximumIfEEfEEEvT_T0_DpT1_,@function
_ZN2at6native12_GLOBAL__N_125multi_tensor_apply_kernelINS1_18TensorListMetadataILi2EEENS1_21BinaryOpScalarFunctorIN3c108BFloat16ELi2ELi1ELi1EEEJNS0_7maximumIfEEfEEEvT_T0_DpT1_: ; @_ZN2at6native12_GLOBAL__N_125multi_tensor_apply_kernelINS1_18TensorListMetadataILi2EEENS1_21BinaryOpScalarFunctorIN3c108BFloat16ELi2ELi1ELi1EEEJNS0_7maximumIfEEfEEEvT_T0_DpT1_
; %bb.0:
	v_mov_b32_e32 v1, s2
	global_load_ubyte v1, v1, s[0:1] offset:1536
	s_add_u32 s4, s0, s2
	s_mul_hi_u32 s7, s2, 3
	s_mul_i32 s2, s2, 3
	s_addc_u32 s8, s1, 0
	s_add_u32 s6, s4, s2
	s_addc_u32 s7, s8, s7
	s_load_dword s6, s[6:7], 0x740
	s_mov_b32 s3, 0
	s_mov_b32 s5, s3
	s_waitcnt lgkmcnt(0)
	s_ashr_i32 s7, s6, 31
	s_lshl_b64 s[10:11], s[6:7], 17
	s_lshl_b64 s[6:7], s[6:7], 16
	s_waitcnt vmcnt(0)
	v_readfirstlane_b32 s2, v1
	s_lshl_b32 s2, s2, 3
	s_load_dword s30, s[0:1], 0xc4c
	s_load_dwordx2 s[8:9], s[0:1], s2 offset:0x400
	s_load_dwordx2 s[12:13], s[0:1], s2 offset:0x0
	;; [unrolled: 1-line block ×3, first 2 shown]
	s_waitcnt lgkmcnt(0)
	s_add_u32 s2, s12, s10
	s_and_b32 s4, s14, 7
	s_and_b32 s2, s2, 7
	s_sub_u32 s16, s8, s6
	s_subb_u32 s17, s9, s7
	s_and_b32 s6, s8, 3
	s_mov_b32 s7, s3
	s_or_b64 s[4:5], s[4:5], s[6:7]
	s_or_b64 s[2:3], s[4:5], s[2:3]
	s_cmp_eq_u64 s[2:3], 0
	s_mov_b64 s[2:3], -1
	s_cbranch_scc1 .LBB142_21
; %bb.1:
	v_cmp_lt_i64_e64 s[2:3], s[16:17], 1
	s_and_b64 vcc, exec, s[2:3]
	s_cbranch_vccnz .LBB142_20
; %bb.2:
	s_load_dword s2, s[0:1], 0xc5c
	v_mov_b64_e32 v[2:3], 0x10000
	v_cmp_lt_i64_e32 vcc, s[16:17], v[2:3]
	s_and_b64 s[4:5], vcc, exec
	s_cselect_b32 s19, s17, 0
	s_cselect_b32 s18, s16, 0x10000
	s_waitcnt lgkmcnt(0)
	s_and_b32 s2, s2, 0xffff
	v_cmp_lt_u64_e32 vcc, s[16:17], v[2:3]
	s_mov_b32 s3, 0
	v_mov_b32_e32 v1, 0
	s_and_b64 s[4:5], vcc, exec
	s_cselect_b32 s21, s17, 0
	s_cselect_b32 s20, s16, 0x10000
	s_lshl_b32 s22, s2, 2
	s_mov_b32 s23, s3
	v_lshlrev_b32_e32 v12, 1, v0
	v_mov_b32_e32 v13, v1
	v_lshl_add_u64 v[18:19], v[0:1], 0, s[2:3]
	s_lshl_b32 s4, s2, 1
	s_mov_b32 s5, s3
	s_mul_i32 s6, s2, 3
	s_mov_b32 s7, s3
	v_mad_u64_u32 v[8:9], s[8:9], s2, 6, v[12:13]
	v_lshl_add_u64 v[14:15], s[22:23], 0, v[12:13]
	v_lshlrev_b32_e32 v22, 1, v18
	v_mov_b32_e32 v23, v1
	v_lshl_add_u64 v[2:3], s[12:13], 0, v[12:13]
	s_lshl_b32 s24, s2, 3
	s_mov_b32 s25, s3
	v_lshl_add_u64 v[4:5], s[14:15], 0, v[12:13]
	v_lshl_add_u64 v[6:7], s[12:13], 0, v[8:9]
	v_lshl_add_u64 v[8:9], s[14:15], 0, v[8:9]
	v_lshl_add_u64 v[10:11], s[6:7], 0, v[0:1]
	v_lshl_add_u64 v[12:13], s[12:13], 0, v[14:15]
	v_lshl_add_u64 v[14:15], s[14:15], 0, v[14:15]
	v_lshl_add_u64 v[16:17], s[4:5], 0, v[0:1]
	v_lshl_add_u64 v[20:21], s[12:13], 0, v[22:23]
	v_lshl_add_u64 v[22:23], s[14:15], 0, v[22:23]
	s_mov_b64 s[26:27], 0
	s_movk_i32 s23, 0x7fff
	v_mov_b32_e32 v24, 0x7fc0
	s_branch .LBB142_4
.LBB142_3:                              ;   in Loop: Header=BB142_4 Depth=1
	s_or_b64 exec, exec, s[4:5]
	s_add_u32 s26, s26, s22
	s_addc_u32 s27, s27, 0
	v_mov_b64_e32 v[26:27], s[18:19]
	v_cmp_lt_i64_e32 vcc, s[26:27], v[26:27]
	v_lshl_add_u64 v[2:3], v[2:3], 0, s[24:25]
	v_lshl_add_u64 v[4:5], v[4:5], 0, s[24:25]
	v_lshl_add_u64 v[6:7], v[6:7], 0, s[24:25]
	v_lshl_add_u64 v[8:9], v[8:9], 0, s[24:25]
	v_lshl_add_u64 v[12:13], v[12:13], 0, s[24:25]
	v_lshl_add_u64 v[14:15], v[14:15], 0, s[24:25]
	v_lshl_add_u64 v[20:21], v[20:21], 0, s[24:25]
	v_lshl_add_u64 v[22:23], v[22:23], 0, s[24:25]
	s_cbranch_vccz .LBB142_20
.LBB142_4:                              ; =>This Inner Loop Header: Depth=1
	v_lshl_add_u64 v[26:27], v[0:1], 0, s[26:27]
	v_cmp_gt_u64_e32 vcc, s[20:21], v[26:27]
	v_mov_b32_e32 v28, 0
	s_and_saveexec_b64 s[2:3], vcc
	s_cbranch_execz .LBB142_6
; %bb.5:                                ;   in Loop: Header=BB142_4 Depth=1
	v_lshl_add_u64 v[26:27], v[2:3], 0, s[10:11]
	global_load_ushort v25, v[26:27], off
	s_waitcnt vmcnt(0)
	v_lshlrev_b32_e32 v28, 16, v25
.LBB142_6:                              ;   in Loop: Header=BB142_4 Depth=1
	s_or_b64 exec, exec, s[2:3]
	v_lshl_add_u64 v[26:27], v[18:19], 0, s[26:27]
	v_cmp_gt_u64_e64 s[6:7], s[20:21], v[26:27]
	v_mov_b32_e32 v25, 0
	v_mov_b32_e32 v27, 0
	s_and_saveexec_b64 s[2:3], s[6:7]
	s_cbranch_execz .LBB142_8
; %bb.7:                                ;   in Loop: Header=BB142_4 Depth=1
	v_lshl_add_u64 v[26:27], v[20:21], 0, s[10:11]
	global_load_ushort v26, v[26:27], off
	s_waitcnt vmcnt(0)
	v_lshlrev_b32_e32 v27, 16, v26
.LBB142_8:                              ;   in Loop: Header=BB142_4 Depth=1
	s_or_b64 exec, exec, s[2:3]
	v_lshl_add_u64 v[30:31], v[16:17], 0, s[26:27]
	v_cmp_gt_u64_e64 s[4:5], s[20:21], v[30:31]
	s_and_saveexec_b64 s[2:3], s[4:5]
	s_cbranch_execz .LBB142_10
; %bb.9:                                ;   in Loop: Header=BB142_4 Depth=1
	v_lshl_add_u64 v[30:31], v[12:13], 0, s[10:11]
	global_load_ushort v25, v[30:31], off
	s_waitcnt vmcnt(0)
	v_lshlrev_b32_e32 v25, 16, v25
.LBB142_10:                             ;   in Loop: Header=BB142_4 Depth=1
	s_or_b64 exec, exec, s[2:3]
	v_lshl_add_u64 v[30:31], v[10:11], 0, s[26:27]
	v_cmp_gt_u64_e64 s[2:3], s[20:21], v[30:31]
	v_mov_b32_e32 v26, 0
	s_and_saveexec_b64 s[8:9], s[2:3]
	s_cbranch_execnz .LBB142_15
; %bb.11:                               ;   in Loop: Header=BB142_4 Depth=1
	s_or_b64 exec, exec, s[8:9]
	s_and_saveexec_b64 s[28:29], vcc
	s_cbranch_execnz .LBB142_16
.LBB142_12:                             ;   in Loop: Header=BB142_4 Depth=1
	s_or_b64 exec, exec, s[28:29]
	s_and_saveexec_b64 s[8:9], s[6:7]
	s_cbranch_execnz .LBB142_17
.LBB142_13:                             ;   in Loop: Header=BB142_4 Depth=1
	s_or_b64 exec, exec, s[8:9]
	s_and_saveexec_b64 s[6:7], s[4:5]
	s_cbranch_execnz .LBB142_18
.LBB142_14:                             ;   in Loop: Header=BB142_4 Depth=1
	s_or_b64 exec, exec, s[6:7]
	s_and_saveexec_b64 s[4:5], s[2:3]
	s_cbranch_execz .LBB142_3
	s_branch .LBB142_19
.LBB142_15:                             ;   in Loop: Header=BB142_4 Depth=1
	v_lshl_add_u64 v[30:31], v[6:7], 0, s[10:11]
	global_load_ushort v26, v[30:31], off
	s_waitcnt vmcnt(0)
	v_lshlrev_b32_e32 v26, 16, v26
	s_or_b64 exec, exec, s[8:9]
	s_and_saveexec_b64 s[28:29], vcc
	s_cbranch_execz .LBB142_12
.LBB142_16:                             ;   in Loop: Header=BB142_4 Depth=1
	v_cmp_u_f32_e32 vcc, v28, v28
	v_cmp_lt_f32_e64 s[8:9], s30, v28
	v_mov_b32_e32 v29, s30
	s_or_b64 vcc, vcc, s[8:9]
	v_cndmask_b32_e32 v28, v29, v28, vcc
	v_bfe_u32 v29, v28, 16, 1
	v_add3_u32 v29, v28, v29, s23
	v_cmp_o_f32_e32 vcc, v28, v28
	v_lshl_add_u64 v[30:31], v[4:5], 0, s[10:11]
	s_nop 0
	v_cndmask_b32_sdwa v28, v24, v29, vcc dst_sel:DWORD dst_unused:UNUSED_PAD src0_sel:DWORD src1_sel:WORD_1
	global_store_short v[30:31], v28, off
	s_or_b64 exec, exec, s[28:29]
	s_and_saveexec_b64 s[8:9], s[6:7]
	s_cbranch_execz .LBB142_13
.LBB142_17:                             ;   in Loop: Header=BB142_4 Depth=1
	v_cmp_u_f32_e32 vcc, v27, v27
	v_cmp_lt_f32_e64 s[6:7], s30, v27
	v_mov_b32_e32 v28, s30
	s_or_b64 vcc, vcc, s[6:7]
	v_cndmask_b32_e32 v27, v28, v27, vcc
	v_bfe_u32 v28, v27, 16, 1
	v_add3_u32 v28, v27, v28, s23
	v_cmp_o_f32_e32 vcc, v27, v27
	s_nop 1
	v_cndmask_b32_sdwa v27, v24, v28, vcc dst_sel:DWORD dst_unused:UNUSED_PAD src0_sel:DWORD src1_sel:WORD_1
	v_lshl_add_u64 v[28:29], v[22:23], 0, s[10:11]
	global_store_short v[28:29], v27, off
	s_or_b64 exec, exec, s[8:9]
	s_and_saveexec_b64 s[6:7], s[4:5]
	s_cbranch_execz .LBB142_14
.LBB142_18:                             ;   in Loop: Header=BB142_4 Depth=1
	v_cmp_u_f32_e32 vcc, v25, v25
	v_cmp_lt_f32_e64 s[4:5], s30, v25
	v_mov_b32_e32 v27, s30
	s_or_b64 vcc, vcc, s[4:5]
	v_cndmask_b32_e32 v25, v27, v25, vcc
	v_bfe_u32 v27, v25, 16, 1
	v_add3_u32 v27, v25, v27, s23
	v_cmp_o_f32_e32 vcc, v25, v25
	v_lshl_add_u64 v[28:29], v[14:15], 0, s[10:11]
	s_nop 0
	v_cndmask_b32_sdwa v25, v24, v27, vcc dst_sel:DWORD dst_unused:UNUSED_PAD src0_sel:DWORD src1_sel:WORD_1
	global_store_short v[28:29], v25, off
	s_or_b64 exec, exec, s[6:7]
	s_and_saveexec_b64 s[4:5], s[2:3]
	s_cbranch_execz .LBB142_3
.LBB142_19:                             ;   in Loop: Header=BB142_4 Depth=1
	v_cmp_u_f32_e32 vcc, v26, v26
	v_cmp_lt_f32_e64 s[2:3], s30, v26
	v_mov_b32_e32 v25, s30
	s_or_b64 vcc, vcc, s[2:3]
	v_cndmask_b32_e32 v25, v25, v26, vcc
	v_bfe_u32 v26, v25, 16, 1
	v_add3_u32 v26, v25, v26, s23
	v_cmp_o_f32_e32 vcc, v25, v25
	s_nop 1
	v_cndmask_b32_sdwa v25, v24, v26, vcc dst_sel:DWORD dst_unused:UNUSED_PAD src0_sel:DWORD src1_sel:WORD_1
	v_lshl_add_u64 v[26:27], v[8:9], 0, s[10:11]
	global_store_short v[26:27], v25, off
	s_branch .LBB142_3
.LBB142_20:
	s_mov_b64 s[2:3], 0
.LBB142_21:
	s_andn2_b64 vcc, exec, s[2:3]
	s_cbranch_vccnz .LBB142_25
; %bb.22:
	v_mov_b64_e32 v[4:5], 0x10000
	v_cmp_lt_i64_e32 vcc, s[16:17], v[4:5]
	s_and_b64 s[2:3], vcc, exec
	v_mov_b32_e32 v3, 0
	s_cselect_b32 s17, s17, 0
	s_cselect_b32 s16, s16, 0x10000
	v_lshlrev_b32_e32 v2, 2, v0
	s_mov_b32 s19, 0
	v_cmp_gt_i64_e32 vcc, s[16:17], v[2:3]
	s_and_saveexec_b64 s[2:3], vcc
	s_cbranch_execz .LBB142_25
; %bb.23:
	s_load_dword s0, s[0:1], 0xc5c
	v_lshlrev_b32_e32 v2, 3, v0
	v_mov_b32_e32 v1, v3
	s_mov_b32 s21, s19
	v_lshl_add_u64 v[2:3], s[10:11], 0, v[2:3]
	s_waitcnt lgkmcnt(0)
	s_and_b32 s18, s0, 0xffff
	s_lshl_b32 s20, s18, 3
	s_mov_b64 s[22:23], 0
	v_mov_b32_e32 v4, s30
	s_movk_i32 s24, 0x7fff
	v_mov_b32_e32 v5, 0x7fc00000
	v_mov_b32_e32 v6, 0x7fc0
.LBB142_24:                             ; =>This Inner Loop Header: Depth=1
	v_lshl_add_u64 v[8:9], s[12:13], 0, v[2:3]
	global_load_dwordx2 v[8:9], v[8:9], off
	v_lshl_add_u64 v[0:1], v[0:1], 0, s[18:19]
	v_lshlrev_b64 v[12:13], 2, v[0:1]
	v_cmp_le_i64_e32 vcc, s[16:17], v[12:13]
	v_lshl_add_u64 v[10:11], s[14:15], 0, v[2:3]
	v_lshl_add_u64 v[2:3], v[2:3], 0, s[20:21]
	s_waitcnt vmcnt(0)
	v_lshlrev_b32_e32 v7, 16, v8
	v_and_b32_e32 v12, 0xffff0000, v8
	v_cmp_u_f32_e64 s[0:1], v7, v7
	v_cmp_lt_f32_e64 s[2:3], s30, v7
	v_alignbit_b32 v8, v9, v8, 16
	v_and_b32_e32 v9, 0xffff0000, v9
	v_cmp_u_f32_e64 s[4:5], v12, v12
	v_cmp_lt_f32_e64 s[6:7], s30, v12
	s_or_b64 s[0:1], s[0:1], s[2:3]
	v_and_b32_e32 v8, 0xffff0000, v8
	v_cmp_u_f32_e64 s[8:9], v9, v9
	v_cmp_lt_f32_e64 s[10:11], s30, v9
	v_cndmask_b32_e64 v7, v4, v7, s[0:1]
	s_or_b64 s[0:1], s[4:5], s[6:7]
	v_cndmask_b32_e64 v12, v4, v12, s[0:1]
	v_cmp_u_f32_e64 s[0:1], v8, v8
	v_cmp_lt_f32_e64 s[2:3], s30, v8
	s_or_b64 s[4:5], s[8:9], s[10:11]
	v_cndmask_b32_e64 v9, v4, v9, s[4:5]
	s_or_b64 s[0:1], s[0:1], s[2:3]
	v_bfe_u32 v13, v7, 16, 1
	v_bfe_u32 v14, v12, 16, 1
	v_cndmask_b32_e64 v8, v4, v8, s[0:1]
	v_bfe_u32 v15, v9, 16, 1
	v_add3_u32 v13, v7, v13, s24
	v_add3_u32 v14, v12, v14, s24
	v_bfe_u32 v16, v8, 16, 1
	v_add3_u32 v15, v9, v15, s24
	s_or_b64 s[22:23], vcc, s[22:23]
	v_lshrrev_b32_e32 v13, 16, v13
	v_and_b32_e32 v14, 0xffff0000, v14
	v_add3_u32 v16, v8, v16, s24
	v_and_b32_e32 v15, 0xffff0000, v15
	v_cmp_o_f32_e32 vcc, v9, v9
	v_cmp_o_f32_e64 s[0:1], v12, v12
	v_cmp_o_f32_e64 s[2:3], v7, v7
	v_lshrrev_b32_e32 v7, 16, v16
	v_cndmask_b32_e32 v9, v5, v15, vcc
	v_cndmask_b32_e64 v12, v5, v14, s[0:1]
	v_cndmask_b32_e64 v13, v6, v13, s[2:3]
	v_cmp_o_f32_e32 vcc, v8, v8
	v_or_b32_e32 v8, v13, v12
	v_or3_b32 v8, v8, 0, 0
	v_cndmask_b32_e32 v7, v6, v7, vcc
	v_or3_b32 v9, 0, v7, v9
	global_store_dwordx2 v[10:11], v[8:9], off
	s_andn2_b64 exec, exec, s[22:23]
	s_cbranch_execnz .LBB142_24
.LBB142_25:
	s_endpgm
	.section	.rodata,"a",@progbits
	.p2align	6, 0x0
	.amdhsa_kernel _ZN2at6native12_GLOBAL__N_125multi_tensor_apply_kernelINS1_18TensorListMetadataILi2EEENS1_21BinaryOpScalarFunctorIN3c108BFloat16ELi2ELi1ELi1EEEJNS0_7maximumIfEEfEEEvT_T0_DpT1_
		.amdhsa_group_segment_fixed_size 0
		.amdhsa_private_segment_fixed_size 0
		.amdhsa_kernarg_size 3408
		.amdhsa_user_sgpr_count 2
		.amdhsa_user_sgpr_dispatch_ptr 0
		.amdhsa_user_sgpr_queue_ptr 0
		.amdhsa_user_sgpr_kernarg_segment_ptr 1
		.amdhsa_user_sgpr_dispatch_id 0
		.amdhsa_user_sgpr_kernarg_preload_length 0
		.amdhsa_user_sgpr_kernarg_preload_offset 0
		.amdhsa_user_sgpr_private_segment_size 0
		.amdhsa_uses_dynamic_stack 0
		.amdhsa_enable_private_segment 0
		.amdhsa_system_sgpr_workgroup_id_x 1
		.amdhsa_system_sgpr_workgroup_id_y 0
		.amdhsa_system_sgpr_workgroup_id_z 0
		.amdhsa_system_sgpr_workgroup_info 0
		.amdhsa_system_vgpr_workitem_id 0
		.amdhsa_next_free_vgpr 32
		.amdhsa_next_free_sgpr 31
		.amdhsa_accum_offset 32
		.amdhsa_reserve_vcc 1
		.amdhsa_float_round_mode_32 0
		.amdhsa_float_round_mode_16_64 0
		.amdhsa_float_denorm_mode_32 3
		.amdhsa_float_denorm_mode_16_64 3
		.amdhsa_dx10_clamp 1
		.amdhsa_ieee_mode 1
		.amdhsa_fp16_overflow 0
		.amdhsa_tg_split 0
		.amdhsa_exception_fp_ieee_invalid_op 0
		.amdhsa_exception_fp_denorm_src 0
		.amdhsa_exception_fp_ieee_div_zero 0
		.amdhsa_exception_fp_ieee_overflow 0
		.amdhsa_exception_fp_ieee_underflow 0
		.amdhsa_exception_fp_ieee_inexact 0
		.amdhsa_exception_int_div_zero 0
	.end_amdhsa_kernel
	.section	.text._ZN2at6native12_GLOBAL__N_125multi_tensor_apply_kernelINS1_18TensorListMetadataILi2EEENS1_21BinaryOpScalarFunctorIN3c108BFloat16ELi2ELi1ELi1EEEJNS0_7maximumIfEEfEEEvT_T0_DpT1_,"axG",@progbits,_ZN2at6native12_GLOBAL__N_125multi_tensor_apply_kernelINS1_18TensorListMetadataILi2EEENS1_21BinaryOpScalarFunctorIN3c108BFloat16ELi2ELi1ELi1EEEJNS0_7maximumIfEEfEEEvT_T0_DpT1_,comdat
.Lfunc_end142:
	.size	_ZN2at6native12_GLOBAL__N_125multi_tensor_apply_kernelINS1_18TensorListMetadataILi2EEENS1_21BinaryOpScalarFunctorIN3c108BFloat16ELi2ELi1ELi1EEEJNS0_7maximumIfEEfEEEvT_T0_DpT1_, .Lfunc_end142-_ZN2at6native12_GLOBAL__N_125multi_tensor_apply_kernelINS1_18TensorListMetadataILi2EEENS1_21BinaryOpScalarFunctorIN3c108BFloat16ELi2ELi1ELi1EEEJNS0_7maximumIfEEfEEEvT_T0_DpT1_
                                        ; -- End function
	.set _ZN2at6native12_GLOBAL__N_125multi_tensor_apply_kernelINS1_18TensorListMetadataILi2EEENS1_21BinaryOpScalarFunctorIN3c108BFloat16ELi2ELi1ELi1EEEJNS0_7maximumIfEEfEEEvT_T0_DpT1_.num_vgpr, 32
	.set _ZN2at6native12_GLOBAL__N_125multi_tensor_apply_kernelINS1_18TensorListMetadataILi2EEENS1_21BinaryOpScalarFunctorIN3c108BFloat16ELi2ELi1ELi1EEEJNS0_7maximumIfEEfEEEvT_T0_DpT1_.num_agpr, 0
	.set _ZN2at6native12_GLOBAL__N_125multi_tensor_apply_kernelINS1_18TensorListMetadataILi2EEENS1_21BinaryOpScalarFunctorIN3c108BFloat16ELi2ELi1ELi1EEEJNS0_7maximumIfEEfEEEvT_T0_DpT1_.numbered_sgpr, 31
	.set _ZN2at6native12_GLOBAL__N_125multi_tensor_apply_kernelINS1_18TensorListMetadataILi2EEENS1_21BinaryOpScalarFunctorIN3c108BFloat16ELi2ELi1ELi1EEEJNS0_7maximumIfEEfEEEvT_T0_DpT1_.num_named_barrier, 0
	.set _ZN2at6native12_GLOBAL__N_125multi_tensor_apply_kernelINS1_18TensorListMetadataILi2EEENS1_21BinaryOpScalarFunctorIN3c108BFloat16ELi2ELi1ELi1EEEJNS0_7maximumIfEEfEEEvT_T0_DpT1_.private_seg_size, 0
	.set _ZN2at6native12_GLOBAL__N_125multi_tensor_apply_kernelINS1_18TensorListMetadataILi2EEENS1_21BinaryOpScalarFunctorIN3c108BFloat16ELi2ELi1ELi1EEEJNS0_7maximumIfEEfEEEvT_T0_DpT1_.uses_vcc, 1
	.set _ZN2at6native12_GLOBAL__N_125multi_tensor_apply_kernelINS1_18TensorListMetadataILi2EEENS1_21BinaryOpScalarFunctorIN3c108BFloat16ELi2ELi1ELi1EEEJNS0_7maximumIfEEfEEEvT_T0_DpT1_.uses_flat_scratch, 0
	.set _ZN2at6native12_GLOBAL__N_125multi_tensor_apply_kernelINS1_18TensorListMetadataILi2EEENS1_21BinaryOpScalarFunctorIN3c108BFloat16ELi2ELi1ELi1EEEJNS0_7maximumIfEEfEEEvT_T0_DpT1_.has_dyn_sized_stack, 0
	.set _ZN2at6native12_GLOBAL__N_125multi_tensor_apply_kernelINS1_18TensorListMetadataILi2EEENS1_21BinaryOpScalarFunctorIN3c108BFloat16ELi2ELi1ELi1EEEJNS0_7maximumIfEEfEEEvT_T0_DpT1_.has_recursion, 0
	.set _ZN2at6native12_GLOBAL__N_125multi_tensor_apply_kernelINS1_18TensorListMetadataILi2EEENS1_21BinaryOpScalarFunctorIN3c108BFloat16ELi2ELi1ELi1EEEJNS0_7maximumIfEEfEEEvT_T0_DpT1_.has_indirect_call, 0
	.section	.AMDGPU.csdata,"",@progbits
; Kernel info:
; codeLenInByte = 1644
; TotalNumSgprs: 37
; NumVgprs: 32
; NumAgprs: 0
; TotalNumVgprs: 32
; ScratchSize: 0
; MemoryBound: 0
; FloatMode: 240
; IeeeMode: 1
; LDSByteSize: 0 bytes/workgroup (compile time only)
; SGPRBlocks: 4
; VGPRBlocks: 3
; NumSGPRsForWavesPerEU: 37
; NumVGPRsForWavesPerEU: 32
; AccumOffset: 32
; Occupancy: 8
; WaveLimiterHint : 0
; COMPUTE_PGM_RSRC2:SCRATCH_EN: 0
; COMPUTE_PGM_RSRC2:USER_SGPR: 2
; COMPUTE_PGM_RSRC2:TRAP_HANDLER: 0
; COMPUTE_PGM_RSRC2:TGID_X_EN: 1
; COMPUTE_PGM_RSRC2:TGID_Y_EN: 0
; COMPUTE_PGM_RSRC2:TGID_Z_EN: 0
; COMPUTE_PGM_RSRC2:TIDIG_COMP_CNT: 0
; COMPUTE_PGM_RSRC3_GFX90A:ACCUM_OFFSET: 7
; COMPUTE_PGM_RSRC3_GFX90A:TG_SPLIT: 0
	.text
	.p2alignl 6, 3212836864
	.fill 256, 4, 3212836864
	.section	.AMDGPU.gpr_maximums,"",@progbits
	.set amdgpu.max_num_vgpr, 36
	.set amdgpu.max_num_agpr, 0
	.set amdgpu.max_num_sgpr, 43
	.text
	.type	__hip_cuid_6f089f172fc3536c,@object ; @__hip_cuid_6f089f172fc3536c
	.section	.bss,"aw",@nobits
	.globl	__hip_cuid_6f089f172fc3536c
__hip_cuid_6f089f172fc3536c:
	.byte	0                               ; 0x0
	.size	__hip_cuid_6f089f172fc3536c, 1

	.ident	"AMD clang version 22.0.0git (https://github.com/RadeonOpenCompute/llvm-project roc-7.2.4 26084 f58b06dce1f9c15707c5f808fd002e18c2accf7e)"
	.section	".note.GNU-stack","",@progbits
	.addrsig
	.addrsig_sym __hip_cuid_6f089f172fc3536c
	.amdgpu_metadata
---
amdhsa.kernels:
  - .agpr_count:     0
    .args:
      - .offset:         0
        .size:           3368
        .value_kind:     by_value
      - .offset:         3368
        .size:           1
        .value_kind:     by_value
      - .offset:         3369
        .size:           1
        .value_kind:     by_value
      - .offset:         3370
        .size:           1
        .value_kind:     by_value
      - .offset:         3376
        .size:           4
        .value_kind:     hidden_block_count_x
      - .offset:         3380
        .size:           4
        .value_kind:     hidden_block_count_y
      - .offset:         3384
        .size:           4
        .value_kind:     hidden_block_count_z
      - .offset:         3388
        .size:           2
        .value_kind:     hidden_group_size_x
      - .offset:         3390
        .size:           2
        .value_kind:     hidden_group_size_y
      - .offset:         3392
        .size:           2
        .value_kind:     hidden_group_size_z
      - .offset:         3394
        .size:           2
        .value_kind:     hidden_remainder_x
      - .offset:         3396
        .size:           2
        .value_kind:     hidden_remainder_y
      - .offset:         3398
        .size:           2
        .value_kind:     hidden_remainder_z
      - .offset:         3416
        .size:           8
        .value_kind:     hidden_global_offset_x
      - .offset:         3424
        .size:           8
        .value_kind:     hidden_global_offset_y
      - .offset:         3432
        .size:           8
        .value_kind:     hidden_global_offset_z
      - .offset:         3440
        .size:           2
        .value_kind:     hidden_grid_dims
    .group_segment_fixed_size: 0
    .kernarg_segment_align: 8
    .kernarg_segment_size: 3632
    .language:       OpenCL C
    .language_version:
      - 2
      - 0
    .max_flat_workgroup_size: 512
    .name:           _ZN2at6native12_GLOBAL__N_125multi_tensor_apply_kernelINS1_18TensorListMetadataILi1EEENS1_21BinaryOpScalarFunctorIhLi1ELi1ELi0EEEJSt4plusIhEhEEEvT_T0_DpT1_
    .private_segment_fixed_size: 0
    .sgpr_count:     29
    .sgpr_spill_count: 0
    .symbol:         _ZN2at6native12_GLOBAL__N_125multi_tensor_apply_kernelINS1_18TensorListMetadataILi1EEENS1_21BinaryOpScalarFunctorIhLi1ELi1ELi0EEEJSt4plusIhEhEEEvT_T0_DpT1_.kd
    .uniform_work_group_size: 1
    .uses_dynamic_stack: false
    .vgpr_count:     30
    .vgpr_spill_count: 0
    .wavefront_size: 64
  - .agpr_count:     0
    .args:
      - .offset:         0
        .size:           3368
        .value_kind:     by_value
      - .offset:         3368
        .size:           1
        .value_kind:     by_value
      - .offset:         3369
        .size:           1
        .value_kind:     by_value
      - .offset:         3370
        .size:           1
        .value_kind:     by_value
      - .offset:         3376
        .size:           4
        .value_kind:     hidden_block_count_x
      - .offset:         3380
        .size:           4
        .value_kind:     hidden_block_count_y
      - .offset:         3384
        .size:           4
        .value_kind:     hidden_block_count_z
      - .offset:         3388
        .size:           2
        .value_kind:     hidden_group_size_x
      - .offset:         3390
        .size:           2
        .value_kind:     hidden_group_size_y
      - .offset:         3392
        .size:           2
        .value_kind:     hidden_group_size_z
      - .offset:         3394
        .size:           2
        .value_kind:     hidden_remainder_x
      - .offset:         3396
        .size:           2
        .value_kind:     hidden_remainder_y
      - .offset:         3398
        .size:           2
        .value_kind:     hidden_remainder_z
      - .offset:         3416
        .size:           8
        .value_kind:     hidden_global_offset_x
      - .offset:         3424
        .size:           8
        .value_kind:     hidden_global_offset_y
      - .offset:         3432
        .size:           8
        .value_kind:     hidden_global_offset_z
      - .offset:         3440
        .size:           2
        .value_kind:     hidden_grid_dims
    .group_segment_fixed_size: 0
    .kernarg_segment_align: 8
    .kernarg_segment_size: 3632
    .language:       OpenCL C
    .language_version:
      - 2
      - 0
    .max_flat_workgroup_size: 512
    .name:           _ZN2at6native12_GLOBAL__N_125multi_tensor_apply_kernelINS1_18TensorListMetadataILi1EEENS1_21BinaryOpScalarFunctorIaLi1ELi1ELi0EEEJSt4plusIaEaEEEvT_T0_DpT1_
    .private_segment_fixed_size: 0
    .sgpr_count:     29
    .sgpr_spill_count: 0
    .symbol:         _ZN2at6native12_GLOBAL__N_125multi_tensor_apply_kernelINS1_18TensorListMetadataILi1EEENS1_21BinaryOpScalarFunctorIaLi1ELi1ELi0EEEJSt4plusIaEaEEEvT_T0_DpT1_.kd
    .uniform_work_group_size: 1
    .uses_dynamic_stack: false
    .vgpr_count:     30
    .vgpr_spill_count: 0
    .wavefront_size: 64
  - .agpr_count:     0
    .args:
      - .offset:         0
        .size:           3368
        .value_kind:     by_value
      - .offset:         3368
        .size:           1
        .value_kind:     by_value
      - .offset:         3369
        .size:           1
        .value_kind:     by_value
      - .offset:         3372
        .size:           4
        .value_kind:     by_value
      - .offset:         3376
        .size:           4
        .value_kind:     hidden_block_count_x
      - .offset:         3380
        .size:           4
        .value_kind:     hidden_block_count_y
      - .offset:         3384
        .size:           4
        .value_kind:     hidden_block_count_z
      - .offset:         3388
        .size:           2
        .value_kind:     hidden_group_size_x
      - .offset:         3390
        .size:           2
        .value_kind:     hidden_group_size_y
      - .offset:         3392
        .size:           2
        .value_kind:     hidden_group_size_z
      - .offset:         3394
        .size:           2
        .value_kind:     hidden_remainder_x
      - .offset:         3396
        .size:           2
        .value_kind:     hidden_remainder_y
      - .offset:         3398
        .size:           2
        .value_kind:     hidden_remainder_z
      - .offset:         3416
        .size:           8
        .value_kind:     hidden_global_offset_x
      - .offset:         3424
        .size:           8
        .value_kind:     hidden_global_offset_y
      - .offset:         3432
        .size:           8
        .value_kind:     hidden_global_offset_z
      - .offset:         3440
        .size:           2
        .value_kind:     hidden_grid_dims
    .group_segment_fixed_size: 0
    .kernarg_segment_align: 8
    .kernarg_segment_size: 3632
    .language:       OpenCL C
    .language_version:
      - 2
      - 0
    .max_flat_workgroup_size: 512
    .name:           _ZN2at6native12_GLOBAL__N_125multi_tensor_apply_kernelINS1_18TensorListMetadataILi1EEENS1_21BinaryOpScalarFunctorIiLi1ELi1ELi0EEEJSt4plusIiEiEEEvT_T0_DpT1_
    .private_segment_fixed_size: 0
    .sgpr_count:     34
    .sgpr_spill_count: 0
    .symbol:         _ZN2at6native12_GLOBAL__N_125multi_tensor_apply_kernelINS1_18TensorListMetadataILi1EEENS1_21BinaryOpScalarFunctorIiLi1ELi1ELi0EEEJSt4plusIiEiEEEvT_T0_DpT1_.kd
    .uniform_work_group_size: 1
    .uses_dynamic_stack: false
    .vgpr_count:     22
    .vgpr_spill_count: 0
    .wavefront_size: 64
  - .agpr_count:     0
    .args:
      - .offset:         0
        .size:           3368
        .value_kind:     by_value
      - .offset:         3368
        .size:           1
        .value_kind:     by_value
      - .offset:         3369
        .size:           1
        .value_kind:     by_value
      - .offset:         3376
        .size:           8
        .value_kind:     by_value
      - .offset:         3384
        .size:           4
        .value_kind:     hidden_block_count_x
      - .offset:         3388
        .size:           4
        .value_kind:     hidden_block_count_y
      - .offset:         3392
        .size:           4
        .value_kind:     hidden_block_count_z
      - .offset:         3396
        .size:           2
        .value_kind:     hidden_group_size_x
      - .offset:         3398
        .size:           2
        .value_kind:     hidden_group_size_y
      - .offset:         3400
        .size:           2
        .value_kind:     hidden_group_size_z
      - .offset:         3402
        .size:           2
        .value_kind:     hidden_remainder_x
      - .offset:         3404
        .size:           2
        .value_kind:     hidden_remainder_y
      - .offset:         3406
        .size:           2
        .value_kind:     hidden_remainder_z
      - .offset:         3424
        .size:           8
        .value_kind:     hidden_global_offset_x
      - .offset:         3432
        .size:           8
        .value_kind:     hidden_global_offset_y
      - .offset:         3440
        .size:           8
        .value_kind:     hidden_global_offset_z
      - .offset:         3448
        .size:           2
        .value_kind:     hidden_grid_dims
    .group_segment_fixed_size: 0
    .kernarg_segment_align: 8
    .kernarg_segment_size: 3640
    .language:       OpenCL C
    .language_version:
      - 2
      - 0
    .max_flat_workgroup_size: 512
    .name:           _ZN2at6native12_GLOBAL__N_125multi_tensor_apply_kernelINS1_18TensorListMetadataILi1EEENS1_21BinaryOpScalarFunctorIlLi1ELi1ELi0EEEJSt4plusIlElEEEvT_T0_DpT1_
    .private_segment_fixed_size: 0
    .sgpr_count:     35
    .sgpr_spill_count: 0
    .symbol:         _ZN2at6native12_GLOBAL__N_125multi_tensor_apply_kernelINS1_18TensorListMetadataILi1EEENS1_21BinaryOpScalarFunctorIlLi1ELi1ELi0EEEJSt4plusIlElEEEvT_T0_DpT1_.kd
    .uniform_work_group_size: 1
    .uses_dynamic_stack: false
    .vgpr_count:     26
    .vgpr_spill_count: 0
    .wavefront_size: 64
  - .agpr_count:     0
    .args:
      - .offset:         0
        .size:           3368
        .value_kind:     by_value
      - .offset:         3368
        .size:           1
        .value_kind:     by_value
      - .offset:         3369
        .size:           1
        .value_kind:     by_value
      - .offset:         3370
        .size:           2
        .value_kind:     by_value
      - .offset:         3376
        .size:           4
        .value_kind:     hidden_block_count_x
      - .offset:         3380
        .size:           4
        .value_kind:     hidden_block_count_y
      - .offset:         3384
        .size:           4
        .value_kind:     hidden_block_count_z
      - .offset:         3388
        .size:           2
        .value_kind:     hidden_group_size_x
      - .offset:         3390
        .size:           2
        .value_kind:     hidden_group_size_y
      - .offset:         3392
        .size:           2
        .value_kind:     hidden_group_size_z
      - .offset:         3394
        .size:           2
        .value_kind:     hidden_remainder_x
      - .offset:         3396
        .size:           2
        .value_kind:     hidden_remainder_y
      - .offset:         3398
        .size:           2
        .value_kind:     hidden_remainder_z
      - .offset:         3416
        .size:           8
        .value_kind:     hidden_global_offset_x
      - .offset:         3424
        .size:           8
        .value_kind:     hidden_global_offset_y
      - .offset:         3432
        .size:           8
        .value_kind:     hidden_global_offset_z
      - .offset:         3440
        .size:           2
        .value_kind:     hidden_grid_dims
    .group_segment_fixed_size: 0
    .kernarg_segment_align: 8
    .kernarg_segment_size: 3632
    .language:       OpenCL C
    .language_version:
      - 2
      - 0
    .max_flat_workgroup_size: 512
    .name:           _ZN2at6native12_GLOBAL__N_125multi_tensor_apply_kernelINS1_18TensorListMetadataILi1EEENS1_21BinaryOpScalarFunctorIsLi1ELi1ELi0EEEJSt4plusIsEsEEEvT_T0_DpT1_
    .private_segment_fixed_size: 0
    .sgpr_count:     33
    .sgpr_spill_count: 0
    .symbol:         _ZN2at6native12_GLOBAL__N_125multi_tensor_apply_kernelINS1_18TensorListMetadataILi1EEENS1_21BinaryOpScalarFunctorIsLi1ELi1ELi0EEEJSt4plusIsEsEEEvT_T0_DpT1_.kd
    .uniform_work_group_size: 1
    .uses_dynamic_stack: false
    .vgpr_count:     22
    .vgpr_spill_count: 0
    .wavefront_size: 64
  - .agpr_count:     0
    .args:
      - .offset:         0
        .size:           3368
        .value_kind:     by_value
      - .offset:         3368
        .size:           1
        .value_kind:     by_value
      - .offset:         3369
        .size:           1
        .value_kind:     by_value
      - .offset:         3376
        .size:           8
        .value_kind:     by_value
      - .offset:         3384
        .size:           4
        .value_kind:     hidden_block_count_x
      - .offset:         3388
        .size:           4
        .value_kind:     hidden_block_count_y
      - .offset:         3392
        .size:           4
        .value_kind:     hidden_block_count_z
      - .offset:         3396
        .size:           2
        .value_kind:     hidden_group_size_x
      - .offset:         3398
        .size:           2
        .value_kind:     hidden_group_size_y
      - .offset:         3400
        .size:           2
        .value_kind:     hidden_group_size_z
      - .offset:         3402
        .size:           2
        .value_kind:     hidden_remainder_x
      - .offset:         3404
        .size:           2
        .value_kind:     hidden_remainder_y
      - .offset:         3406
        .size:           2
        .value_kind:     hidden_remainder_z
      - .offset:         3424
        .size:           8
        .value_kind:     hidden_global_offset_x
      - .offset:         3432
        .size:           8
        .value_kind:     hidden_global_offset_y
      - .offset:         3440
        .size:           8
        .value_kind:     hidden_global_offset_z
      - .offset:         3448
        .size:           2
        .value_kind:     hidden_grid_dims
    .group_segment_fixed_size: 0
    .kernarg_segment_align: 8
    .kernarg_segment_size: 3640
    .language:       OpenCL C
    .language_version:
      - 2
      - 0
    .max_flat_workgroup_size: 512
    .name:           _ZN2at6native12_GLOBAL__N_125multi_tensor_apply_kernelINS1_18TensorListMetadataILi1EEENS1_21BinaryOpScalarFunctorIdLi1ELi1ELi0EEEJSt4plusIdEdEEEvT_T0_DpT1_
    .private_segment_fixed_size: 0
    .sgpr_count:     35
    .sgpr_spill_count: 0
    .symbol:         _ZN2at6native12_GLOBAL__N_125multi_tensor_apply_kernelINS1_18TensorListMetadataILi1EEENS1_21BinaryOpScalarFunctorIdLi1ELi1ELi0EEEJSt4plusIdEdEEEvT_T0_DpT1_.kd
    .uniform_work_group_size: 1
    .uses_dynamic_stack: false
    .vgpr_count:     26
    .vgpr_spill_count: 0
    .wavefront_size: 64
  - .agpr_count:     0
    .args:
      - .offset:         0
        .size:           3368
        .value_kind:     by_value
      - .offset:         3368
        .size:           1
        .value_kind:     by_value
      - .offset:         3369
        .size:           1
        .value_kind:     by_value
      - .offset:         3372
        .size:           4
        .value_kind:     by_value
      - .offset:         3376
        .size:           4
        .value_kind:     hidden_block_count_x
      - .offset:         3380
        .size:           4
        .value_kind:     hidden_block_count_y
      - .offset:         3384
        .size:           4
        .value_kind:     hidden_block_count_z
      - .offset:         3388
        .size:           2
        .value_kind:     hidden_group_size_x
      - .offset:         3390
        .size:           2
        .value_kind:     hidden_group_size_y
      - .offset:         3392
        .size:           2
        .value_kind:     hidden_group_size_z
      - .offset:         3394
        .size:           2
        .value_kind:     hidden_remainder_x
      - .offset:         3396
        .size:           2
        .value_kind:     hidden_remainder_y
      - .offset:         3398
        .size:           2
        .value_kind:     hidden_remainder_z
      - .offset:         3416
        .size:           8
        .value_kind:     hidden_global_offset_x
      - .offset:         3424
        .size:           8
        .value_kind:     hidden_global_offset_y
      - .offset:         3432
        .size:           8
        .value_kind:     hidden_global_offset_z
      - .offset:         3440
        .size:           2
        .value_kind:     hidden_grid_dims
    .group_segment_fixed_size: 0
    .kernarg_segment_align: 8
    .kernarg_segment_size: 3632
    .language:       OpenCL C
    .language_version:
      - 2
      - 0
    .max_flat_workgroup_size: 512
    .name:           _ZN2at6native12_GLOBAL__N_125multi_tensor_apply_kernelINS1_18TensorListMetadataILi1EEENS1_21BinaryOpScalarFunctorIfLi1ELi1ELi0EEEJSt4plusIfEfEEEvT_T0_DpT1_
    .private_segment_fixed_size: 0
    .sgpr_count:     34
    .sgpr_spill_count: 0
    .symbol:         _ZN2at6native12_GLOBAL__N_125multi_tensor_apply_kernelINS1_18TensorListMetadataILi1EEENS1_21BinaryOpScalarFunctorIfLi1ELi1ELi0EEEJSt4plusIfEfEEEvT_T0_DpT1_.kd
    .uniform_work_group_size: 1
    .uses_dynamic_stack: false
    .vgpr_count:     22
    .vgpr_spill_count: 0
    .wavefront_size: 64
  - .agpr_count:     0
    .args:
      - .offset:         0
        .size:           3368
        .value_kind:     by_value
      - .offset:         3368
        .size:           1
        .value_kind:     by_value
      - .offset:         3369
        .size:           1
        .value_kind:     by_value
      - .offset:         3376
        .size:           16
        .value_kind:     by_value
      - .offset:         3392
        .size:           4
        .value_kind:     hidden_block_count_x
      - .offset:         3396
        .size:           4
        .value_kind:     hidden_block_count_y
      - .offset:         3400
        .size:           4
        .value_kind:     hidden_block_count_z
      - .offset:         3404
        .size:           2
        .value_kind:     hidden_group_size_x
      - .offset:         3406
        .size:           2
        .value_kind:     hidden_group_size_y
      - .offset:         3408
        .size:           2
        .value_kind:     hidden_group_size_z
      - .offset:         3410
        .size:           2
        .value_kind:     hidden_remainder_x
      - .offset:         3412
        .size:           2
        .value_kind:     hidden_remainder_y
      - .offset:         3414
        .size:           2
        .value_kind:     hidden_remainder_z
      - .offset:         3432
        .size:           8
        .value_kind:     hidden_global_offset_x
      - .offset:         3440
        .size:           8
        .value_kind:     hidden_global_offset_y
      - .offset:         3448
        .size:           8
        .value_kind:     hidden_global_offset_z
      - .offset:         3456
        .size:           2
        .value_kind:     hidden_grid_dims
    .group_segment_fixed_size: 0
    .kernarg_segment_align: 16
    .kernarg_segment_size: 3648
    .language:       OpenCL C
    .language_version:
      - 2
      - 0
    .max_flat_workgroup_size: 512
    .name:           _ZN2at6native12_GLOBAL__N_125multi_tensor_apply_kernelINS1_18TensorListMetadataILi1EEENS1_21BinaryOpScalarFunctorIN3c107complexIdEELi1ELi1ELi0EEEJSt4plusIS8_ES8_EEEvT_T0_DpT1_
    .private_segment_fixed_size: 0
    .sgpr_count:     36
    .sgpr_spill_count: 0
    .symbol:         _ZN2at6native12_GLOBAL__N_125multi_tensor_apply_kernelINS1_18TensorListMetadataILi1EEENS1_21BinaryOpScalarFunctorIN3c107complexIdEELi1ELi1ELi0EEEJSt4plusIS8_ES8_EEEvT_T0_DpT1_.kd
    .uniform_work_group_size: 1
    .uses_dynamic_stack: false
    .vgpr_count:     40
    .vgpr_spill_count: 0
    .wavefront_size: 64
  - .agpr_count:     0
    .args:
      - .offset:         0
        .size:           3368
        .value_kind:     by_value
      - .offset:         3368
        .size:           1
        .value_kind:     by_value
      - .offset:         3369
        .size:           1
        .value_kind:     by_value
      - .offset:         3376
        .size:           8
        .value_kind:     by_value
      - .offset:         3384
        .size:           4
        .value_kind:     hidden_block_count_x
      - .offset:         3388
        .size:           4
        .value_kind:     hidden_block_count_y
      - .offset:         3392
        .size:           4
        .value_kind:     hidden_block_count_z
      - .offset:         3396
        .size:           2
        .value_kind:     hidden_group_size_x
      - .offset:         3398
        .size:           2
        .value_kind:     hidden_group_size_y
      - .offset:         3400
        .size:           2
        .value_kind:     hidden_group_size_z
      - .offset:         3402
        .size:           2
        .value_kind:     hidden_remainder_x
      - .offset:         3404
        .size:           2
        .value_kind:     hidden_remainder_y
      - .offset:         3406
        .size:           2
        .value_kind:     hidden_remainder_z
      - .offset:         3424
        .size:           8
        .value_kind:     hidden_global_offset_x
      - .offset:         3432
        .size:           8
        .value_kind:     hidden_global_offset_y
      - .offset:         3440
        .size:           8
        .value_kind:     hidden_global_offset_z
      - .offset:         3448
        .size:           2
        .value_kind:     hidden_grid_dims
    .group_segment_fixed_size: 0
    .kernarg_segment_align: 8
    .kernarg_segment_size: 3640
    .language:       OpenCL C
    .language_version:
      - 2
      - 0
    .max_flat_workgroup_size: 512
    .name:           _ZN2at6native12_GLOBAL__N_125multi_tensor_apply_kernelINS1_18TensorListMetadataILi1EEENS1_21BinaryOpScalarFunctorIN3c107complexIfEELi1ELi1ELi0EEEJSt4plusIS8_ES8_EEEvT_T0_DpT1_
    .private_segment_fixed_size: 16
    .sgpr_count:     34
    .sgpr_spill_count: 0
    .symbol:         _ZN2at6native12_GLOBAL__N_125multi_tensor_apply_kernelINS1_18TensorListMetadataILi1EEENS1_21BinaryOpScalarFunctorIN3c107complexIfEELi1ELi1ELi0EEEJSt4plusIS8_ES8_EEEvT_T0_DpT1_.kd
    .uniform_work_group_size: 1
    .uses_dynamic_stack: false
    .vgpr_count:     38
    .vgpr_spill_count: 0
    .wavefront_size: 64
  - .agpr_count:     0
    .args:
      - .offset:         0
        .size:           3368
        .value_kind:     by_value
      - .offset:         3368
        .size:           1
        .value_kind:     by_value
      - .offset:         3369
        .size:           1
        .value_kind:     by_value
      - .offset:         3370
        .size:           1
        .value_kind:     by_value
      - .offset:         3376
        .size:           4
        .value_kind:     hidden_block_count_x
      - .offset:         3380
        .size:           4
        .value_kind:     hidden_block_count_y
      - .offset:         3384
        .size:           4
        .value_kind:     hidden_block_count_z
      - .offset:         3388
        .size:           2
        .value_kind:     hidden_group_size_x
      - .offset:         3390
        .size:           2
        .value_kind:     hidden_group_size_y
      - .offset:         3392
        .size:           2
        .value_kind:     hidden_group_size_z
      - .offset:         3394
        .size:           2
        .value_kind:     hidden_remainder_x
      - .offset:         3396
        .size:           2
        .value_kind:     hidden_remainder_y
      - .offset:         3398
        .size:           2
        .value_kind:     hidden_remainder_z
      - .offset:         3416
        .size:           8
        .value_kind:     hidden_global_offset_x
      - .offset:         3424
        .size:           8
        .value_kind:     hidden_global_offset_y
      - .offset:         3432
        .size:           8
        .value_kind:     hidden_global_offset_z
      - .offset:         3440
        .size:           2
        .value_kind:     hidden_grid_dims
    .group_segment_fixed_size: 0
    .kernarg_segment_align: 8
    .kernarg_segment_size: 3632
    .language:       OpenCL C
    .language_version:
      - 2
      - 0
    .max_flat_workgroup_size: 512
    .name:           _ZN2at6native12_GLOBAL__N_125multi_tensor_apply_kernelINS1_18TensorListMetadataILi1EEENS1_21BinaryOpScalarFunctorIbLi1ELi1ELi0EEEJSt4plusIbEbEEEvT_T0_DpT1_
    .private_segment_fixed_size: 0
    .sgpr_count:     28
    .sgpr_spill_count: 0
    .symbol:         _ZN2at6native12_GLOBAL__N_125multi_tensor_apply_kernelINS1_18TensorListMetadataILi1EEENS1_21BinaryOpScalarFunctorIbLi1ELi1ELi0EEEJSt4plusIbEbEEEvT_T0_DpT1_.kd
    .uniform_work_group_size: 1
    .uses_dynamic_stack: false
    .vgpr_count:     30
    .vgpr_spill_count: 0
    .wavefront_size: 64
  - .agpr_count:     0
    .args:
      - .offset:         0
        .size:           3368
        .value_kind:     by_value
      - .offset:         3368
        .size:           1
        .value_kind:     by_value
      - .offset:         3369
        .size:           1
        .value_kind:     by_value
      - .offset:         3372
        .size:           4
        .value_kind:     by_value
      - .offset:         3376
        .size:           4
        .value_kind:     hidden_block_count_x
      - .offset:         3380
        .size:           4
        .value_kind:     hidden_block_count_y
      - .offset:         3384
        .size:           4
        .value_kind:     hidden_block_count_z
      - .offset:         3388
        .size:           2
        .value_kind:     hidden_group_size_x
      - .offset:         3390
        .size:           2
        .value_kind:     hidden_group_size_y
      - .offset:         3392
        .size:           2
        .value_kind:     hidden_group_size_z
      - .offset:         3394
        .size:           2
        .value_kind:     hidden_remainder_x
      - .offset:         3396
        .size:           2
        .value_kind:     hidden_remainder_y
      - .offset:         3398
        .size:           2
        .value_kind:     hidden_remainder_z
      - .offset:         3416
        .size:           8
        .value_kind:     hidden_global_offset_x
      - .offset:         3424
        .size:           8
        .value_kind:     hidden_global_offset_y
      - .offset:         3432
        .size:           8
        .value_kind:     hidden_global_offset_z
      - .offset:         3440
        .size:           2
        .value_kind:     hidden_grid_dims
    .group_segment_fixed_size: 0
    .kernarg_segment_align: 8
    .kernarg_segment_size: 3632
    .language:       OpenCL C
    .language_version:
      - 2
      - 0
    .max_flat_workgroup_size: 512
    .name:           _ZN2at6native12_GLOBAL__N_125multi_tensor_apply_kernelINS1_18TensorListMetadataILi1EEENS1_21BinaryOpScalarFunctorIN3c104HalfELi1ELi1ELi0EEEJSt4plusIfEfEEEvT_T0_DpT1_
    .private_segment_fixed_size: 0
    .sgpr_count:     34
    .sgpr_spill_count: 0
    .symbol:         _ZN2at6native12_GLOBAL__N_125multi_tensor_apply_kernelINS1_18TensorListMetadataILi1EEENS1_21BinaryOpScalarFunctorIN3c104HalfELi1ELi1ELi0EEEJSt4plusIfEfEEEvT_T0_DpT1_.kd
    .uniform_work_group_size: 1
    .uses_dynamic_stack: false
    .vgpr_count:     22
    .vgpr_spill_count: 0
    .wavefront_size: 64
  - .agpr_count:     0
    .args:
      - .offset:         0
        .size:           3368
        .value_kind:     by_value
      - .offset:         3368
        .size:           1
        .value_kind:     by_value
      - .offset:         3369
        .size:           1
        .value_kind:     by_value
      - .offset:         3372
        .size:           4
        .value_kind:     by_value
      - .offset:         3376
        .size:           4
        .value_kind:     hidden_block_count_x
      - .offset:         3380
        .size:           4
        .value_kind:     hidden_block_count_y
      - .offset:         3384
        .size:           4
        .value_kind:     hidden_block_count_z
      - .offset:         3388
        .size:           2
        .value_kind:     hidden_group_size_x
      - .offset:         3390
        .size:           2
        .value_kind:     hidden_group_size_y
      - .offset:         3392
        .size:           2
        .value_kind:     hidden_group_size_z
      - .offset:         3394
        .size:           2
        .value_kind:     hidden_remainder_x
      - .offset:         3396
        .size:           2
        .value_kind:     hidden_remainder_y
      - .offset:         3398
        .size:           2
        .value_kind:     hidden_remainder_z
      - .offset:         3416
        .size:           8
        .value_kind:     hidden_global_offset_x
      - .offset:         3424
        .size:           8
        .value_kind:     hidden_global_offset_y
      - .offset:         3432
        .size:           8
        .value_kind:     hidden_global_offset_z
      - .offset:         3440
        .size:           2
        .value_kind:     hidden_grid_dims
    .group_segment_fixed_size: 0
    .kernarg_segment_align: 8
    .kernarg_segment_size: 3632
    .language:       OpenCL C
    .language_version:
      - 2
      - 0
    .max_flat_workgroup_size: 512
    .name:           _ZN2at6native12_GLOBAL__N_125multi_tensor_apply_kernelINS1_18TensorListMetadataILi1EEENS1_21BinaryOpScalarFunctorIN3c108BFloat16ELi1ELi1ELi0EEEJSt4plusIfEfEEEvT_T0_DpT1_
    .private_segment_fixed_size: 0
    .sgpr_count:     34
    .sgpr_spill_count: 0
    .symbol:         _ZN2at6native12_GLOBAL__N_125multi_tensor_apply_kernelINS1_18TensorListMetadataILi1EEENS1_21BinaryOpScalarFunctorIN3c108BFloat16ELi1ELi1ELi0EEEJSt4plusIfEfEEEvT_T0_DpT1_.kd
    .uniform_work_group_size: 1
    .uses_dynamic_stack: false
    .vgpr_count:     24
    .vgpr_spill_count: 0
    .wavefront_size: 64
  - .agpr_count:     0
    .args:
      - .offset:         0
        .size:           3144
        .value_kind:     by_value
      - .offset:         3144
        .size:           1
        .value_kind:     by_value
      - .offset:         3145
        .size:           1
        .value_kind:     by_value
      - .offset:         3146
        .size:           1
        .value_kind:     by_value
      - .offset:         3152
        .size:           4
        .value_kind:     hidden_block_count_x
      - .offset:         3156
        .size:           4
        .value_kind:     hidden_block_count_y
      - .offset:         3160
        .size:           4
        .value_kind:     hidden_block_count_z
      - .offset:         3164
        .size:           2
        .value_kind:     hidden_group_size_x
      - .offset:         3166
        .size:           2
        .value_kind:     hidden_group_size_y
      - .offset:         3168
        .size:           2
        .value_kind:     hidden_group_size_z
      - .offset:         3170
        .size:           2
        .value_kind:     hidden_remainder_x
      - .offset:         3172
        .size:           2
        .value_kind:     hidden_remainder_y
      - .offset:         3174
        .size:           2
        .value_kind:     hidden_remainder_z
      - .offset:         3192
        .size:           8
        .value_kind:     hidden_global_offset_x
      - .offset:         3200
        .size:           8
        .value_kind:     hidden_global_offset_y
      - .offset:         3208
        .size:           8
        .value_kind:     hidden_global_offset_z
      - .offset:         3216
        .size:           2
        .value_kind:     hidden_grid_dims
    .group_segment_fixed_size: 0
    .kernarg_segment_align: 8
    .kernarg_segment_size: 3408
    .language:       OpenCL C
    .language_version:
      - 2
      - 0
    .max_flat_workgroup_size: 512
    .name:           _ZN2at6native12_GLOBAL__N_125multi_tensor_apply_kernelINS1_18TensorListMetadataILi2EEENS1_21BinaryOpScalarFunctorIhLi2ELi1ELi1EEEJSt4plusIhEhEEEvT_T0_DpT1_
    .private_segment_fixed_size: 0
    .sgpr_count:     31
    .sgpr_spill_count: 0
    .symbol:         _ZN2at6native12_GLOBAL__N_125multi_tensor_apply_kernelINS1_18TensorListMetadataILi2EEENS1_21BinaryOpScalarFunctorIhLi2ELi1ELi1EEEJSt4plusIhEhEEEvT_T0_DpT1_.kd
    .uniform_work_group_size: 1
    .uses_dynamic_stack: false
    .vgpr_count:     32
    .vgpr_spill_count: 0
    .wavefront_size: 64
  - .agpr_count:     0
    .args:
      - .offset:         0
        .size:           3144
        .value_kind:     by_value
      - .offset:         3144
        .size:           1
        .value_kind:     by_value
      - .offset:         3145
        .size:           1
        .value_kind:     by_value
      - .offset:         3146
        .size:           1
        .value_kind:     by_value
      - .offset:         3152
        .size:           4
        .value_kind:     hidden_block_count_x
      - .offset:         3156
        .size:           4
        .value_kind:     hidden_block_count_y
      - .offset:         3160
        .size:           4
        .value_kind:     hidden_block_count_z
      - .offset:         3164
        .size:           2
        .value_kind:     hidden_group_size_x
      - .offset:         3166
        .size:           2
        .value_kind:     hidden_group_size_y
      - .offset:         3168
        .size:           2
        .value_kind:     hidden_group_size_z
      - .offset:         3170
        .size:           2
        .value_kind:     hidden_remainder_x
      - .offset:         3172
        .size:           2
        .value_kind:     hidden_remainder_y
      - .offset:         3174
        .size:           2
        .value_kind:     hidden_remainder_z
      - .offset:         3192
        .size:           8
        .value_kind:     hidden_global_offset_x
      - .offset:         3200
        .size:           8
        .value_kind:     hidden_global_offset_y
      - .offset:         3208
        .size:           8
        .value_kind:     hidden_global_offset_z
      - .offset:         3216
        .size:           2
        .value_kind:     hidden_grid_dims
    .group_segment_fixed_size: 0
    .kernarg_segment_align: 8
    .kernarg_segment_size: 3408
    .language:       OpenCL C
    .language_version:
      - 2
      - 0
    .max_flat_workgroup_size: 512
    .name:           _ZN2at6native12_GLOBAL__N_125multi_tensor_apply_kernelINS1_18TensorListMetadataILi2EEENS1_21BinaryOpScalarFunctorIaLi2ELi1ELi1EEEJSt4plusIaEaEEEvT_T0_DpT1_
    .private_segment_fixed_size: 0
    .sgpr_count:     31
    .sgpr_spill_count: 0
    .symbol:         _ZN2at6native12_GLOBAL__N_125multi_tensor_apply_kernelINS1_18TensorListMetadataILi2EEENS1_21BinaryOpScalarFunctorIaLi2ELi1ELi1EEEJSt4plusIaEaEEEvT_T0_DpT1_.kd
    .uniform_work_group_size: 1
    .uses_dynamic_stack: false
    .vgpr_count:     32
    .vgpr_spill_count: 0
    .wavefront_size: 64
  - .agpr_count:     0
    .args:
      - .offset:         0
        .size:           3144
        .value_kind:     by_value
      - .offset:         3144
        .size:           1
        .value_kind:     by_value
      - .offset:         3145
        .size:           1
        .value_kind:     by_value
      - .offset:         3148
        .size:           4
        .value_kind:     by_value
      - .offset:         3152
        .size:           4
        .value_kind:     hidden_block_count_x
      - .offset:         3156
        .size:           4
        .value_kind:     hidden_block_count_y
      - .offset:         3160
        .size:           4
        .value_kind:     hidden_block_count_z
      - .offset:         3164
        .size:           2
        .value_kind:     hidden_group_size_x
      - .offset:         3166
        .size:           2
        .value_kind:     hidden_group_size_y
      - .offset:         3168
        .size:           2
        .value_kind:     hidden_group_size_z
      - .offset:         3170
        .size:           2
        .value_kind:     hidden_remainder_x
      - .offset:         3172
        .size:           2
        .value_kind:     hidden_remainder_y
      - .offset:         3174
        .size:           2
        .value_kind:     hidden_remainder_z
      - .offset:         3192
        .size:           8
        .value_kind:     hidden_global_offset_x
      - .offset:         3200
        .size:           8
        .value_kind:     hidden_global_offset_y
      - .offset:         3208
        .size:           8
        .value_kind:     hidden_global_offset_z
      - .offset:         3216
        .size:           2
        .value_kind:     hidden_grid_dims
    .group_segment_fixed_size: 0
    .kernarg_segment_align: 8
    .kernarg_segment_size: 3408
    .language:       OpenCL C
    .language_version:
      - 2
      - 0
    .max_flat_workgroup_size: 512
    .name:           _ZN2at6native12_GLOBAL__N_125multi_tensor_apply_kernelINS1_18TensorListMetadataILi2EEENS1_21BinaryOpScalarFunctorIiLi2ELi1ELi1EEEJSt4plusIiEiEEEvT_T0_DpT1_
    .private_segment_fixed_size: 0
    .sgpr_count:     32
    .sgpr_spill_count: 0
    .symbol:         _ZN2at6native12_GLOBAL__N_125multi_tensor_apply_kernelINS1_18TensorListMetadataILi2EEENS1_21BinaryOpScalarFunctorIiLi2ELi1ELi1EEEJSt4plusIiEiEEEvT_T0_DpT1_.kd
    .uniform_work_group_size: 1
    .uses_dynamic_stack: false
    .vgpr_count:     32
    .vgpr_spill_count: 0
    .wavefront_size: 64
  - .agpr_count:     0
    .args:
      - .offset:         0
        .size:           3144
        .value_kind:     by_value
      - .offset:         3144
        .size:           1
        .value_kind:     by_value
      - .offset:         3145
        .size:           1
        .value_kind:     by_value
      - .offset:         3152
        .size:           8
        .value_kind:     by_value
      - .offset:         3160
        .size:           4
        .value_kind:     hidden_block_count_x
      - .offset:         3164
        .size:           4
        .value_kind:     hidden_block_count_y
      - .offset:         3168
        .size:           4
        .value_kind:     hidden_block_count_z
      - .offset:         3172
        .size:           2
        .value_kind:     hidden_group_size_x
      - .offset:         3174
        .size:           2
        .value_kind:     hidden_group_size_y
      - .offset:         3176
        .size:           2
        .value_kind:     hidden_group_size_z
      - .offset:         3178
        .size:           2
        .value_kind:     hidden_remainder_x
      - .offset:         3180
        .size:           2
        .value_kind:     hidden_remainder_y
      - .offset:         3182
        .size:           2
        .value_kind:     hidden_remainder_z
      - .offset:         3200
        .size:           8
        .value_kind:     hidden_global_offset_x
      - .offset:         3208
        .size:           8
        .value_kind:     hidden_global_offset_y
      - .offset:         3216
        .size:           8
        .value_kind:     hidden_global_offset_z
      - .offset:         3224
        .size:           2
        .value_kind:     hidden_grid_dims
    .group_segment_fixed_size: 0
    .kernarg_segment_align: 8
    .kernarg_segment_size: 3416
    .language:       OpenCL C
    .language_version:
      - 2
      - 0
    .max_flat_workgroup_size: 512
    .name:           _ZN2at6native12_GLOBAL__N_125multi_tensor_apply_kernelINS1_18TensorListMetadataILi2EEENS1_21BinaryOpScalarFunctorIlLi2ELi1ELi1EEEJSt4plusIlElEEEvT_T0_DpT1_
    .private_segment_fixed_size: 0
    .sgpr_count:     35
    .sgpr_spill_count: 0
    .symbol:         _ZN2at6native12_GLOBAL__N_125multi_tensor_apply_kernelINS1_18TensorListMetadataILi2EEENS1_21BinaryOpScalarFunctorIlLi2ELi1ELi1EEEJSt4plusIlElEEEvT_T0_DpT1_.kd
    .uniform_work_group_size: 1
    .uses_dynamic_stack: false
    .vgpr_count:     34
    .vgpr_spill_count: 0
    .wavefront_size: 64
  - .agpr_count:     0
    .args:
      - .offset:         0
        .size:           3144
        .value_kind:     by_value
      - .offset:         3144
        .size:           1
        .value_kind:     by_value
      - .offset:         3145
        .size:           1
        .value_kind:     by_value
      - .offset:         3146
        .size:           2
        .value_kind:     by_value
      - .offset:         3152
        .size:           4
        .value_kind:     hidden_block_count_x
      - .offset:         3156
        .size:           4
        .value_kind:     hidden_block_count_y
      - .offset:         3160
        .size:           4
        .value_kind:     hidden_block_count_z
      - .offset:         3164
        .size:           2
        .value_kind:     hidden_group_size_x
      - .offset:         3166
        .size:           2
        .value_kind:     hidden_group_size_y
      - .offset:         3168
        .size:           2
        .value_kind:     hidden_group_size_z
      - .offset:         3170
        .size:           2
        .value_kind:     hidden_remainder_x
      - .offset:         3172
        .size:           2
        .value_kind:     hidden_remainder_y
      - .offset:         3174
        .size:           2
        .value_kind:     hidden_remainder_z
      - .offset:         3192
        .size:           8
        .value_kind:     hidden_global_offset_x
      - .offset:         3200
        .size:           8
        .value_kind:     hidden_global_offset_y
      - .offset:         3208
        .size:           8
        .value_kind:     hidden_global_offset_z
      - .offset:         3216
        .size:           2
        .value_kind:     hidden_grid_dims
    .group_segment_fixed_size: 0
    .kernarg_segment_align: 8
    .kernarg_segment_size: 3408
    .language:       OpenCL C
    .language_version:
      - 2
      - 0
    .max_flat_workgroup_size: 512
    .name:           _ZN2at6native12_GLOBAL__N_125multi_tensor_apply_kernelINS1_18TensorListMetadataILi2EEENS1_21BinaryOpScalarFunctorIsLi2ELi1ELi1EEEJSt4plusIsEsEEEvT_T0_DpT1_
    .private_segment_fixed_size: 0
    .sgpr_count:     33
    .sgpr_spill_count: 0
    .symbol:         _ZN2at6native12_GLOBAL__N_125multi_tensor_apply_kernelINS1_18TensorListMetadataILi2EEENS1_21BinaryOpScalarFunctorIsLi2ELi1ELi1EEEJSt4plusIsEsEEEvT_T0_DpT1_.kd
    .uniform_work_group_size: 1
    .uses_dynamic_stack: false
    .vgpr_count:     32
    .vgpr_spill_count: 0
    .wavefront_size: 64
  - .agpr_count:     0
    .args:
      - .offset:         0
        .size:           3144
        .value_kind:     by_value
      - .offset:         3144
        .size:           1
        .value_kind:     by_value
      - .offset:         3145
        .size:           1
        .value_kind:     by_value
      - .offset:         3152
        .size:           8
        .value_kind:     by_value
      - .offset:         3160
        .size:           4
        .value_kind:     hidden_block_count_x
      - .offset:         3164
        .size:           4
        .value_kind:     hidden_block_count_y
      - .offset:         3168
        .size:           4
        .value_kind:     hidden_block_count_z
      - .offset:         3172
        .size:           2
        .value_kind:     hidden_group_size_x
      - .offset:         3174
        .size:           2
        .value_kind:     hidden_group_size_y
      - .offset:         3176
        .size:           2
        .value_kind:     hidden_group_size_z
      - .offset:         3178
        .size:           2
        .value_kind:     hidden_remainder_x
      - .offset:         3180
        .size:           2
        .value_kind:     hidden_remainder_y
      - .offset:         3182
        .size:           2
        .value_kind:     hidden_remainder_z
      - .offset:         3200
        .size:           8
        .value_kind:     hidden_global_offset_x
      - .offset:         3208
        .size:           8
        .value_kind:     hidden_global_offset_y
      - .offset:         3216
        .size:           8
        .value_kind:     hidden_global_offset_z
      - .offset:         3224
        .size:           2
        .value_kind:     hidden_grid_dims
    .group_segment_fixed_size: 0
    .kernarg_segment_align: 8
    .kernarg_segment_size: 3416
    .language:       OpenCL C
    .language_version:
      - 2
      - 0
    .max_flat_workgroup_size: 512
    .name:           _ZN2at6native12_GLOBAL__N_125multi_tensor_apply_kernelINS1_18TensorListMetadataILi2EEENS1_21BinaryOpScalarFunctorIdLi2ELi1ELi1EEEJSt4plusIdEdEEEvT_T0_DpT1_
    .private_segment_fixed_size: 0
    .sgpr_count:     35
    .sgpr_spill_count: 0
    .symbol:         _ZN2at6native12_GLOBAL__N_125multi_tensor_apply_kernelINS1_18TensorListMetadataILi2EEENS1_21BinaryOpScalarFunctorIdLi2ELi1ELi1EEEJSt4plusIdEdEEEvT_T0_DpT1_.kd
    .uniform_work_group_size: 1
    .uses_dynamic_stack: false
    .vgpr_count:     34
    .vgpr_spill_count: 0
    .wavefront_size: 64
  - .agpr_count:     0
    .args:
      - .offset:         0
        .size:           3144
        .value_kind:     by_value
      - .offset:         3144
        .size:           1
        .value_kind:     by_value
      - .offset:         3145
        .size:           1
        .value_kind:     by_value
      - .offset:         3148
        .size:           4
        .value_kind:     by_value
      - .offset:         3152
        .size:           4
        .value_kind:     hidden_block_count_x
      - .offset:         3156
        .size:           4
        .value_kind:     hidden_block_count_y
      - .offset:         3160
        .size:           4
        .value_kind:     hidden_block_count_z
      - .offset:         3164
        .size:           2
        .value_kind:     hidden_group_size_x
      - .offset:         3166
        .size:           2
        .value_kind:     hidden_group_size_y
      - .offset:         3168
        .size:           2
        .value_kind:     hidden_group_size_z
      - .offset:         3170
        .size:           2
        .value_kind:     hidden_remainder_x
      - .offset:         3172
        .size:           2
        .value_kind:     hidden_remainder_y
      - .offset:         3174
        .size:           2
        .value_kind:     hidden_remainder_z
      - .offset:         3192
        .size:           8
        .value_kind:     hidden_global_offset_x
      - .offset:         3200
        .size:           8
        .value_kind:     hidden_global_offset_y
      - .offset:         3208
        .size:           8
        .value_kind:     hidden_global_offset_z
      - .offset:         3216
        .size:           2
        .value_kind:     hidden_grid_dims
    .group_segment_fixed_size: 0
    .kernarg_segment_align: 8
    .kernarg_segment_size: 3408
    .language:       OpenCL C
    .language_version:
      - 2
      - 0
    .max_flat_workgroup_size: 512
    .name:           _ZN2at6native12_GLOBAL__N_125multi_tensor_apply_kernelINS1_18TensorListMetadataILi2EEENS1_21BinaryOpScalarFunctorIfLi2ELi1ELi1EEEJSt4plusIfEfEEEvT_T0_DpT1_
    .private_segment_fixed_size: 0
    .sgpr_count:     32
    .sgpr_spill_count: 0
    .symbol:         _ZN2at6native12_GLOBAL__N_125multi_tensor_apply_kernelINS1_18TensorListMetadataILi2EEENS1_21BinaryOpScalarFunctorIfLi2ELi1ELi1EEEJSt4plusIfEfEEEvT_T0_DpT1_.kd
    .uniform_work_group_size: 1
    .uses_dynamic_stack: false
    .vgpr_count:     32
    .vgpr_spill_count: 0
    .wavefront_size: 64
  - .agpr_count:     0
    .args:
      - .offset:         0
        .size:           3144
        .value_kind:     by_value
      - .offset:         3144
        .size:           1
        .value_kind:     by_value
      - .offset:         3145
        .size:           1
        .value_kind:     by_value
      - .offset:         3152
        .size:           16
        .value_kind:     by_value
      - .offset:         3168
        .size:           4
        .value_kind:     hidden_block_count_x
      - .offset:         3172
        .size:           4
        .value_kind:     hidden_block_count_y
      - .offset:         3176
        .size:           4
        .value_kind:     hidden_block_count_z
      - .offset:         3180
        .size:           2
        .value_kind:     hidden_group_size_x
      - .offset:         3182
        .size:           2
        .value_kind:     hidden_group_size_y
      - .offset:         3184
        .size:           2
        .value_kind:     hidden_group_size_z
      - .offset:         3186
        .size:           2
        .value_kind:     hidden_remainder_x
      - .offset:         3188
        .size:           2
        .value_kind:     hidden_remainder_y
      - .offset:         3190
        .size:           2
        .value_kind:     hidden_remainder_z
      - .offset:         3208
        .size:           8
        .value_kind:     hidden_global_offset_x
      - .offset:         3216
        .size:           8
        .value_kind:     hidden_global_offset_y
      - .offset:         3224
        .size:           8
        .value_kind:     hidden_global_offset_z
      - .offset:         3232
        .size:           2
        .value_kind:     hidden_grid_dims
    .group_segment_fixed_size: 0
    .kernarg_segment_align: 16
    .kernarg_segment_size: 3424
    .language:       OpenCL C
    .language_version:
      - 2
      - 0
    .max_flat_workgroup_size: 512
    .name:           _ZN2at6native12_GLOBAL__N_125multi_tensor_apply_kernelINS1_18TensorListMetadataILi2EEENS1_21BinaryOpScalarFunctorIN3c107complexIdEELi2ELi1ELi1EEEJSt4plusIS8_ES8_EEEvT_T0_DpT1_
    .private_segment_fixed_size: 0
    .sgpr_count:     40
    .sgpr_spill_count: 0
    .symbol:         _ZN2at6native12_GLOBAL__N_125multi_tensor_apply_kernelINS1_18TensorListMetadataILi2EEENS1_21BinaryOpScalarFunctorIN3c107complexIdEELi2ELi1ELi1EEEJSt4plusIS8_ES8_EEEvT_T0_DpT1_.kd
    .uniform_work_group_size: 1
    .uses_dynamic_stack: false
    .vgpr_count:     26
    .vgpr_spill_count: 0
    .wavefront_size: 64
  - .agpr_count:     0
    .args:
      - .offset:         0
        .size:           3144
        .value_kind:     by_value
      - .offset:         3144
        .size:           1
        .value_kind:     by_value
      - .offset:         3145
        .size:           1
        .value_kind:     by_value
      - .offset:         3152
        .size:           8
        .value_kind:     by_value
      - .offset:         3160
        .size:           4
        .value_kind:     hidden_block_count_x
      - .offset:         3164
        .size:           4
        .value_kind:     hidden_block_count_y
      - .offset:         3168
        .size:           4
        .value_kind:     hidden_block_count_z
      - .offset:         3172
        .size:           2
        .value_kind:     hidden_group_size_x
      - .offset:         3174
        .size:           2
        .value_kind:     hidden_group_size_y
      - .offset:         3176
        .size:           2
        .value_kind:     hidden_group_size_z
      - .offset:         3178
        .size:           2
        .value_kind:     hidden_remainder_x
      - .offset:         3180
        .size:           2
        .value_kind:     hidden_remainder_y
      - .offset:         3182
        .size:           2
        .value_kind:     hidden_remainder_z
      - .offset:         3200
        .size:           8
        .value_kind:     hidden_global_offset_x
      - .offset:         3208
        .size:           8
        .value_kind:     hidden_global_offset_y
      - .offset:         3216
        .size:           8
        .value_kind:     hidden_global_offset_z
      - .offset:         3224
        .size:           2
        .value_kind:     hidden_grid_dims
    .group_segment_fixed_size: 0
    .kernarg_segment_align: 8
    .kernarg_segment_size: 3416
    .language:       OpenCL C
    .language_version:
      - 2
      - 0
    .max_flat_workgroup_size: 512
    .name:           _ZN2at6native12_GLOBAL__N_125multi_tensor_apply_kernelINS1_18TensorListMetadataILi2EEENS1_21BinaryOpScalarFunctorIN3c107complexIfEELi2ELi1ELi1EEEJSt4plusIS8_ES8_EEEvT_T0_DpT1_
    .private_segment_fixed_size: 16
    .sgpr_count:     38
    .sgpr_spill_count: 0
    .symbol:         _ZN2at6native12_GLOBAL__N_125multi_tensor_apply_kernelINS1_18TensorListMetadataILi2EEENS1_21BinaryOpScalarFunctorIN3c107complexIfEELi2ELi1ELi1EEEJSt4plusIS8_ES8_EEEvT_T0_DpT1_.kd
    .uniform_work_group_size: 1
    .uses_dynamic_stack: false
    .vgpr_count:     38
    .vgpr_spill_count: 0
    .wavefront_size: 64
  - .agpr_count:     0
    .args:
      - .offset:         0
        .size:           3144
        .value_kind:     by_value
      - .offset:         3144
        .size:           1
        .value_kind:     by_value
      - .offset:         3145
        .size:           1
        .value_kind:     by_value
      - .offset:         3146
        .size:           1
        .value_kind:     by_value
      - .offset:         3152
        .size:           4
        .value_kind:     hidden_block_count_x
      - .offset:         3156
        .size:           4
        .value_kind:     hidden_block_count_y
      - .offset:         3160
        .size:           4
        .value_kind:     hidden_block_count_z
      - .offset:         3164
        .size:           2
        .value_kind:     hidden_group_size_x
      - .offset:         3166
        .size:           2
        .value_kind:     hidden_group_size_y
      - .offset:         3168
        .size:           2
        .value_kind:     hidden_group_size_z
      - .offset:         3170
        .size:           2
        .value_kind:     hidden_remainder_x
      - .offset:         3172
        .size:           2
        .value_kind:     hidden_remainder_y
      - .offset:         3174
        .size:           2
        .value_kind:     hidden_remainder_z
      - .offset:         3192
        .size:           8
        .value_kind:     hidden_global_offset_x
      - .offset:         3200
        .size:           8
        .value_kind:     hidden_global_offset_y
      - .offset:         3208
        .size:           8
        .value_kind:     hidden_global_offset_z
      - .offset:         3216
        .size:           2
        .value_kind:     hidden_grid_dims
    .group_segment_fixed_size: 0
    .kernarg_segment_align: 8
    .kernarg_segment_size: 3408
    .language:       OpenCL C
    .language_version:
      - 2
      - 0
    .max_flat_workgroup_size: 512
    .name:           _ZN2at6native12_GLOBAL__N_125multi_tensor_apply_kernelINS1_18TensorListMetadataILi2EEENS1_21BinaryOpScalarFunctorIbLi2ELi1ELi1EEEJSt4plusIbEbEEEvT_T0_DpT1_
    .private_segment_fixed_size: 0
    .sgpr_count:     30
    .sgpr_spill_count: 0
    .symbol:         _ZN2at6native12_GLOBAL__N_125multi_tensor_apply_kernelINS1_18TensorListMetadataILi2EEENS1_21BinaryOpScalarFunctorIbLi2ELi1ELi1EEEJSt4plusIbEbEEEvT_T0_DpT1_.kd
    .uniform_work_group_size: 1
    .uses_dynamic_stack: false
    .vgpr_count:     32
    .vgpr_spill_count: 0
    .wavefront_size: 64
  - .agpr_count:     0
    .args:
      - .offset:         0
        .size:           3144
        .value_kind:     by_value
      - .offset:         3144
        .size:           1
        .value_kind:     by_value
      - .offset:         3145
        .size:           1
        .value_kind:     by_value
      - .offset:         3148
        .size:           4
        .value_kind:     by_value
      - .offset:         3152
        .size:           4
        .value_kind:     hidden_block_count_x
      - .offset:         3156
        .size:           4
        .value_kind:     hidden_block_count_y
      - .offset:         3160
        .size:           4
        .value_kind:     hidden_block_count_z
      - .offset:         3164
        .size:           2
        .value_kind:     hidden_group_size_x
      - .offset:         3166
        .size:           2
        .value_kind:     hidden_group_size_y
      - .offset:         3168
        .size:           2
        .value_kind:     hidden_group_size_z
      - .offset:         3170
        .size:           2
        .value_kind:     hidden_remainder_x
      - .offset:         3172
        .size:           2
        .value_kind:     hidden_remainder_y
      - .offset:         3174
        .size:           2
        .value_kind:     hidden_remainder_z
      - .offset:         3192
        .size:           8
        .value_kind:     hidden_global_offset_x
      - .offset:         3200
        .size:           8
        .value_kind:     hidden_global_offset_y
      - .offset:         3208
        .size:           8
        .value_kind:     hidden_global_offset_z
      - .offset:         3216
        .size:           2
        .value_kind:     hidden_grid_dims
    .group_segment_fixed_size: 0
    .kernarg_segment_align: 8
    .kernarg_segment_size: 3408
    .language:       OpenCL C
    .language_version:
      - 2
      - 0
    .max_flat_workgroup_size: 512
    .name:           _ZN2at6native12_GLOBAL__N_125multi_tensor_apply_kernelINS1_18TensorListMetadataILi2EEENS1_21BinaryOpScalarFunctorIN3c104HalfELi2ELi1ELi1EEEJSt4plusIfEfEEEvT_T0_DpT1_
    .private_segment_fixed_size: 0
    .sgpr_count:     34
    .sgpr_spill_count: 0
    .symbol:         _ZN2at6native12_GLOBAL__N_125multi_tensor_apply_kernelINS1_18TensorListMetadataILi2EEENS1_21BinaryOpScalarFunctorIN3c104HalfELi2ELi1ELi1EEEJSt4plusIfEfEEEvT_T0_DpT1_.kd
    .uniform_work_group_size: 1
    .uses_dynamic_stack: false
    .vgpr_count:     32
    .vgpr_spill_count: 0
    .wavefront_size: 64
  - .agpr_count:     0
    .args:
      - .offset:         0
        .size:           3144
        .value_kind:     by_value
      - .offset:         3144
        .size:           1
        .value_kind:     by_value
      - .offset:         3145
        .size:           1
        .value_kind:     by_value
      - .offset:         3148
        .size:           4
        .value_kind:     by_value
      - .offset:         3152
        .size:           4
        .value_kind:     hidden_block_count_x
      - .offset:         3156
        .size:           4
        .value_kind:     hidden_block_count_y
      - .offset:         3160
        .size:           4
        .value_kind:     hidden_block_count_z
      - .offset:         3164
        .size:           2
        .value_kind:     hidden_group_size_x
      - .offset:         3166
        .size:           2
        .value_kind:     hidden_group_size_y
      - .offset:         3168
        .size:           2
        .value_kind:     hidden_group_size_z
      - .offset:         3170
        .size:           2
        .value_kind:     hidden_remainder_x
      - .offset:         3172
        .size:           2
        .value_kind:     hidden_remainder_y
      - .offset:         3174
        .size:           2
        .value_kind:     hidden_remainder_z
      - .offset:         3192
        .size:           8
        .value_kind:     hidden_global_offset_x
      - .offset:         3200
        .size:           8
        .value_kind:     hidden_global_offset_y
      - .offset:         3208
        .size:           8
        .value_kind:     hidden_global_offset_z
      - .offset:         3216
        .size:           2
        .value_kind:     hidden_grid_dims
    .group_segment_fixed_size: 0
    .kernarg_segment_align: 8
    .kernarg_segment_size: 3408
    .language:       OpenCL C
    .language_version:
      - 2
      - 0
    .max_flat_workgroup_size: 512
    .name:           _ZN2at6native12_GLOBAL__N_125multi_tensor_apply_kernelINS1_18TensorListMetadataILi2EEENS1_21BinaryOpScalarFunctorIN3c108BFloat16ELi2ELi1ELi1EEEJSt4plusIfEfEEEvT_T0_DpT1_
    .private_segment_fixed_size: 0
    .sgpr_count:     33
    .sgpr_spill_count: 0
    .symbol:         _ZN2at6native12_GLOBAL__N_125multi_tensor_apply_kernelINS1_18TensorListMetadataILi2EEENS1_21BinaryOpScalarFunctorIN3c108BFloat16ELi2ELi1ELi1EEEJSt4plusIfEfEEEvT_T0_DpT1_.kd
    .uniform_work_group_size: 1
    .uses_dynamic_stack: false
    .vgpr_count:     34
    .vgpr_spill_count: 0
    .wavefront_size: 64
  - .agpr_count:     0
    .args:
      - .offset:         0
        .size:           3368
        .value_kind:     by_value
      - .offset:         3368
        .size:           1
        .value_kind:     by_value
      - .offset:         3369
        .size:           1
        .value_kind:     by_value
      - .offset:         3370
        .size:           1
        .value_kind:     by_value
      - .offset:         3376
        .size:           4
        .value_kind:     hidden_block_count_x
      - .offset:         3380
        .size:           4
        .value_kind:     hidden_block_count_y
      - .offset:         3384
        .size:           4
        .value_kind:     hidden_block_count_z
      - .offset:         3388
        .size:           2
        .value_kind:     hidden_group_size_x
      - .offset:         3390
        .size:           2
        .value_kind:     hidden_group_size_y
      - .offset:         3392
        .size:           2
        .value_kind:     hidden_group_size_z
      - .offset:         3394
        .size:           2
        .value_kind:     hidden_remainder_x
      - .offset:         3396
        .size:           2
        .value_kind:     hidden_remainder_y
      - .offset:         3398
        .size:           2
        .value_kind:     hidden_remainder_z
      - .offset:         3416
        .size:           8
        .value_kind:     hidden_global_offset_x
      - .offset:         3424
        .size:           8
        .value_kind:     hidden_global_offset_y
      - .offset:         3432
        .size:           8
        .value_kind:     hidden_global_offset_z
      - .offset:         3440
        .size:           2
        .value_kind:     hidden_grid_dims
    .group_segment_fixed_size: 0
    .kernarg_segment_align: 8
    .kernarg_segment_size: 3632
    .language:       OpenCL C
    .language_version:
      - 2
      - 0
    .max_flat_workgroup_size: 512
    .name:           _ZN2at6native12_GLOBAL__N_125multi_tensor_apply_kernelINS1_18TensorListMetadataILi1EEENS1_21BinaryOpScalarFunctorIhLi1ELi1ELi0EEEJSt10multipliesIhEhEEEvT_T0_DpT1_
    .private_segment_fixed_size: 0
    .sgpr_count:     29
    .sgpr_spill_count: 0
    .symbol:         _ZN2at6native12_GLOBAL__N_125multi_tensor_apply_kernelINS1_18TensorListMetadataILi1EEENS1_21BinaryOpScalarFunctorIhLi1ELi1ELi0EEEJSt10multipliesIhEhEEEvT_T0_DpT1_.kd
    .uniform_work_group_size: 1
    .uses_dynamic_stack: false
    .vgpr_count:     30
    .vgpr_spill_count: 0
    .wavefront_size: 64
  - .agpr_count:     0
    .args:
      - .offset:         0
        .size:           3368
        .value_kind:     by_value
      - .offset:         3368
        .size:           1
        .value_kind:     by_value
      - .offset:         3369
        .size:           1
        .value_kind:     by_value
      - .offset:         3370
        .size:           1
        .value_kind:     by_value
      - .offset:         3376
        .size:           4
        .value_kind:     hidden_block_count_x
      - .offset:         3380
        .size:           4
        .value_kind:     hidden_block_count_y
      - .offset:         3384
        .size:           4
        .value_kind:     hidden_block_count_z
      - .offset:         3388
        .size:           2
        .value_kind:     hidden_group_size_x
      - .offset:         3390
        .size:           2
        .value_kind:     hidden_group_size_y
      - .offset:         3392
        .size:           2
        .value_kind:     hidden_group_size_z
      - .offset:         3394
        .size:           2
        .value_kind:     hidden_remainder_x
      - .offset:         3396
        .size:           2
        .value_kind:     hidden_remainder_y
      - .offset:         3398
        .size:           2
        .value_kind:     hidden_remainder_z
      - .offset:         3416
        .size:           8
        .value_kind:     hidden_global_offset_x
      - .offset:         3424
        .size:           8
        .value_kind:     hidden_global_offset_y
      - .offset:         3432
        .size:           8
        .value_kind:     hidden_global_offset_z
      - .offset:         3440
        .size:           2
        .value_kind:     hidden_grid_dims
    .group_segment_fixed_size: 0
    .kernarg_segment_align: 8
    .kernarg_segment_size: 3632
    .language:       OpenCL C
    .language_version:
      - 2
      - 0
    .max_flat_workgroup_size: 512
    .name:           _ZN2at6native12_GLOBAL__N_125multi_tensor_apply_kernelINS1_18TensorListMetadataILi1EEENS1_21BinaryOpScalarFunctorIaLi1ELi1ELi0EEEJSt10multipliesIaEaEEEvT_T0_DpT1_
    .private_segment_fixed_size: 0
    .sgpr_count:     29
    .sgpr_spill_count: 0
    .symbol:         _ZN2at6native12_GLOBAL__N_125multi_tensor_apply_kernelINS1_18TensorListMetadataILi1EEENS1_21BinaryOpScalarFunctorIaLi1ELi1ELi0EEEJSt10multipliesIaEaEEEvT_T0_DpT1_.kd
    .uniform_work_group_size: 1
    .uses_dynamic_stack: false
    .vgpr_count:     30
    .vgpr_spill_count: 0
    .wavefront_size: 64
  - .agpr_count:     0
    .args:
      - .offset:         0
        .size:           3368
        .value_kind:     by_value
      - .offset:         3368
        .size:           1
        .value_kind:     by_value
      - .offset:         3369
        .size:           1
        .value_kind:     by_value
      - .offset:         3372
        .size:           4
        .value_kind:     by_value
      - .offset:         3376
        .size:           4
        .value_kind:     hidden_block_count_x
      - .offset:         3380
        .size:           4
        .value_kind:     hidden_block_count_y
      - .offset:         3384
        .size:           4
        .value_kind:     hidden_block_count_z
      - .offset:         3388
        .size:           2
        .value_kind:     hidden_group_size_x
      - .offset:         3390
        .size:           2
        .value_kind:     hidden_group_size_y
      - .offset:         3392
        .size:           2
        .value_kind:     hidden_group_size_z
      - .offset:         3394
        .size:           2
        .value_kind:     hidden_remainder_x
      - .offset:         3396
        .size:           2
        .value_kind:     hidden_remainder_y
      - .offset:         3398
        .size:           2
        .value_kind:     hidden_remainder_z
      - .offset:         3416
        .size:           8
        .value_kind:     hidden_global_offset_x
      - .offset:         3424
        .size:           8
        .value_kind:     hidden_global_offset_y
      - .offset:         3432
        .size:           8
        .value_kind:     hidden_global_offset_z
      - .offset:         3440
        .size:           2
        .value_kind:     hidden_grid_dims
    .group_segment_fixed_size: 0
    .kernarg_segment_align: 8
    .kernarg_segment_size: 3632
    .language:       OpenCL C
    .language_version:
      - 2
      - 0
    .max_flat_workgroup_size: 512
    .name:           _ZN2at6native12_GLOBAL__N_125multi_tensor_apply_kernelINS1_18TensorListMetadataILi1EEENS1_21BinaryOpScalarFunctorIiLi1ELi1ELi0EEEJSt10multipliesIiEiEEEvT_T0_DpT1_
    .private_segment_fixed_size: 0
    .sgpr_count:     34
    .sgpr_spill_count: 0
    .symbol:         _ZN2at6native12_GLOBAL__N_125multi_tensor_apply_kernelINS1_18TensorListMetadataILi1EEENS1_21BinaryOpScalarFunctorIiLi1ELi1ELi0EEEJSt10multipliesIiEiEEEvT_T0_DpT1_.kd
    .uniform_work_group_size: 1
    .uses_dynamic_stack: false
    .vgpr_count:     22
    .vgpr_spill_count: 0
    .wavefront_size: 64
  - .agpr_count:     0
    .args:
      - .offset:         0
        .size:           3368
        .value_kind:     by_value
      - .offset:         3368
        .size:           1
        .value_kind:     by_value
      - .offset:         3369
        .size:           1
        .value_kind:     by_value
      - .offset:         3376
        .size:           8
        .value_kind:     by_value
      - .offset:         3384
        .size:           4
        .value_kind:     hidden_block_count_x
      - .offset:         3388
        .size:           4
        .value_kind:     hidden_block_count_y
      - .offset:         3392
        .size:           4
        .value_kind:     hidden_block_count_z
      - .offset:         3396
        .size:           2
        .value_kind:     hidden_group_size_x
      - .offset:         3398
        .size:           2
        .value_kind:     hidden_group_size_y
      - .offset:         3400
        .size:           2
        .value_kind:     hidden_group_size_z
      - .offset:         3402
        .size:           2
        .value_kind:     hidden_remainder_x
      - .offset:         3404
        .size:           2
        .value_kind:     hidden_remainder_y
      - .offset:         3406
        .size:           2
        .value_kind:     hidden_remainder_z
      - .offset:         3424
        .size:           8
        .value_kind:     hidden_global_offset_x
      - .offset:         3432
        .size:           8
        .value_kind:     hidden_global_offset_y
      - .offset:         3440
        .size:           8
        .value_kind:     hidden_global_offset_z
      - .offset:         3448
        .size:           2
        .value_kind:     hidden_grid_dims
    .group_segment_fixed_size: 0
    .kernarg_segment_align: 8
    .kernarg_segment_size: 3640
    .language:       OpenCL C
    .language_version:
      - 2
      - 0
    .max_flat_workgroup_size: 512
    .name:           _ZN2at6native12_GLOBAL__N_125multi_tensor_apply_kernelINS1_18TensorListMetadataILi1EEENS1_21BinaryOpScalarFunctorIlLi1ELi1ELi0EEEJSt10multipliesIlElEEEvT_T0_DpT1_
    .private_segment_fixed_size: 0
    .sgpr_count:     35
    .sgpr_spill_count: 0
    .symbol:         _ZN2at6native12_GLOBAL__N_125multi_tensor_apply_kernelINS1_18TensorListMetadataILi1EEENS1_21BinaryOpScalarFunctorIlLi1ELi1ELi0EEEJSt10multipliesIlElEEEvT_T0_DpT1_.kd
    .uniform_work_group_size: 1
    .uses_dynamic_stack: false
    .vgpr_count:     28
    .vgpr_spill_count: 0
    .wavefront_size: 64
  - .agpr_count:     0
    .args:
      - .offset:         0
        .size:           3368
        .value_kind:     by_value
      - .offset:         3368
        .size:           1
        .value_kind:     by_value
      - .offset:         3369
        .size:           1
        .value_kind:     by_value
      - .offset:         3370
        .size:           2
        .value_kind:     by_value
      - .offset:         3376
        .size:           4
        .value_kind:     hidden_block_count_x
      - .offset:         3380
        .size:           4
        .value_kind:     hidden_block_count_y
      - .offset:         3384
        .size:           4
        .value_kind:     hidden_block_count_z
      - .offset:         3388
        .size:           2
        .value_kind:     hidden_group_size_x
      - .offset:         3390
        .size:           2
        .value_kind:     hidden_group_size_y
      - .offset:         3392
        .size:           2
        .value_kind:     hidden_group_size_z
      - .offset:         3394
        .size:           2
        .value_kind:     hidden_remainder_x
      - .offset:         3396
        .size:           2
        .value_kind:     hidden_remainder_y
      - .offset:         3398
        .size:           2
        .value_kind:     hidden_remainder_z
      - .offset:         3416
        .size:           8
        .value_kind:     hidden_global_offset_x
      - .offset:         3424
        .size:           8
        .value_kind:     hidden_global_offset_y
      - .offset:         3432
        .size:           8
        .value_kind:     hidden_global_offset_z
      - .offset:         3440
        .size:           2
        .value_kind:     hidden_grid_dims
    .group_segment_fixed_size: 0
    .kernarg_segment_align: 8
    .kernarg_segment_size: 3632
    .language:       OpenCL C
    .language_version:
      - 2
      - 0
    .max_flat_workgroup_size: 512
    .name:           _ZN2at6native12_GLOBAL__N_125multi_tensor_apply_kernelINS1_18TensorListMetadataILi1EEENS1_21BinaryOpScalarFunctorIsLi1ELi1ELi0EEEJSt10multipliesIsEsEEEvT_T0_DpT1_
    .private_segment_fixed_size: 0
    .sgpr_count:     33
    .sgpr_spill_count: 0
    .symbol:         _ZN2at6native12_GLOBAL__N_125multi_tensor_apply_kernelINS1_18TensorListMetadataILi1EEENS1_21BinaryOpScalarFunctorIsLi1ELi1ELi0EEEJSt10multipliesIsEsEEEvT_T0_DpT1_.kd
    .uniform_work_group_size: 1
    .uses_dynamic_stack: false
    .vgpr_count:     22
    .vgpr_spill_count: 0
    .wavefront_size: 64
  - .agpr_count:     0
    .args:
      - .offset:         0
        .size:           3368
        .value_kind:     by_value
      - .offset:         3368
        .size:           1
        .value_kind:     by_value
      - .offset:         3369
        .size:           1
        .value_kind:     by_value
      - .offset:         3376
        .size:           8
        .value_kind:     by_value
      - .offset:         3384
        .size:           4
        .value_kind:     hidden_block_count_x
      - .offset:         3388
        .size:           4
        .value_kind:     hidden_block_count_y
      - .offset:         3392
        .size:           4
        .value_kind:     hidden_block_count_z
      - .offset:         3396
        .size:           2
        .value_kind:     hidden_group_size_x
      - .offset:         3398
        .size:           2
        .value_kind:     hidden_group_size_y
      - .offset:         3400
        .size:           2
        .value_kind:     hidden_group_size_z
      - .offset:         3402
        .size:           2
        .value_kind:     hidden_remainder_x
      - .offset:         3404
        .size:           2
        .value_kind:     hidden_remainder_y
      - .offset:         3406
        .size:           2
        .value_kind:     hidden_remainder_z
      - .offset:         3424
        .size:           8
        .value_kind:     hidden_global_offset_x
      - .offset:         3432
        .size:           8
        .value_kind:     hidden_global_offset_y
      - .offset:         3440
        .size:           8
        .value_kind:     hidden_global_offset_z
      - .offset:         3448
        .size:           2
        .value_kind:     hidden_grid_dims
    .group_segment_fixed_size: 0
    .kernarg_segment_align: 8
    .kernarg_segment_size: 3640
    .language:       OpenCL C
    .language_version:
      - 2
      - 0
    .max_flat_workgroup_size: 512
    .name:           _ZN2at6native12_GLOBAL__N_125multi_tensor_apply_kernelINS1_18TensorListMetadataILi1EEENS1_21BinaryOpScalarFunctorIdLi1ELi1ELi0EEEJSt10multipliesIdEdEEEvT_T0_DpT1_
    .private_segment_fixed_size: 0
    .sgpr_count:     35
    .sgpr_spill_count: 0
    .symbol:         _ZN2at6native12_GLOBAL__N_125multi_tensor_apply_kernelINS1_18TensorListMetadataILi1EEENS1_21BinaryOpScalarFunctorIdLi1ELi1ELi0EEEJSt10multipliesIdEdEEEvT_T0_DpT1_.kd
    .uniform_work_group_size: 1
    .uses_dynamic_stack: false
    .vgpr_count:     26
    .vgpr_spill_count: 0
    .wavefront_size: 64
  - .agpr_count:     0
    .args:
      - .offset:         0
        .size:           3368
        .value_kind:     by_value
      - .offset:         3368
        .size:           1
        .value_kind:     by_value
      - .offset:         3369
        .size:           1
        .value_kind:     by_value
      - .offset:         3372
        .size:           4
        .value_kind:     by_value
      - .offset:         3376
        .size:           4
        .value_kind:     hidden_block_count_x
      - .offset:         3380
        .size:           4
        .value_kind:     hidden_block_count_y
      - .offset:         3384
        .size:           4
        .value_kind:     hidden_block_count_z
      - .offset:         3388
        .size:           2
        .value_kind:     hidden_group_size_x
      - .offset:         3390
        .size:           2
        .value_kind:     hidden_group_size_y
      - .offset:         3392
        .size:           2
        .value_kind:     hidden_group_size_z
      - .offset:         3394
        .size:           2
        .value_kind:     hidden_remainder_x
      - .offset:         3396
        .size:           2
        .value_kind:     hidden_remainder_y
      - .offset:         3398
        .size:           2
        .value_kind:     hidden_remainder_z
      - .offset:         3416
        .size:           8
        .value_kind:     hidden_global_offset_x
      - .offset:         3424
        .size:           8
        .value_kind:     hidden_global_offset_y
      - .offset:         3432
        .size:           8
        .value_kind:     hidden_global_offset_z
      - .offset:         3440
        .size:           2
        .value_kind:     hidden_grid_dims
    .group_segment_fixed_size: 0
    .kernarg_segment_align: 8
    .kernarg_segment_size: 3632
    .language:       OpenCL C
    .language_version:
      - 2
      - 0
    .max_flat_workgroup_size: 512
    .name:           _ZN2at6native12_GLOBAL__N_125multi_tensor_apply_kernelINS1_18TensorListMetadataILi1EEENS1_21BinaryOpScalarFunctorIfLi1ELi1ELi0EEEJSt10multipliesIfEfEEEvT_T0_DpT1_
    .private_segment_fixed_size: 0
    .sgpr_count:     34
    .sgpr_spill_count: 0
    .symbol:         _ZN2at6native12_GLOBAL__N_125multi_tensor_apply_kernelINS1_18TensorListMetadataILi1EEENS1_21BinaryOpScalarFunctorIfLi1ELi1ELi0EEEJSt10multipliesIfEfEEEvT_T0_DpT1_.kd
    .uniform_work_group_size: 1
    .uses_dynamic_stack: false
    .vgpr_count:     22
    .vgpr_spill_count: 0
    .wavefront_size: 64
  - .agpr_count:     0
    .args:
      - .offset:         0
        .size:           3368
        .value_kind:     by_value
      - .offset:         3368
        .size:           1
        .value_kind:     by_value
      - .offset:         3369
        .size:           1
        .value_kind:     by_value
      - .offset:         3376
        .size:           16
        .value_kind:     by_value
      - .offset:         3392
        .size:           4
        .value_kind:     hidden_block_count_x
      - .offset:         3396
        .size:           4
        .value_kind:     hidden_block_count_y
      - .offset:         3400
        .size:           4
        .value_kind:     hidden_block_count_z
      - .offset:         3404
        .size:           2
        .value_kind:     hidden_group_size_x
      - .offset:         3406
        .size:           2
        .value_kind:     hidden_group_size_y
      - .offset:         3408
        .size:           2
        .value_kind:     hidden_group_size_z
      - .offset:         3410
        .size:           2
        .value_kind:     hidden_remainder_x
      - .offset:         3412
        .size:           2
        .value_kind:     hidden_remainder_y
      - .offset:         3414
        .size:           2
        .value_kind:     hidden_remainder_z
      - .offset:         3432
        .size:           8
        .value_kind:     hidden_global_offset_x
      - .offset:         3440
        .size:           8
        .value_kind:     hidden_global_offset_y
      - .offset:         3448
        .size:           8
        .value_kind:     hidden_global_offset_z
      - .offset:         3456
        .size:           2
        .value_kind:     hidden_grid_dims
    .group_segment_fixed_size: 0
    .kernarg_segment_align: 16
    .kernarg_segment_size: 3648
    .language:       OpenCL C
    .language_version:
      - 2
      - 0
    .max_flat_workgroup_size: 512
    .name:           _ZN2at6native12_GLOBAL__N_125multi_tensor_apply_kernelINS1_18TensorListMetadataILi1EEENS1_21BinaryOpScalarFunctorIN3c107complexIdEELi1ELi1ELi0EEEJSt10multipliesIS8_ES8_EEEvT_T0_DpT1_
    .private_segment_fixed_size: 0
    .sgpr_count:     36
    .sgpr_spill_count: 0
    .symbol:         _ZN2at6native12_GLOBAL__N_125multi_tensor_apply_kernelINS1_18TensorListMetadataILi1EEENS1_21BinaryOpScalarFunctorIN3c107complexIdEELi1ELi1ELi0EEEJSt10multipliesIS8_ES8_EEEvT_T0_DpT1_.kd
    .uniform_work_group_size: 1
    .uses_dynamic_stack: false
    .vgpr_count:     44
    .vgpr_spill_count: 0
    .wavefront_size: 64
  - .agpr_count:     0
    .args:
      - .offset:         0
        .size:           3368
        .value_kind:     by_value
      - .offset:         3368
        .size:           1
        .value_kind:     by_value
      - .offset:         3369
        .size:           1
        .value_kind:     by_value
      - .offset:         3376
        .size:           8
        .value_kind:     by_value
      - .offset:         3384
        .size:           4
        .value_kind:     hidden_block_count_x
      - .offset:         3388
        .size:           4
        .value_kind:     hidden_block_count_y
      - .offset:         3392
        .size:           4
        .value_kind:     hidden_block_count_z
      - .offset:         3396
        .size:           2
        .value_kind:     hidden_group_size_x
      - .offset:         3398
        .size:           2
        .value_kind:     hidden_group_size_y
      - .offset:         3400
        .size:           2
        .value_kind:     hidden_group_size_z
      - .offset:         3402
        .size:           2
        .value_kind:     hidden_remainder_x
      - .offset:         3404
        .size:           2
        .value_kind:     hidden_remainder_y
      - .offset:         3406
        .size:           2
        .value_kind:     hidden_remainder_z
      - .offset:         3424
        .size:           8
        .value_kind:     hidden_global_offset_x
      - .offset:         3432
        .size:           8
        .value_kind:     hidden_global_offset_y
      - .offset:         3440
        .size:           8
        .value_kind:     hidden_global_offset_z
      - .offset:         3448
        .size:           2
        .value_kind:     hidden_grid_dims
    .group_segment_fixed_size: 0
    .kernarg_segment_align: 8
    .kernarg_segment_size: 3640
    .language:       OpenCL C
    .language_version:
      - 2
      - 0
    .max_flat_workgroup_size: 512
    .name:           _ZN2at6native12_GLOBAL__N_125multi_tensor_apply_kernelINS1_18TensorListMetadataILi1EEENS1_21BinaryOpScalarFunctorIN3c107complexIfEELi1ELi1ELi0EEEJSt10multipliesIS8_ES8_EEEvT_T0_DpT1_
    .private_segment_fixed_size: 16
    .sgpr_count:     36
    .sgpr_spill_count: 0
    .symbol:         _ZN2at6native12_GLOBAL__N_125multi_tensor_apply_kernelINS1_18TensorListMetadataILi1EEENS1_21BinaryOpScalarFunctorIN3c107complexIfEELi1ELi1ELi0EEEJSt10multipliesIS8_ES8_EEEvT_T0_DpT1_.kd
    .uniform_work_group_size: 1
    .uses_dynamic_stack: false
    .vgpr_count:     40
    .vgpr_spill_count: 0
    .wavefront_size: 64
  - .agpr_count:     0
    .args:
      - .offset:         0
        .size:           3368
        .value_kind:     by_value
      - .offset:         3368
        .size:           1
        .value_kind:     by_value
      - .offset:         3369
        .size:           1
        .value_kind:     by_value
      - .offset:         3370
        .size:           1
        .value_kind:     by_value
      - .offset:         3376
        .size:           4
        .value_kind:     hidden_block_count_x
      - .offset:         3380
        .size:           4
        .value_kind:     hidden_block_count_y
      - .offset:         3384
        .size:           4
        .value_kind:     hidden_block_count_z
      - .offset:         3388
        .size:           2
        .value_kind:     hidden_group_size_x
      - .offset:         3390
        .size:           2
        .value_kind:     hidden_group_size_y
      - .offset:         3392
        .size:           2
        .value_kind:     hidden_group_size_z
      - .offset:         3394
        .size:           2
        .value_kind:     hidden_remainder_x
      - .offset:         3396
        .size:           2
        .value_kind:     hidden_remainder_y
      - .offset:         3398
        .size:           2
        .value_kind:     hidden_remainder_z
      - .offset:         3416
        .size:           8
        .value_kind:     hidden_global_offset_x
      - .offset:         3424
        .size:           8
        .value_kind:     hidden_global_offset_y
      - .offset:         3432
        .size:           8
        .value_kind:     hidden_global_offset_z
      - .offset:         3440
        .size:           2
        .value_kind:     hidden_grid_dims
    .group_segment_fixed_size: 0
    .kernarg_segment_align: 8
    .kernarg_segment_size: 3632
    .language:       OpenCL C
    .language_version:
      - 2
      - 0
    .max_flat_workgroup_size: 512
    .name:           _ZN2at6native12_GLOBAL__N_125multi_tensor_apply_kernelINS1_18TensorListMetadataILi1EEENS1_21BinaryOpScalarFunctorIbLi1ELi1ELi0EEEJSt10multipliesIbEbEEEvT_T0_DpT1_
    .private_segment_fixed_size: 0
    .sgpr_count:     37
    .sgpr_spill_count: 0
    .symbol:         _ZN2at6native12_GLOBAL__N_125multi_tensor_apply_kernelINS1_18TensorListMetadataILi1EEENS1_21BinaryOpScalarFunctorIbLi1ELi1ELi0EEEJSt10multipliesIbEbEEEvT_T0_DpT1_.kd
    .uniform_work_group_size: 1
    .uses_dynamic_stack: false
    .vgpr_count:     27
    .vgpr_spill_count: 0
    .wavefront_size: 64
  - .agpr_count:     0
    .args:
      - .offset:         0
        .size:           3368
        .value_kind:     by_value
      - .offset:         3368
        .size:           1
        .value_kind:     by_value
      - .offset:         3369
        .size:           1
        .value_kind:     by_value
      - .offset:         3372
        .size:           4
        .value_kind:     by_value
      - .offset:         3376
        .size:           4
        .value_kind:     hidden_block_count_x
      - .offset:         3380
        .size:           4
        .value_kind:     hidden_block_count_y
      - .offset:         3384
        .size:           4
        .value_kind:     hidden_block_count_z
      - .offset:         3388
        .size:           2
        .value_kind:     hidden_group_size_x
      - .offset:         3390
        .size:           2
        .value_kind:     hidden_group_size_y
      - .offset:         3392
        .size:           2
        .value_kind:     hidden_group_size_z
      - .offset:         3394
        .size:           2
        .value_kind:     hidden_remainder_x
      - .offset:         3396
        .size:           2
        .value_kind:     hidden_remainder_y
      - .offset:         3398
        .size:           2
        .value_kind:     hidden_remainder_z
      - .offset:         3416
        .size:           8
        .value_kind:     hidden_global_offset_x
      - .offset:         3424
        .size:           8
        .value_kind:     hidden_global_offset_y
      - .offset:         3432
        .size:           8
        .value_kind:     hidden_global_offset_z
      - .offset:         3440
        .size:           2
        .value_kind:     hidden_grid_dims
    .group_segment_fixed_size: 0
    .kernarg_segment_align: 8
    .kernarg_segment_size: 3632
    .language:       OpenCL C
    .language_version:
      - 2
      - 0
    .max_flat_workgroup_size: 512
    .name:           _ZN2at6native12_GLOBAL__N_125multi_tensor_apply_kernelINS1_18TensorListMetadataILi1EEENS1_21BinaryOpScalarFunctorIN3c104HalfELi1ELi1ELi0EEEJSt10multipliesIfEfEEEvT_T0_DpT1_
    .private_segment_fixed_size: 0
    .sgpr_count:     34
    .sgpr_spill_count: 0
    .symbol:         _ZN2at6native12_GLOBAL__N_125multi_tensor_apply_kernelINS1_18TensorListMetadataILi1EEENS1_21BinaryOpScalarFunctorIN3c104HalfELi1ELi1ELi0EEEJSt10multipliesIfEfEEEvT_T0_DpT1_.kd
    .uniform_work_group_size: 1
    .uses_dynamic_stack: false
    .vgpr_count:     22
    .vgpr_spill_count: 0
    .wavefront_size: 64
  - .agpr_count:     0
    .args:
      - .offset:         0
        .size:           3368
        .value_kind:     by_value
      - .offset:         3368
        .size:           1
        .value_kind:     by_value
      - .offset:         3369
        .size:           1
        .value_kind:     by_value
      - .offset:         3372
        .size:           4
        .value_kind:     by_value
      - .offset:         3376
        .size:           4
        .value_kind:     hidden_block_count_x
      - .offset:         3380
        .size:           4
        .value_kind:     hidden_block_count_y
      - .offset:         3384
        .size:           4
        .value_kind:     hidden_block_count_z
      - .offset:         3388
        .size:           2
        .value_kind:     hidden_group_size_x
      - .offset:         3390
        .size:           2
        .value_kind:     hidden_group_size_y
      - .offset:         3392
        .size:           2
        .value_kind:     hidden_group_size_z
      - .offset:         3394
        .size:           2
        .value_kind:     hidden_remainder_x
      - .offset:         3396
        .size:           2
        .value_kind:     hidden_remainder_y
      - .offset:         3398
        .size:           2
        .value_kind:     hidden_remainder_z
      - .offset:         3416
        .size:           8
        .value_kind:     hidden_global_offset_x
      - .offset:         3424
        .size:           8
        .value_kind:     hidden_global_offset_y
      - .offset:         3432
        .size:           8
        .value_kind:     hidden_global_offset_z
      - .offset:         3440
        .size:           2
        .value_kind:     hidden_grid_dims
    .group_segment_fixed_size: 0
    .kernarg_segment_align: 8
    .kernarg_segment_size: 3632
    .language:       OpenCL C
    .language_version:
      - 2
      - 0
    .max_flat_workgroup_size: 512
    .name:           _ZN2at6native12_GLOBAL__N_125multi_tensor_apply_kernelINS1_18TensorListMetadataILi1EEENS1_21BinaryOpScalarFunctorIN3c108BFloat16ELi1ELi1ELi0EEEJSt10multipliesIfEfEEEvT_T0_DpT1_
    .private_segment_fixed_size: 0
    .sgpr_count:     34
    .sgpr_spill_count: 0
    .symbol:         _ZN2at6native12_GLOBAL__N_125multi_tensor_apply_kernelINS1_18TensorListMetadataILi1EEENS1_21BinaryOpScalarFunctorIN3c108BFloat16ELi1ELi1ELi0EEEJSt10multipliesIfEfEEEvT_T0_DpT1_.kd
    .uniform_work_group_size: 1
    .uses_dynamic_stack: false
    .vgpr_count:     24
    .vgpr_spill_count: 0
    .wavefront_size: 64
  - .agpr_count:     0
    .args:
      - .offset:         0
        .size:           3144
        .value_kind:     by_value
      - .offset:         3144
        .size:           1
        .value_kind:     by_value
      - .offset:         3145
        .size:           1
        .value_kind:     by_value
      - .offset:         3146
        .size:           1
        .value_kind:     by_value
      - .offset:         3152
        .size:           4
        .value_kind:     hidden_block_count_x
      - .offset:         3156
        .size:           4
        .value_kind:     hidden_block_count_y
      - .offset:         3160
        .size:           4
        .value_kind:     hidden_block_count_z
      - .offset:         3164
        .size:           2
        .value_kind:     hidden_group_size_x
      - .offset:         3166
        .size:           2
        .value_kind:     hidden_group_size_y
      - .offset:         3168
        .size:           2
        .value_kind:     hidden_group_size_z
      - .offset:         3170
        .size:           2
        .value_kind:     hidden_remainder_x
      - .offset:         3172
        .size:           2
        .value_kind:     hidden_remainder_y
      - .offset:         3174
        .size:           2
        .value_kind:     hidden_remainder_z
      - .offset:         3192
        .size:           8
        .value_kind:     hidden_global_offset_x
      - .offset:         3200
        .size:           8
        .value_kind:     hidden_global_offset_y
      - .offset:         3208
        .size:           8
        .value_kind:     hidden_global_offset_z
      - .offset:         3216
        .size:           2
        .value_kind:     hidden_grid_dims
    .group_segment_fixed_size: 0
    .kernarg_segment_align: 8
    .kernarg_segment_size: 3408
    .language:       OpenCL C
    .language_version:
      - 2
      - 0
    .max_flat_workgroup_size: 512
    .name:           _ZN2at6native12_GLOBAL__N_125multi_tensor_apply_kernelINS1_18TensorListMetadataILi2EEENS1_21BinaryOpScalarFunctorIhLi2ELi1ELi1EEEJSt10multipliesIhEhEEEvT_T0_DpT1_
    .private_segment_fixed_size: 0
    .sgpr_count:     31
    .sgpr_spill_count: 0
    .symbol:         _ZN2at6native12_GLOBAL__N_125multi_tensor_apply_kernelINS1_18TensorListMetadataILi2EEENS1_21BinaryOpScalarFunctorIhLi2ELi1ELi1EEEJSt10multipliesIhEhEEEvT_T0_DpT1_.kd
    .uniform_work_group_size: 1
    .uses_dynamic_stack: false
    .vgpr_count:     32
    .vgpr_spill_count: 0
    .wavefront_size: 64
  - .agpr_count:     0
    .args:
      - .offset:         0
        .size:           3144
        .value_kind:     by_value
      - .offset:         3144
        .size:           1
        .value_kind:     by_value
      - .offset:         3145
        .size:           1
        .value_kind:     by_value
      - .offset:         3146
        .size:           1
        .value_kind:     by_value
      - .offset:         3152
        .size:           4
        .value_kind:     hidden_block_count_x
      - .offset:         3156
        .size:           4
        .value_kind:     hidden_block_count_y
      - .offset:         3160
        .size:           4
        .value_kind:     hidden_block_count_z
      - .offset:         3164
        .size:           2
        .value_kind:     hidden_group_size_x
      - .offset:         3166
        .size:           2
        .value_kind:     hidden_group_size_y
      - .offset:         3168
        .size:           2
        .value_kind:     hidden_group_size_z
      - .offset:         3170
        .size:           2
        .value_kind:     hidden_remainder_x
      - .offset:         3172
        .size:           2
        .value_kind:     hidden_remainder_y
      - .offset:         3174
        .size:           2
        .value_kind:     hidden_remainder_z
      - .offset:         3192
        .size:           8
        .value_kind:     hidden_global_offset_x
      - .offset:         3200
        .size:           8
        .value_kind:     hidden_global_offset_y
      - .offset:         3208
        .size:           8
        .value_kind:     hidden_global_offset_z
      - .offset:         3216
        .size:           2
        .value_kind:     hidden_grid_dims
    .group_segment_fixed_size: 0
    .kernarg_segment_align: 8
    .kernarg_segment_size: 3408
    .language:       OpenCL C
    .language_version:
      - 2
      - 0
    .max_flat_workgroup_size: 512
    .name:           _ZN2at6native12_GLOBAL__N_125multi_tensor_apply_kernelINS1_18TensorListMetadataILi2EEENS1_21BinaryOpScalarFunctorIaLi2ELi1ELi1EEEJSt10multipliesIaEaEEEvT_T0_DpT1_
    .private_segment_fixed_size: 0
    .sgpr_count:     31
    .sgpr_spill_count: 0
    .symbol:         _ZN2at6native12_GLOBAL__N_125multi_tensor_apply_kernelINS1_18TensorListMetadataILi2EEENS1_21BinaryOpScalarFunctorIaLi2ELi1ELi1EEEJSt10multipliesIaEaEEEvT_T0_DpT1_.kd
    .uniform_work_group_size: 1
    .uses_dynamic_stack: false
    .vgpr_count:     32
    .vgpr_spill_count: 0
    .wavefront_size: 64
  - .agpr_count:     0
    .args:
      - .offset:         0
        .size:           3144
        .value_kind:     by_value
      - .offset:         3144
        .size:           1
        .value_kind:     by_value
      - .offset:         3145
        .size:           1
        .value_kind:     by_value
      - .offset:         3148
        .size:           4
        .value_kind:     by_value
      - .offset:         3152
        .size:           4
        .value_kind:     hidden_block_count_x
      - .offset:         3156
        .size:           4
        .value_kind:     hidden_block_count_y
      - .offset:         3160
        .size:           4
        .value_kind:     hidden_block_count_z
      - .offset:         3164
        .size:           2
        .value_kind:     hidden_group_size_x
      - .offset:         3166
        .size:           2
        .value_kind:     hidden_group_size_y
      - .offset:         3168
        .size:           2
        .value_kind:     hidden_group_size_z
      - .offset:         3170
        .size:           2
        .value_kind:     hidden_remainder_x
      - .offset:         3172
        .size:           2
        .value_kind:     hidden_remainder_y
      - .offset:         3174
        .size:           2
        .value_kind:     hidden_remainder_z
      - .offset:         3192
        .size:           8
        .value_kind:     hidden_global_offset_x
      - .offset:         3200
        .size:           8
        .value_kind:     hidden_global_offset_y
      - .offset:         3208
        .size:           8
        .value_kind:     hidden_global_offset_z
      - .offset:         3216
        .size:           2
        .value_kind:     hidden_grid_dims
    .group_segment_fixed_size: 0
    .kernarg_segment_align: 8
    .kernarg_segment_size: 3408
    .language:       OpenCL C
    .language_version:
      - 2
      - 0
    .max_flat_workgroup_size: 512
    .name:           _ZN2at6native12_GLOBAL__N_125multi_tensor_apply_kernelINS1_18TensorListMetadataILi2EEENS1_21BinaryOpScalarFunctorIiLi2ELi1ELi1EEEJSt10multipliesIiEiEEEvT_T0_DpT1_
    .private_segment_fixed_size: 0
    .sgpr_count:     32
    .sgpr_spill_count: 0
    .symbol:         _ZN2at6native12_GLOBAL__N_125multi_tensor_apply_kernelINS1_18TensorListMetadataILi2EEENS1_21BinaryOpScalarFunctorIiLi2ELi1ELi1EEEJSt10multipliesIiEiEEEvT_T0_DpT1_.kd
    .uniform_work_group_size: 1
    .uses_dynamic_stack: false
    .vgpr_count:     32
    .vgpr_spill_count: 0
    .wavefront_size: 64
  - .agpr_count:     0
    .args:
      - .offset:         0
        .size:           3144
        .value_kind:     by_value
      - .offset:         3144
        .size:           1
        .value_kind:     by_value
      - .offset:         3145
        .size:           1
        .value_kind:     by_value
      - .offset:         3152
        .size:           8
        .value_kind:     by_value
      - .offset:         3160
        .size:           4
        .value_kind:     hidden_block_count_x
      - .offset:         3164
        .size:           4
        .value_kind:     hidden_block_count_y
      - .offset:         3168
        .size:           4
        .value_kind:     hidden_block_count_z
      - .offset:         3172
        .size:           2
        .value_kind:     hidden_group_size_x
      - .offset:         3174
        .size:           2
        .value_kind:     hidden_group_size_y
      - .offset:         3176
        .size:           2
        .value_kind:     hidden_group_size_z
      - .offset:         3178
        .size:           2
        .value_kind:     hidden_remainder_x
      - .offset:         3180
        .size:           2
        .value_kind:     hidden_remainder_y
      - .offset:         3182
        .size:           2
        .value_kind:     hidden_remainder_z
      - .offset:         3200
        .size:           8
        .value_kind:     hidden_global_offset_x
      - .offset:         3208
        .size:           8
        .value_kind:     hidden_global_offset_y
      - .offset:         3216
        .size:           8
        .value_kind:     hidden_global_offset_z
      - .offset:         3224
        .size:           2
        .value_kind:     hidden_grid_dims
    .group_segment_fixed_size: 0
    .kernarg_segment_align: 8
    .kernarg_segment_size: 3416
    .language:       OpenCL C
    .language_version:
      - 2
      - 0
    .max_flat_workgroup_size: 512
    .name:           _ZN2at6native12_GLOBAL__N_125multi_tensor_apply_kernelINS1_18TensorListMetadataILi2EEENS1_21BinaryOpScalarFunctorIlLi2ELi1ELi1EEEJSt10multipliesIlElEEEvT_T0_DpT1_
    .private_segment_fixed_size: 0
    .sgpr_count:     35
    .sgpr_spill_count: 0
    .symbol:         _ZN2at6native12_GLOBAL__N_125multi_tensor_apply_kernelINS1_18TensorListMetadataILi2EEENS1_21BinaryOpScalarFunctorIlLi2ELi1ELi1EEEJSt10multipliesIlElEEEvT_T0_DpT1_.kd
    .uniform_work_group_size: 1
    .uses_dynamic_stack: false
    .vgpr_count:     36
    .vgpr_spill_count: 0
    .wavefront_size: 64
  - .agpr_count:     0
    .args:
      - .offset:         0
        .size:           3144
        .value_kind:     by_value
      - .offset:         3144
        .size:           1
        .value_kind:     by_value
      - .offset:         3145
        .size:           1
        .value_kind:     by_value
      - .offset:         3146
        .size:           2
        .value_kind:     by_value
      - .offset:         3152
        .size:           4
        .value_kind:     hidden_block_count_x
      - .offset:         3156
        .size:           4
        .value_kind:     hidden_block_count_y
      - .offset:         3160
        .size:           4
        .value_kind:     hidden_block_count_z
      - .offset:         3164
        .size:           2
        .value_kind:     hidden_group_size_x
      - .offset:         3166
        .size:           2
        .value_kind:     hidden_group_size_y
      - .offset:         3168
        .size:           2
        .value_kind:     hidden_group_size_z
      - .offset:         3170
        .size:           2
        .value_kind:     hidden_remainder_x
      - .offset:         3172
        .size:           2
        .value_kind:     hidden_remainder_y
      - .offset:         3174
        .size:           2
        .value_kind:     hidden_remainder_z
      - .offset:         3192
        .size:           8
        .value_kind:     hidden_global_offset_x
      - .offset:         3200
        .size:           8
        .value_kind:     hidden_global_offset_y
      - .offset:         3208
        .size:           8
        .value_kind:     hidden_global_offset_z
      - .offset:         3216
        .size:           2
        .value_kind:     hidden_grid_dims
    .group_segment_fixed_size: 0
    .kernarg_segment_align: 8
    .kernarg_segment_size: 3408
    .language:       OpenCL C
    .language_version:
      - 2
      - 0
    .max_flat_workgroup_size: 512
    .name:           _ZN2at6native12_GLOBAL__N_125multi_tensor_apply_kernelINS1_18TensorListMetadataILi2EEENS1_21BinaryOpScalarFunctorIsLi2ELi1ELi1EEEJSt10multipliesIsEsEEEvT_T0_DpT1_
    .private_segment_fixed_size: 0
    .sgpr_count:     33
    .sgpr_spill_count: 0
    .symbol:         _ZN2at6native12_GLOBAL__N_125multi_tensor_apply_kernelINS1_18TensorListMetadataILi2EEENS1_21BinaryOpScalarFunctorIsLi2ELi1ELi1EEEJSt10multipliesIsEsEEEvT_T0_DpT1_.kd
    .uniform_work_group_size: 1
    .uses_dynamic_stack: false
    .vgpr_count:     32
    .vgpr_spill_count: 0
    .wavefront_size: 64
  - .agpr_count:     0
    .args:
      - .offset:         0
        .size:           3144
        .value_kind:     by_value
      - .offset:         3144
        .size:           1
        .value_kind:     by_value
      - .offset:         3145
        .size:           1
        .value_kind:     by_value
      - .offset:         3152
        .size:           8
        .value_kind:     by_value
      - .offset:         3160
        .size:           4
        .value_kind:     hidden_block_count_x
      - .offset:         3164
        .size:           4
        .value_kind:     hidden_block_count_y
      - .offset:         3168
        .size:           4
        .value_kind:     hidden_block_count_z
      - .offset:         3172
        .size:           2
        .value_kind:     hidden_group_size_x
      - .offset:         3174
        .size:           2
        .value_kind:     hidden_group_size_y
      - .offset:         3176
        .size:           2
        .value_kind:     hidden_group_size_z
      - .offset:         3178
        .size:           2
        .value_kind:     hidden_remainder_x
      - .offset:         3180
        .size:           2
        .value_kind:     hidden_remainder_y
      - .offset:         3182
        .size:           2
        .value_kind:     hidden_remainder_z
      - .offset:         3200
        .size:           8
        .value_kind:     hidden_global_offset_x
      - .offset:         3208
        .size:           8
        .value_kind:     hidden_global_offset_y
      - .offset:         3216
        .size:           8
        .value_kind:     hidden_global_offset_z
      - .offset:         3224
        .size:           2
        .value_kind:     hidden_grid_dims
    .group_segment_fixed_size: 0
    .kernarg_segment_align: 8
    .kernarg_segment_size: 3416
    .language:       OpenCL C
    .language_version:
      - 2
      - 0
    .max_flat_workgroup_size: 512
    .name:           _ZN2at6native12_GLOBAL__N_125multi_tensor_apply_kernelINS1_18TensorListMetadataILi2EEENS1_21BinaryOpScalarFunctorIdLi2ELi1ELi1EEEJSt10multipliesIdEdEEEvT_T0_DpT1_
    .private_segment_fixed_size: 0
    .sgpr_count:     35
    .sgpr_spill_count: 0
    .symbol:         _ZN2at6native12_GLOBAL__N_125multi_tensor_apply_kernelINS1_18TensorListMetadataILi2EEENS1_21BinaryOpScalarFunctorIdLi2ELi1ELi1EEEJSt10multipliesIdEdEEEvT_T0_DpT1_.kd
    .uniform_work_group_size: 1
    .uses_dynamic_stack: false
    .vgpr_count:     34
    .vgpr_spill_count: 0
    .wavefront_size: 64
  - .agpr_count:     0
    .args:
      - .offset:         0
        .size:           3144
        .value_kind:     by_value
      - .offset:         3144
        .size:           1
        .value_kind:     by_value
      - .offset:         3145
        .size:           1
        .value_kind:     by_value
      - .offset:         3148
        .size:           4
        .value_kind:     by_value
      - .offset:         3152
        .size:           4
        .value_kind:     hidden_block_count_x
      - .offset:         3156
        .size:           4
        .value_kind:     hidden_block_count_y
      - .offset:         3160
        .size:           4
        .value_kind:     hidden_block_count_z
      - .offset:         3164
        .size:           2
        .value_kind:     hidden_group_size_x
      - .offset:         3166
        .size:           2
        .value_kind:     hidden_group_size_y
      - .offset:         3168
        .size:           2
        .value_kind:     hidden_group_size_z
      - .offset:         3170
        .size:           2
        .value_kind:     hidden_remainder_x
      - .offset:         3172
        .size:           2
        .value_kind:     hidden_remainder_y
      - .offset:         3174
        .size:           2
        .value_kind:     hidden_remainder_z
      - .offset:         3192
        .size:           8
        .value_kind:     hidden_global_offset_x
      - .offset:         3200
        .size:           8
        .value_kind:     hidden_global_offset_y
      - .offset:         3208
        .size:           8
        .value_kind:     hidden_global_offset_z
      - .offset:         3216
        .size:           2
        .value_kind:     hidden_grid_dims
    .group_segment_fixed_size: 0
    .kernarg_segment_align: 8
    .kernarg_segment_size: 3408
    .language:       OpenCL C
    .language_version:
      - 2
      - 0
    .max_flat_workgroup_size: 512
    .name:           _ZN2at6native12_GLOBAL__N_125multi_tensor_apply_kernelINS1_18TensorListMetadataILi2EEENS1_21BinaryOpScalarFunctorIfLi2ELi1ELi1EEEJSt10multipliesIfEfEEEvT_T0_DpT1_
    .private_segment_fixed_size: 0
    .sgpr_count:     32
    .sgpr_spill_count: 0
    .symbol:         _ZN2at6native12_GLOBAL__N_125multi_tensor_apply_kernelINS1_18TensorListMetadataILi2EEENS1_21BinaryOpScalarFunctorIfLi2ELi1ELi1EEEJSt10multipliesIfEfEEEvT_T0_DpT1_.kd
    .uniform_work_group_size: 1
    .uses_dynamic_stack: false
    .vgpr_count:     32
    .vgpr_spill_count: 0
    .wavefront_size: 64
  - .agpr_count:     0
    .args:
      - .offset:         0
        .size:           3144
        .value_kind:     by_value
      - .offset:         3144
        .size:           1
        .value_kind:     by_value
      - .offset:         3145
        .size:           1
        .value_kind:     by_value
      - .offset:         3152
        .size:           16
        .value_kind:     by_value
      - .offset:         3168
        .size:           4
        .value_kind:     hidden_block_count_x
      - .offset:         3172
        .size:           4
        .value_kind:     hidden_block_count_y
      - .offset:         3176
        .size:           4
        .value_kind:     hidden_block_count_z
      - .offset:         3180
        .size:           2
        .value_kind:     hidden_group_size_x
      - .offset:         3182
        .size:           2
        .value_kind:     hidden_group_size_y
      - .offset:         3184
        .size:           2
        .value_kind:     hidden_group_size_z
      - .offset:         3186
        .size:           2
        .value_kind:     hidden_remainder_x
      - .offset:         3188
        .size:           2
        .value_kind:     hidden_remainder_y
      - .offset:         3190
        .size:           2
        .value_kind:     hidden_remainder_z
      - .offset:         3208
        .size:           8
        .value_kind:     hidden_global_offset_x
      - .offset:         3216
        .size:           8
        .value_kind:     hidden_global_offset_y
      - .offset:         3224
        .size:           8
        .value_kind:     hidden_global_offset_z
      - .offset:         3232
        .size:           2
        .value_kind:     hidden_grid_dims
    .group_segment_fixed_size: 0
    .kernarg_segment_align: 16
    .kernarg_segment_size: 3424
    .language:       OpenCL C
    .language_version:
      - 2
      - 0
    .max_flat_workgroup_size: 512
    .name:           _ZN2at6native12_GLOBAL__N_125multi_tensor_apply_kernelINS1_18TensorListMetadataILi2EEENS1_21BinaryOpScalarFunctorIN3c107complexIdEELi2ELi1ELi1EEEJSt10multipliesIS8_ES8_EEEvT_T0_DpT1_
    .private_segment_fixed_size: 0
    .sgpr_count:     40
    .sgpr_spill_count: 0
    .symbol:         _ZN2at6native12_GLOBAL__N_125multi_tensor_apply_kernelINS1_18TensorListMetadataILi2EEENS1_21BinaryOpScalarFunctorIN3c107complexIdEELi2ELi1ELi1EEEJSt10multipliesIS8_ES8_EEEvT_T0_DpT1_.kd
    .uniform_work_group_size: 1
    .uses_dynamic_stack: false
    .vgpr_count:     32
    .vgpr_spill_count: 0
    .wavefront_size: 64
  - .agpr_count:     0
    .args:
      - .offset:         0
        .size:           3144
        .value_kind:     by_value
      - .offset:         3144
        .size:           1
        .value_kind:     by_value
      - .offset:         3145
        .size:           1
        .value_kind:     by_value
      - .offset:         3152
        .size:           8
        .value_kind:     by_value
      - .offset:         3160
        .size:           4
        .value_kind:     hidden_block_count_x
      - .offset:         3164
        .size:           4
        .value_kind:     hidden_block_count_y
      - .offset:         3168
        .size:           4
        .value_kind:     hidden_block_count_z
      - .offset:         3172
        .size:           2
        .value_kind:     hidden_group_size_x
      - .offset:         3174
        .size:           2
        .value_kind:     hidden_group_size_y
      - .offset:         3176
        .size:           2
        .value_kind:     hidden_group_size_z
      - .offset:         3178
        .size:           2
        .value_kind:     hidden_remainder_x
      - .offset:         3180
        .size:           2
        .value_kind:     hidden_remainder_y
      - .offset:         3182
        .size:           2
        .value_kind:     hidden_remainder_z
      - .offset:         3200
        .size:           8
        .value_kind:     hidden_global_offset_x
      - .offset:         3208
        .size:           8
        .value_kind:     hidden_global_offset_y
      - .offset:         3216
        .size:           8
        .value_kind:     hidden_global_offset_z
      - .offset:         3224
        .size:           2
        .value_kind:     hidden_grid_dims
    .group_segment_fixed_size: 0
    .kernarg_segment_align: 8
    .kernarg_segment_size: 3416
    .language:       OpenCL C
    .language_version:
      - 2
      - 0
    .max_flat_workgroup_size: 512
    .name:           _ZN2at6native12_GLOBAL__N_125multi_tensor_apply_kernelINS1_18TensorListMetadataILi2EEENS1_21BinaryOpScalarFunctorIN3c107complexIfEELi2ELi1ELi1EEEJSt10multipliesIS8_ES8_EEEvT_T0_DpT1_
    .private_segment_fixed_size: 16
    .sgpr_count:     42
    .sgpr_spill_count: 0
    .symbol:         _ZN2at6native12_GLOBAL__N_125multi_tensor_apply_kernelINS1_18TensorListMetadataILi2EEENS1_21BinaryOpScalarFunctorIN3c107complexIfEELi2ELi1ELi1EEEJSt10multipliesIS8_ES8_EEEvT_T0_DpT1_.kd
    .uniform_work_group_size: 1
    .uses_dynamic_stack: false
    .vgpr_count:     42
    .vgpr_spill_count: 0
    .wavefront_size: 64
  - .agpr_count:     0
    .args:
      - .offset:         0
        .size:           3144
        .value_kind:     by_value
      - .offset:         3144
        .size:           1
        .value_kind:     by_value
      - .offset:         3145
        .size:           1
        .value_kind:     by_value
      - .offset:         3146
        .size:           1
        .value_kind:     by_value
      - .offset:         3152
        .size:           4
        .value_kind:     hidden_block_count_x
      - .offset:         3156
        .size:           4
        .value_kind:     hidden_block_count_y
      - .offset:         3160
        .size:           4
        .value_kind:     hidden_block_count_z
      - .offset:         3164
        .size:           2
        .value_kind:     hidden_group_size_x
      - .offset:         3166
        .size:           2
        .value_kind:     hidden_group_size_y
      - .offset:         3168
        .size:           2
        .value_kind:     hidden_group_size_z
      - .offset:         3170
        .size:           2
        .value_kind:     hidden_remainder_x
      - .offset:         3172
        .size:           2
        .value_kind:     hidden_remainder_y
      - .offset:         3174
        .size:           2
        .value_kind:     hidden_remainder_z
      - .offset:         3192
        .size:           8
        .value_kind:     hidden_global_offset_x
      - .offset:         3200
        .size:           8
        .value_kind:     hidden_global_offset_y
      - .offset:         3208
        .size:           8
        .value_kind:     hidden_global_offset_z
      - .offset:         3216
        .size:           2
        .value_kind:     hidden_grid_dims
    .group_segment_fixed_size: 0
    .kernarg_segment_align: 8
    .kernarg_segment_size: 3408
    .language:       OpenCL C
    .language_version:
      - 2
      - 0
    .max_flat_workgroup_size: 512
    .name:           _ZN2at6native12_GLOBAL__N_125multi_tensor_apply_kernelINS1_18TensorListMetadataILi2EEENS1_21BinaryOpScalarFunctorIbLi2ELi1ELi1EEEJSt10multipliesIbEbEEEvT_T0_DpT1_
    .private_segment_fixed_size: 0
    .sgpr_count:     40
    .sgpr_spill_count: 0
    .symbol:         _ZN2at6native12_GLOBAL__N_125multi_tensor_apply_kernelINS1_18TensorListMetadataILi2EEENS1_21BinaryOpScalarFunctorIbLi2ELi1ELi1EEEJSt10multipliesIbEbEEEvT_T0_DpT1_.kd
    .uniform_work_group_size: 1
    .uses_dynamic_stack: false
    .vgpr_count:     29
    .vgpr_spill_count: 0
    .wavefront_size: 64
  - .agpr_count:     0
    .args:
      - .offset:         0
        .size:           3144
        .value_kind:     by_value
      - .offset:         3144
        .size:           1
        .value_kind:     by_value
      - .offset:         3145
        .size:           1
        .value_kind:     by_value
      - .offset:         3148
        .size:           4
        .value_kind:     by_value
      - .offset:         3152
        .size:           4
        .value_kind:     hidden_block_count_x
      - .offset:         3156
        .size:           4
        .value_kind:     hidden_block_count_y
      - .offset:         3160
        .size:           4
        .value_kind:     hidden_block_count_z
      - .offset:         3164
        .size:           2
        .value_kind:     hidden_group_size_x
      - .offset:         3166
        .size:           2
        .value_kind:     hidden_group_size_y
      - .offset:         3168
        .size:           2
        .value_kind:     hidden_group_size_z
      - .offset:         3170
        .size:           2
        .value_kind:     hidden_remainder_x
      - .offset:         3172
        .size:           2
        .value_kind:     hidden_remainder_y
      - .offset:         3174
        .size:           2
        .value_kind:     hidden_remainder_z
      - .offset:         3192
        .size:           8
        .value_kind:     hidden_global_offset_x
      - .offset:         3200
        .size:           8
        .value_kind:     hidden_global_offset_y
      - .offset:         3208
        .size:           8
        .value_kind:     hidden_global_offset_z
      - .offset:         3216
        .size:           2
        .value_kind:     hidden_grid_dims
    .group_segment_fixed_size: 0
    .kernarg_segment_align: 8
    .kernarg_segment_size: 3408
    .language:       OpenCL C
    .language_version:
      - 2
      - 0
    .max_flat_workgroup_size: 512
    .name:           _ZN2at6native12_GLOBAL__N_125multi_tensor_apply_kernelINS1_18TensorListMetadataILi2EEENS1_21BinaryOpScalarFunctorIN3c104HalfELi2ELi1ELi1EEEJSt10multipliesIfEfEEEvT_T0_DpT1_
    .private_segment_fixed_size: 0
    .sgpr_count:     34
    .sgpr_spill_count: 0
    .symbol:         _ZN2at6native12_GLOBAL__N_125multi_tensor_apply_kernelINS1_18TensorListMetadataILi2EEENS1_21BinaryOpScalarFunctorIN3c104HalfELi2ELi1ELi1EEEJSt10multipliesIfEfEEEvT_T0_DpT1_.kd
    .uniform_work_group_size: 1
    .uses_dynamic_stack: false
    .vgpr_count:     32
    .vgpr_spill_count: 0
    .wavefront_size: 64
  - .agpr_count:     0
    .args:
      - .offset:         0
        .size:           3144
        .value_kind:     by_value
      - .offset:         3144
        .size:           1
        .value_kind:     by_value
      - .offset:         3145
        .size:           1
        .value_kind:     by_value
      - .offset:         3148
        .size:           4
        .value_kind:     by_value
      - .offset:         3152
        .size:           4
        .value_kind:     hidden_block_count_x
      - .offset:         3156
        .size:           4
        .value_kind:     hidden_block_count_y
      - .offset:         3160
        .size:           4
        .value_kind:     hidden_block_count_z
      - .offset:         3164
        .size:           2
        .value_kind:     hidden_group_size_x
      - .offset:         3166
        .size:           2
        .value_kind:     hidden_group_size_y
      - .offset:         3168
        .size:           2
        .value_kind:     hidden_group_size_z
      - .offset:         3170
        .size:           2
        .value_kind:     hidden_remainder_x
      - .offset:         3172
        .size:           2
        .value_kind:     hidden_remainder_y
      - .offset:         3174
        .size:           2
        .value_kind:     hidden_remainder_z
      - .offset:         3192
        .size:           8
        .value_kind:     hidden_global_offset_x
      - .offset:         3200
        .size:           8
        .value_kind:     hidden_global_offset_y
      - .offset:         3208
        .size:           8
        .value_kind:     hidden_global_offset_z
      - .offset:         3216
        .size:           2
        .value_kind:     hidden_grid_dims
    .group_segment_fixed_size: 0
    .kernarg_segment_align: 8
    .kernarg_segment_size: 3408
    .language:       OpenCL C
    .language_version:
      - 2
      - 0
    .max_flat_workgroup_size: 512
    .name:           _ZN2at6native12_GLOBAL__N_125multi_tensor_apply_kernelINS1_18TensorListMetadataILi2EEENS1_21BinaryOpScalarFunctorIN3c108BFloat16ELi2ELi1ELi1EEEJSt10multipliesIfEfEEEvT_T0_DpT1_
    .private_segment_fixed_size: 0
    .sgpr_count:     33
    .sgpr_spill_count: 0
    .symbol:         _ZN2at6native12_GLOBAL__N_125multi_tensor_apply_kernelINS1_18TensorListMetadataILi2EEENS1_21BinaryOpScalarFunctorIN3c108BFloat16ELi2ELi1ELi1EEEJSt10multipliesIfEfEEEvT_T0_DpT1_.kd
    .uniform_work_group_size: 1
    .uses_dynamic_stack: false
    .vgpr_count:     34
    .vgpr_spill_count: 0
    .wavefront_size: 64
  - .agpr_count:     0
    .args:
      - .offset:         0
        .size:           3368
        .value_kind:     by_value
      - .offset:         3368
        .size:           1
        .value_kind:     by_value
      - .offset:         3369
        .size:           1
        .value_kind:     by_value
      - .offset:         3370
        .size:           1
        .value_kind:     by_value
      - .offset:         3376
        .size:           4
        .value_kind:     hidden_block_count_x
      - .offset:         3380
        .size:           4
        .value_kind:     hidden_block_count_y
      - .offset:         3384
        .size:           4
        .value_kind:     hidden_block_count_z
      - .offset:         3388
        .size:           2
        .value_kind:     hidden_group_size_x
      - .offset:         3390
        .size:           2
        .value_kind:     hidden_group_size_y
      - .offset:         3392
        .size:           2
        .value_kind:     hidden_group_size_z
      - .offset:         3394
        .size:           2
        .value_kind:     hidden_remainder_x
      - .offset:         3396
        .size:           2
        .value_kind:     hidden_remainder_y
      - .offset:         3398
        .size:           2
        .value_kind:     hidden_remainder_z
      - .offset:         3416
        .size:           8
        .value_kind:     hidden_global_offset_x
      - .offset:         3424
        .size:           8
        .value_kind:     hidden_global_offset_y
      - .offset:         3432
        .size:           8
        .value_kind:     hidden_global_offset_z
      - .offset:         3440
        .size:           2
        .value_kind:     hidden_grid_dims
    .group_segment_fixed_size: 0
    .kernarg_segment_align: 8
    .kernarg_segment_size: 3632
    .language:       OpenCL C
    .language_version:
      - 2
      - 0
    .max_flat_workgroup_size: 512
    .name:           _ZN2at6native12_GLOBAL__N_125multi_tensor_apply_kernelINS1_18TensorListMetadataILi1EEENS1_21BinaryOpScalarFunctorIhLi1ELi1ELi0EEEJNS1_13power_functorIhEEhEEEvT_T0_DpT1_
    .private_segment_fixed_size: 0
    .sgpr_count:     37
    .sgpr_spill_count: 0
    .symbol:         _ZN2at6native12_GLOBAL__N_125multi_tensor_apply_kernelINS1_18TensorListMetadataILi1EEENS1_21BinaryOpScalarFunctorIhLi1ELi1ELi0EEEJNS1_13power_functorIhEEhEEEvT_T0_DpT1_.kd
    .uniform_work_group_size: 1
    .uses_dynamic_stack: false
    .vgpr_count:     18
    .vgpr_spill_count: 0
    .wavefront_size: 64
  - .agpr_count:     0
    .args:
      - .offset:         0
        .size:           3368
        .value_kind:     by_value
      - .offset:         3368
        .size:           1
        .value_kind:     by_value
      - .offset:         3369
        .size:           1
        .value_kind:     by_value
      - .offset:         3370
        .size:           1
        .value_kind:     by_value
      - .offset:         3376
        .size:           4
        .value_kind:     hidden_block_count_x
      - .offset:         3380
        .size:           4
        .value_kind:     hidden_block_count_y
      - .offset:         3384
        .size:           4
        .value_kind:     hidden_block_count_z
      - .offset:         3388
        .size:           2
        .value_kind:     hidden_group_size_x
      - .offset:         3390
        .size:           2
        .value_kind:     hidden_group_size_y
      - .offset:         3392
        .size:           2
        .value_kind:     hidden_group_size_z
      - .offset:         3394
        .size:           2
        .value_kind:     hidden_remainder_x
      - .offset:         3396
        .size:           2
        .value_kind:     hidden_remainder_y
      - .offset:         3398
        .size:           2
        .value_kind:     hidden_remainder_z
      - .offset:         3416
        .size:           8
        .value_kind:     hidden_global_offset_x
      - .offset:         3424
        .size:           8
        .value_kind:     hidden_global_offset_y
      - .offset:         3432
        .size:           8
        .value_kind:     hidden_global_offset_z
      - .offset:         3440
        .size:           2
        .value_kind:     hidden_grid_dims
    .group_segment_fixed_size: 0
    .kernarg_segment_align: 8
    .kernarg_segment_size: 3632
    .language:       OpenCL C
    .language_version:
      - 2
      - 0
    .max_flat_workgroup_size: 512
    .name:           _ZN2at6native12_GLOBAL__N_125multi_tensor_apply_kernelINS1_18TensorListMetadataILi1EEENS1_21BinaryOpScalarFunctorIaLi1ELi1ELi0EEEJNS1_13power_functorIaEEaEEEvT_T0_DpT1_
    .private_segment_fixed_size: 0
    .sgpr_count:     50
    .sgpr_spill_count: 0
    .symbol:         _ZN2at6native12_GLOBAL__N_125multi_tensor_apply_kernelINS1_18TensorListMetadataILi1EEENS1_21BinaryOpScalarFunctorIaLi1ELi1ELi0EEEJNS1_13power_functorIaEEaEEEvT_T0_DpT1_.kd
    .uniform_work_group_size: 1
    .uses_dynamic_stack: false
    .vgpr_count:     18
    .vgpr_spill_count: 0
    .wavefront_size: 64
  - .agpr_count:     0
    .args:
      - .offset:         0
        .size:           3368
        .value_kind:     by_value
      - .offset:         3368
        .size:           1
        .value_kind:     by_value
      - .offset:         3369
        .size:           1
        .value_kind:     by_value
      - .offset:         3372
        .size:           4
        .value_kind:     by_value
      - .offset:         3376
        .size:           4
        .value_kind:     hidden_block_count_x
      - .offset:         3380
        .size:           4
        .value_kind:     hidden_block_count_y
      - .offset:         3384
        .size:           4
        .value_kind:     hidden_block_count_z
      - .offset:         3388
        .size:           2
        .value_kind:     hidden_group_size_x
      - .offset:         3390
        .size:           2
        .value_kind:     hidden_group_size_y
      - .offset:         3392
        .size:           2
        .value_kind:     hidden_group_size_z
      - .offset:         3394
        .size:           2
        .value_kind:     hidden_remainder_x
      - .offset:         3396
        .size:           2
        .value_kind:     hidden_remainder_y
      - .offset:         3398
        .size:           2
        .value_kind:     hidden_remainder_z
      - .offset:         3416
        .size:           8
        .value_kind:     hidden_global_offset_x
      - .offset:         3424
        .size:           8
        .value_kind:     hidden_global_offset_y
      - .offset:         3432
        .size:           8
        .value_kind:     hidden_global_offset_z
      - .offset:         3440
        .size:           2
        .value_kind:     hidden_grid_dims
    .group_segment_fixed_size: 0
    .kernarg_segment_align: 8
    .kernarg_segment_size: 3632
    .language:       OpenCL C
    .language_version:
      - 2
      - 0
    .max_flat_workgroup_size: 512
    .name:           _ZN2at6native12_GLOBAL__N_125multi_tensor_apply_kernelINS1_18TensorListMetadataILi1EEENS1_21BinaryOpScalarFunctorIiLi1ELi1ELi0EEEJNS1_13power_functorIiEEiEEEvT_T0_DpT1_
    .private_segment_fixed_size: 0
    .sgpr_count:     50
    .sgpr_spill_count: 0
    .symbol:         _ZN2at6native12_GLOBAL__N_125multi_tensor_apply_kernelINS1_18TensorListMetadataILi1EEENS1_21BinaryOpScalarFunctorIiLi1ELi1ELi0EEEJNS1_13power_functorIiEEiEEEvT_T0_DpT1_.kd
    .uniform_work_group_size: 1
    .uses_dynamic_stack: false
    .vgpr_count:     17
    .vgpr_spill_count: 0
    .wavefront_size: 64
  - .agpr_count:     0
    .args:
      - .offset:         0
        .size:           3368
        .value_kind:     by_value
      - .offset:         3368
        .size:           1
        .value_kind:     by_value
      - .offset:         3369
        .size:           1
        .value_kind:     by_value
      - .offset:         3376
        .size:           8
        .value_kind:     by_value
      - .offset:         3384
        .size:           4
        .value_kind:     hidden_block_count_x
      - .offset:         3388
        .size:           4
        .value_kind:     hidden_block_count_y
      - .offset:         3392
        .size:           4
        .value_kind:     hidden_block_count_z
      - .offset:         3396
        .size:           2
        .value_kind:     hidden_group_size_x
      - .offset:         3398
        .size:           2
        .value_kind:     hidden_group_size_y
      - .offset:         3400
        .size:           2
        .value_kind:     hidden_group_size_z
      - .offset:         3402
        .size:           2
        .value_kind:     hidden_remainder_x
      - .offset:         3404
        .size:           2
        .value_kind:     hidden_remainder_y
      - .offset:         3406
        .size:           2
        .value_kind:     hidden_remainder_z
      - .offset:         3424
        .size:           8
        .value_kind:     hidden_global_offset_x
      - .offset:         3432
        .size:           8
        .value_kind:     hidden_global_offset_y
      - .offset:         3440
        .size:           8
        .value_kind:     hidden_global_offset_z
      - .offset:         3448
        .size:           2
        .value_kind:     hidden_grid_dims
    .group_segment_fixed_size: 0
    .kernarg_segment_align: 8
    .kernarg_segment_size: 3640
    .language:       OpenCL C
    .language_version:
      - 2
      - 0
    .max_flat_workgroup_size: 512
    .name:           _ZN2at6native12_GLOBAL__N_125multi_tensor_apply_kernelINS1_18TensorListMetadataILi1EEENS1_21BinaryOpScalarFunctorIlLi1ELi1ELi0EEEJNS1_13power_functorIlEElEEEvT_T0_DpT1_
    .private_segment_fixed_size: 0
    .sgpr_count:     52
    .sgpr_spill_count: 0
    .symbol:         _ZN2at6native12_GLOBAL__N_125multi_tensor_apply_kernelINS1_18TensorListMetadataILi1EEENS1_21BinaryOpScalarFunctorIlLi1ELi1ELi0EEEJNS1_13power_functorIlEElEEEvT_T0_DpT1_.kd
    .uniform_work_group_size: 1
    .uses_dynamic_stack: false
    .vgpr_count:     26
    .vgpr_spill_count: 0
    .wavefront_size: 64
  - .agpr_count:     0
    .args:
      - .offset:         0
        .size:           3368
        .value_kind:     by_value
      - .offset:         3368
        .size:           1
        .value_kind:     by_value
      - .offset:         3369
        .size:           1
        .value_kind:     by_value
      - .offset:         3370
        .size:           2
        .value_kind:     by_value
      - .offset:         3376
        .size:           4
        .value_kind:     hidden_block_count_x
      - .offset:         3380
        .size:           4
        .value_kind:     hidden_block_count_y
      - .offset:         3384
        .size:           4
        .value_kind:     hidden_block_count_z
      - .offset:         3388
        .size:           2
        .value_kind:     hidden_group_size_x
      - .offset:         3390
        .size:           2
        .value_kind:     hidden_group_size_y
      - .offset:         3392
        .size:           2
        .value_kind:     hidden_group_size_z
      - .offset:         3394
        .size:           2
        .value_kind:     hidden_remainder_x
      - .offset:         3396
        .size:           2
        .value_kind:     hidden_remainder_y
      - .offset:         3398
        .size:           2
        .value_kind:     hidden_remainder_z
      - .offset:         3416
        .size:           8
        .value_kind:     hidden_global_offset_x
      - .offset:         3424
        .size:           8
        .value_kind:     hidden_global_offset_y
      - .offset:         3432
        .size:           8
        .value_kind:     hidden_global_offset_z
      - .offset:         3440
        .size:           2
        .value_kind:     hidden_grid_dims
    .group_segment_fixed_size: 0
    .kernarg_segment_align: 8
    .kernarg_segment_size: 3632
    .language:       OpenCL C
    .language_version:
      - 2
      - 0
    .max_flat_workgroup_size: 512
    .name:           _ZN2at6native12_GLOBAL__N_125multi_tensor_apply_kernelINS1_18TensorListMetadataILi1EEENS1_21BinaryOpScalarFunctorIsLi1ELi1ELi0EEEJNS1_13power_functorIsEEsEEEvT_T0_DpT1_
    .private_segment_fixed_size: 0
    .sgpr_count:     50
    .sgpr_spill_count: 0
    .symbol:         _ZN2at6native12_GLOBAL__N_125multi_tensor_apply_kernelINS1_18TensorListMetadataILi1EEENS1_21BinaryOpScalarFunctorIsLi1ELi1ELi0EEEJNS1_13power_functorIsEEsEEEvT_T0_DpT1_.kd
    .uniform_work_group_size: 1
    .uses_dynamic_stack: false
    .vgpr_count:     17
    .vgpr_spill_count: 0
    .wavefront_size: 64
  - .agpr_count:     0
    .args:
      - .offset:         0
        .size:           3368
        .value_kind:     by_value
      - .offset:         3368
        .size:           1
        .value_kind:     by_value
      - .offset:         3369
        .size:           1
        .value_kind:     by_value
      - .offset:         3376
        .size:           8
        .value_kind:     by_value
      - .offset:         3384
        .size:           4
        .value_kind:     hidden_block_count_x
      - .offset:         3388
        .size:           4
        .value_kind:     hidden_block_count_y
      - .offset:         3392
        .size:           4
        .value_kind:     hidden_block_count_z
      - .offset:         3396
        .size:           2
        .value_kind:     hidden_group_size_x
      - .offset:         3398
        .size:           2
        .value_kind:     hidden_group_size_y
      - .offset:         3400
        .size:           2
        .value_kind:     hidden_group_size_z
      - .offset:         3402
        .size:           2
        .value_kind:     hidden_remainder_x
      - .offset:         3404
        .size:           2
        .value_kind:     hidden_remainder_y
      - .offset:         3406
        .size:           2
        .value_kind:     hidden_remainder_z
      - .offset:         3424
        .size:           8
        .value_kind:     hidden_global_offset_x
      - .offset:         3432
        .size:           8
        .value_kind:     hidden_global_offset_y
      - .offset:         3440
        .size:           8
        .value_kind:     hidden_global_offset_z
      - .offset:         3448
        .size:           2
        .value_kind:     hidden_grid_dims
    .group_segment_fixed_size: 0
    .kernarg_segment_align: 8
    .kernarg_segment_size: 3640
    .language:       OpenCL C
    .language_version:
      - 2
      - 0
    .max_flat_workgroup_size: 512
    .name:           _ZN2at6native12_GLOBAL__N_125multi_tensor_apply_kernelINS1_18TensorListMetadataILi1EEENS1_21BinaryOpScalarFunctorIdLi1ELi1ELi0EEEJNS1_13power_functorIdEEdEEEvT_T0_DpT1_
    .private_segment_fixed_size: 0
    .sgpr_count:     82
    .sgpr_spill_count: 0
    .symbol:         _ZN2at6native12_GLOBAL__N_125multi_tensor_apply_kernelINS1_18TensorListMetadataILi1EEENS1_21BinaryOpScalarFunctorIdLi1ELi1ELi0EEEJNS1_13power_functorIdEEdEEEvT_T0_DpT1_.kd
    .uniform_work_group_size: 1
    .uses_dynamic_stack: false
    .vgpr_count:     86
    .vgpr_spill_count: 0
    .wavefront_size: 64
  - .agpr_count:     0
    .args:
      - .offset:         0
        .size:           3368
        .value_kind:     by_value
      - .offset:         3368
        .size:           1
        .value_kind:     by_value
      - .offset:         3369
        .size:           1
        .value_kind:     by_value
      - .offset:         3372
        .size:           4
        .value_kind:     by_value
      - .offset:         3376
        .size:           4
        .value_kind:     hidden_block_count_x
      - .offset:         3380
        .size:           4
        .value_kind:     hidden_block_count_y
      - .offset:         3384
        .size:           4
        .value_kind:     hidden_block_count_z
      - .offset:         3388
        .size:           2
        .value_kind:     hidden_group_size_x
      - .offset:         3390
        .size:           2
        .value_kind:     hidden_group_size_y
      - .offset:         3392
        .size:           2
        .value_kind:     hidden_group_size_z
      - .offset:         3394
        .size:           2
        .value_kind:     hidden_remainder_x
      - .offset:         3396
        .size:           2
        .value_kind:     hidden_remainder_y
      - .offset:         3398
        .size:           2
        .value_kind:     hidden_remainder_z
      - .offset:         3416
        .size:           8
        .value_kind:     hidden_global_offset_x
      - .offset:         3424
        .size:           8
        .value_kind:     hidden_global_offset_y
      - .offset:         3432
        .size:           8
        .value_kind:     hidden_global_offset_z
      - .offset:         3440
        .size:           2
        .value_kind:     hidden_grid_dims
    .group_segment_fixed_size: 0
    .kernarg_segment_align: 8
    .kernarg_segment_size: 3632
    .language:       OpenCL C
    .language_version:
      - 2
      - 0
    .max_flat_workgroup_size: 512
    .name:           _ZN2at6native12_GLOBAL__N_125multi_tensor_apply_kernelINS1_18TensorListMetadataILi1EEENS1_21BinaryOpScalarFunctorIfLi1ELi1ELi0EEEJNS1_13power_functorIfEEfEEEvT_T0_DpT1_
    .private_segment_fixed_size: 0
    .sgpr_count:     57
    .sgpr_spill_count: 0
    .symbol:         _ZN2at6native12_GLOBAL__N_125multi_tensor_apply_kernelINS1_18TensorListMetadataILi1EEENS1_21BinaryOpScalarFunctorIfLi1ELi1ELi0EEEJNS1_13power_functorIfEEfEEEvT_T0_DpT1_.kd
    .uniform_work_group_size: 1
    .uses_dynamic_stack: false
    .vgpr_count:     41
    .vgpr_spill_count: 0
    .wavefront_size: 64
  - .agpr_count:     0
    .args:
      - .offset:         0
        .size:           3368
        .value_kind:     by_value
      - .offset:         3368
        .size:           1
        .value_kind:     by_value
      - .offset:         3369
        .size:           1
        .value_kind:     by_value
      - .offset:         3376
        .size:           16
        .value_kind:     by_value
      - .offset:         3392
        .size:           4
        .value_kind:     hidden_block_count_x
      - .offset:         3396
        .size:           4
        .value_kind:     hidden_block_count_y
      - .offset:         3400
        .size:           4
        .value_kind:     hidden_block_count_z
      - .offset:         3404
        .size:           2
        .value_kind:     hidden_group_size_x
      - .offset:         3406
        .size:           2
        .value_kind:     hidden_group_size_y
      - .offset:         3408
        .size:           2
        .value_kind:     hidden_group_size_z
      - .offset:         3410
        .size:           2
        .value_kind:     hidden_remainder_x
      - .offset:         3412
        .size:           2
        .value_kind:     hidden_remainder_y
      - .offset:         3414
        .size:           2
        .value_kind:     hidden_remainder_z
      - .offset:         3432
        .size:           8
        .value_kind:     hidden_global_offset_x
      - .offset:         3440
        .size:           8
        .value_kind:     hidden_global_offset_y
      - .offset:         3448
        .size:           8
        .value_kind:     hidden_global_offset_z
      - .offset:         3456
        .size:           2
        .value_kind:     hidden_grid_dims
    .group_segment_fixed_size: 0
    .kernarg_segment_align: 16
    .kernarg_segment_size: 3648
    .language:       OpenCL C
    .language_version:
      - 2
      - 0
    .max_flat_workgroup_size: 512
    .name:           _ZN2at6native12_GLOBAL__N_125multi_tensor_apply_kernelINS1_18TensorListMetadataILi1EEENS1_21BinaryOpScalarFunctorIN3c107complexIdEELi1ELi1ELi0EEEJNS1_13power_functorIS8_EES8_EEEvT_T0_DpT1_
    .private_segment_fixed_size: 0
    .sgpr_count:     72
    .sgpr_spill_count: 0
    .symbol:         _ZN2at6native12_GLOBAL__N_125multi_tensor_apply_kernelINS1_18TensorListMetadataILi1EEENS1_21BinaryOpScalarFunctorIN3c107complexIdEELi1ELi1ELi0EEEJNS1_13power_functorIS8_EES8_EEEvT_T0_DpT1_.kd
    .uniform_work_group_size: 1
    .uses_dynamic_stack: false
    .vgpr_count:     72
    .vgpr_spill_count: 0
    .wavefront_size: 64
  - .agpr_count:     0
    .args:
      - .offset:         0
        .size:           3368
        .value_kind:     by_value
      - .offset:         3368
        .size:           1
        .value_kind:     by_value
      - .offset:         3369
        .size:           1
        .value_kind:     by_value
      - .offset:         3376
        .size:           8
        .value_kind:     by_value
      - .offset:         3384
        .size:           4
        .value_kind:     hidden_block_count_x
      - .offset:         3388
        .size:           4
        .value_kind:     hidden_block_count_y
      - .offset:         3392
        .size:           4
        .value_kind:     hidden_block_count_z
      - .offset:         3396
        .size:           2
        .value_kind:     hidden_group_size_x
      - .offset:         3398
        .size:           2
        .value_kind:     hidden_group_size_y
      - .offset:         3400
        .size:           2
        .value_kind:     hidden_group_size_z
      - .offset:         3402
        .size:           2
        .value_kind:     hidden_remainder_x
      - .offset:         3404
        .size:           2
        .value_kind:     hidden_remainder_y
      - .offset:         3406
        .size:           2
        .value_kind:     hidden_remainder_z
      - .offset:         3424
        .size:           8
        .value_kind:     hidden_global_offset_x
      - .offset:         3432
        .size:           8
        .value_kind:     hidden_global_offset_y
      - .offset:         3440
        .size:           8
        .value_kind:     hidden_global_offset_z
      - .offset:         3448
        .size:           2
        .value_kind:     hidden_grid_dims
    .group_segment_fixed_size: 0
    .kernarg_segment_align: 8
    .kernarg_segment_size: 3640
    .language:       OpenCL C
    .language_version:
      - 2
      - 0
    .max_flat_workgroup_size: 512
    .name:           _ZN2at6native12_GLOBAL__N_125multi_tensor_apply_kernelINS1_18TensorListMetadataILi1EEENS1_21BinaryOpScalarFunctorIN3c107complexIfEELi1ELi1ELi0EEEJNS1_13power_functorIS8_EES8_EEEvT_T0_DpT1_
    .private_segment_fixed_size: 16
    .sgpr_count:     61
    .sgpr_spill_count: 0
    .symbol:         _ZN2at6native12_GLOBAL__N_125multi_tensor_apply_kernelINS1_18TensorListMetadataILi1EEENS1_21BinaryOpScalarFunctorIN3c107complexIfEELi1ELi1ELi0EEEJNS1_13power_functorIS8_EES8_EEEvT_T0_DpT1_.kd
    .uniform_work_group_size: 1
    .uses_dynamic_stack: false
    .vgpr_count:     58
    .vgpr_spill_count: 0
    .wavefront_size: 64
  - .agpr_count:     0
    .args:
      - .offset:         0
        .size:           3368
        .value_kind:     by_value
      - .offset:         3368
        .size:           1
        .value_kind:     by_value
      - .offset:         3369
        .size:           1
        .value_kind:     by_value
      - .offset:         3372
        .size:           4
        .value_kind:     by_value
      - .offset:         3376
        .size:           4
        .value_kind:     hidden_block_count_x
      - .offset:         3380
        .size:           4
        .value_kind:     hidden_block_count_y
      - .offset:         3384
        .size:           4
        .value_kind:     hidden_block_count_z
      - .offset:         3388
        .size:           2
        .value_kind:     hidden_group_size_x
      - .offset:         3390
        .size:           2
        .value_kind:     hidden_group_size_y
      - .offset:         3392
        .size:           2
        .value_kind:     hidden_group_size_z
      - .offset:         3394
        .size:           2
        .value_kind:     hidden_remainder_x
      - .offset:         3396
        .size:           2
        .value_kind:     hidden_remainder_y
      - .offset:         3398
        .size:           2
        .value_kind:     hidden_remainder_z
      - .offset:         3416
        .size:           8
        .value_kind:     hidden_global_offset_x
      - .offset:         3424
        .size:           8
        .value_kind:     hidden_global_offset_y
      - .offset:         3432
        .size:           8
        .value_kind:     hidden_global_offset_z
      - .offset:         3440
        .size:           2
        .value_kind:     hidden_grid_dims
    .group_segment_fixed_size: 0
    .kernarg_segment_align: 8
    .kernarg_segment_size: 3632
    .language:       OpenCL C
    .language_version:
      - 2
      - 0
    .max_flat_workgroup_size: 512
    .name:           _ZN2at6native12_GLOBAL__N_125multi_tensor_apply_kernelINS1_18TensorListMetadataILi1EEENS1_21BinaryOpScalarFunctorIN3c104HalfELi1ELi1ELi0EEEJNS1_13power_functorIfEEfEEEvT_T0_DpT1_
    .private_segment_fixed_size: 0
    .sgpr_count:     56
    .sgpr_spill_count: 0
    .symbol:         _ZN2at6native12_GLOBAL__N_125multi_tensor_apply_kernelINS1_18TensorListMetadataILi1EEENS1_21BinaryOpScalarFunctorIN3c104HalfELi1ELi1ELi0EEEJNS1_13power_functorIfEEfEEEvT_T0_DpT1_.kd
    .uniform_work_group_size: 1
    .uses_dynamic_stack: false
    .vgpr_count:     41
    .vgpr_spill_count: 0
    .wavefront_size: 64
  - .agpr_count:     0
    .args:
      - .offset:         0
        .size:           3368
        .value_kind:     by_value
      - .offset:         3368
        .size:           1
        .value_kind:     by_value
      - .offset:         3369
        .size:           1
        .value_kind:     by_value
      - .offset:         3372
        .size:           4
        .value_kind:     by_value
      - .offset:         3376
        .size:           4
        .value_kind:     hidden_block_count_x
      - .offset:         3380
        .size:           4
        .value_kind:     hidden_block_count_y
      - .offset:         3384
        .size:           4
        .value_kind:     hidden_block_count_z
      - .offset:         3388
        .size:           2
        .value_kind:     hidden_group_size_x
      - .offset:         3390
        .size:           2
        .value_kind:     hidden_group_size_y
      - .offset:         3392
        .size:           2
        .value_kind:     hidden_group_size_z
      - .offset:         3394
        .size:           2
        .value_kind:     hidden_remainder_x
      - .offset:         3396
        .size:           2
        .value_kind:     hidden_remainder_y
      - .offset:         3398
        .size:           2
        .value_kind:     hidden_remainder_z
      - .offset:         3416
        .size:           8
        .value_kind:     hidden_global_offset_x
      - .offset:         3424
        .size:           8
        .value_kind:     hidden_global_offset_y
      - .offset:         3432
        .size:           8
        .value_kind:     hidden_global_offset_z
      - .offset:         3440
        .size:           2
        .value_kind:     hidden_grid_dims
    .group_segment_fixed_size: 0
    .kernarg_segment_align: 8
    .kernarg_segment_size: 3632
    .language:       OpenCL C
    .language_version:
      - 2
      - 0
    .max_flat_workgroup_size: 512
    .name:           _ZN2at6native12_GLOBAL__N_125multi_tensor_apply_kernelINS1_18TensorListMetadataILi1EEENS1_21BinaryOpScalarFunctorIN3c108BFloat16ELi1ELi1ELi0EEEJNS1_13power_functorIfEEfEEEvT_T0_DpT1_
    .private_segment_fixed_size: 0
    .sgpr_count:     61
    .sgpr_spill_count: 0
    .symbol:         _ZN2at6native12_GLOBAL__N_125multi_tensor_apply_kernelINS1_18TensorListMetadataILi1EEENS1_21BinaryOpScalarFunctorIN3c108BFloat16ELi1ELi1ELi0EEEJNS1_13power_functorIfEEfEEEvT_T0_DpT1_.kd
    .uniform_work_group_size: 1
    .uses_dynamic_stack: false
    .vgpr_count:     44
    .vgpr_spill_count: 0
    .wavefront_size: 64
  - .agpr_count:     0
    .args:
      - .offset:         0
        .size:           3144
        .value_kind:     by_value
      - .offset:         3144
        .size:           1
        .value_kind:     by_value
      - .offset:         3145
        .size:           1
        .value_kind:     by_value
      - .offset:         3146
        .size:           1
        .value_kind:     by_value
      - .offset:         3152
        .size:           4
        .value_kind:     hidden_block_count_x
      - .offset:         3156
        .size:           4
        .value_kind:     hidden_block_count_y
      - .offset:         3160
        .size:           4
        .value_kind:     hidden_block_count_z
      - .offset:         3164
        .size:           2
        .value_kind:     hidden_group_size_x
      - .offset:         3166
        .size:           2
        .value_kind:     hidden_group_size_y
      - .offset:         3168
        .size:           2
        .value_kind:     hidden_group_size_z
      - .offset:         3170
        .size:           2
        .value_kind:     hidden_remainder_x
      - .offset:         3172
        .size:           2
        .value_kind:     hidden_remainder_y
      - .offset:         3174
        .size:           2
        .value_kind:     hidden_remainder_z
      - .offset:         3192
        .size:           8
        .value_kind:     hidden_global_offset_x
      - .offset:         3200
        .size:           8
        .value_kind:     hidden_global_offset_y
      - .offset:         3208
        .size:           8
        .value_kind:     hidden_global_offset_z
      - .offset:         3216
        .size:           2
        .value_kind:     hidden_grid_dims
    .group_segment_fixed_size: 0
    .kernarg_segment_align: 8
    .kernarg_segment_size: 3408
    .language:       OpenCL C
    .language_version:
      - 2
      - 0
    .max_flat_workgroup_size: 512
    .name:           _ZN2at6native12_GLOBAL__N_125multi_tensor_apply_kernelINS1_18TensorListMetadataILi2EEENS1_21BinaryOpScalarFunctorIhLi2ELi1ELi1EEEJNS1_13power_functorIhEEhEEEvT_T0_DpT1_
    .private_segment_fixed_size: 0
    .sgpr_count:     40
    .sgpr_spill_count: 0
    .symbol:         _ZN2at6native12_GLOBAL__N_125multi_tensor_apply_kernelINS1_18TensorListMetadataILi2EEENS1_21BinaryOpScalarFunctorIhLi2ELi1ELi1EEEJNS1_13power_functorIhEEhEEEvT_T0_DpT1_.kd
    .uniform_work_group_size: 1
    .uses_dynamic_stack: false
    .vgpr_count:     18
    .vgpr_spill_count: 0
    .wavefront_size: 64
  - .agpr_count:     0
    .args:
      - .offset:         0
        .size:           3144
        .value_kind:     by_value
      - .offset:         3144
        .size:           1
        .value_kind:     by_value
      - .offset:         3145
        .size:           1
        .value_kind:     by_value
      - .offset:         3146
        .size:           1
        .value_kind:     by_value
      - .offset:         3152
        .size:           4
        .value_kind:     hidden_block_count_x
      - .offset:         3156
        .size:           4
        .value_kind:     hidden_block_count_y
      - .offset:         3160
        .size:           4
        .value_kind:     hidden_block_count_z
      - .offset:         3164
        .size:           2
        .value_kind:     hidden_group_size_x
      - .offset:         3166
        .size:           2
        .value_kind:     hidden_group_size_y
      - .offset:         3168
        .size:           2
        .value_kind:     hidden_group_size_z
      - .offset:         3170
        .size:           2
        .value_kind:     hidden_remainder_x
      - .offset:         3172
        .size:           2
        .value_kind:     hidden_remainder_y
      - .offset:         3174
        .size:           2
        .value_kind:     hidden_remainder_z
      - .offset:         3192
        .size:           8
        .value_kind:     hidden_global_offset_x
      - .offset:         3200
        .size:           8
        .value_kind:     hidden_global_offset_y
      - .offset:         3208
        .size:           8
        .value_kind:     hidden_global_offset_z
      - .offset:         3216
        .size:           2
        .value_kind:     hidden_grid_dims
    .group_segment_fixed_size: 0
    .kernarg_segment_align: 8
    .kernarg_segment_size: 3408
    .language:       OpenCL C
    .language_version:
      - 2
      - 0
    .max_flat_workgroup_size: 512
    .name:           _ZN2at6native12_GLOBAL__N_125multi_tensor_apply_kernelINS1_18TensorListMetadataILi2EEENS1_21BinaryOpScalarFunctorIaLi2ELi1ELi1EEEJNS1_13power_functorIaEEaEEEvT_T0_DpT1_
    .private_segment_fixed_size: 0
    .sgpr_count:     52
    .sgpr_spill_count: 0
    .symbol:         _ZN2at6native12_GLOBAL__N_125multi_tensor_apply_kernelINS1_18TensorListMetadataILi2EEENS1_21BinaryOpScalarFunctorIaLi2ELi1ELi1EEEJNS1_13power_functorIaEEaEEEvT_T0_DpT1_.kd
    .uniform_work_group_size: 1
    .uses_dynamic_stack: false
    .vgpr_count:     18
    .vgpr_spill_count: 0
    .wavefront_size: 64
  - .agpr_count:     0
    .args:
      - .offset:         0
        .size:           3144
        .value_kind:     by_value
      - .offset:         3144
        .size:           1
        .value_kind:     by_value
      - .offset:         3145
        .size:           1
        .value_kind:     by_value
      - .offset:         3148
        .size:           4
        .value_kind:     by_value
      - .offset:         3152
        .size:           4
        .value_kind:     hidden_block_count_x
      - .offset:         3156
        .size:           4
        .value_kind:     hidden_block_count_y
      - .offset:         3160
        .size:           4
        .value_kind:     hidden_block_count_z
      - .offset:         3164
        .size:           2
        .value_kind:     hidden_group_size_x
      - .offset:         3166
        .size:           2
        .value_kind:     hidden_group_size_y
      - .offset:         3168
        .size:           2
        .value_kind:     hidden_group_size_z
      - .offset:         3170
        .size:           2
        .value_kind:     hidden_remainder_x
      - .offset:         3172
        .size:           2
        .value_kind:     hidden_remainder_y
      - .offset:         3174
        .size:           2
        .value_kind:     hidden_remainder_z
      - .offset:         3192
        .size:           8
        .value_kind:     hidden_global_offset_x
      - .offset:         3200
        .size:           8
        .value_kind:     hidden_global_offset_y
      - .offset:         3208
        .size:           8
        .value_kind:     hidden_global_offset_z
      - .offset:         3216
        .size:           2
        .value_kind:     hidden_grid_dims
    .group_segment_fixed_size: 0
    .kernarg_segment_align: 8
    .kernarg_segment_size: 3408
    .language:       OpenCL C
    .language_version:
      - 2
      - 0
    .max_flat_workgroup_size: 512
    .name:           _ZN2at6native12_GLOBAL__N_125multi_tensor_apply_kernelINS1_18TensorListMetadataILi2EEENS1_21BinaryOpScalarFunctorIiLi2ELi1ELi1EEEJNS1_13power_functorIiEEiEEEvT_T0_DpT1_
    .private_segment_fixed_size: 0
    .sgpr_count:     52
    .sgpr_spill_count: 0
    .symbol:         _ZN2at6native12_GLOBAL__N_125multi_tensor_apply_kernelINS1_18TensorListMetadataILi2EEENS1_21BinaryOpScalarFunctorIiLi2ELi1ELi1EEEJNS1_13power_functorIiEEiEEEvT_T0_DpT1_.kd
    .uniform_work_group_size: 1
    .uses_dynamic_stack: false
    .vgpr_count:     17
    .vgpr_spill_count: 0
    .wavefront_size: 64
  - .agpr_count:     0
    .args:
      - .offset:         0
        .size:           3144
        .value_kind:     by_value
      - .offset:         3144
        .size:           1
        .value_kind:     by_value
      - .offset:         3145
        .size:           1
        .value_kind:     by_value
      - .offset:         3152
        .size:           8
        .value_kind:     by_value
      - .offset:         3160
        .size:           4
        .value_kind:     hidden_block_count_x
      - .offset:         3164
        .size:           4
        .value_kind:     hidden_block_count_y
      - .offset:         3168
        .size:           4
        .value_kind:     hidden_block_count_z
      - .offset:         3172
        .size:           2
        .value_kind:     hidden_group_size_x
      - .offset:         3174
        .size:           2
        .value_kind:     hidden_group_size_y
      - .offset:         3176
        .size:           2
        .value_kind:     hidden_group_size_z
      - .offset:         3178
        .size:           2
        .value_kind:     hidden_remainder_x
      - .offset:         3180
        .size:           2
        .value_kind:     hidden_remainder_y
      - .offset:         3182
        .size:           2
        .value_kind:     hidden_remainder_z
      - .offset:         3200
        .size:           8
        .value_kind:     hidden_global_offset_x
      - .offset:         3208
        .size:           8
        .value_kind:     hidden_global_offset_y
      - .offset:         3216
        .size:           8
        .value_kind:     hidden_global_offset_z
      - .offset:         3224
        .size:           2
        .value_kind:     hidden_grid_dims
    .group_segment_fixed_size: 0
    .kernarg_segment_align: 8
    .kernarg_segment_size: 3416
    .language:       OpenCL C
    .language_version:
      - 2
      - 0
    .max_flat_workgroup_size: 512
    .name:           _ZN2at6native12_GLOBAL__N_125multi_tensor_apply_kernelINS1_18TensorListMetadataILi2EEENS1_21BinaryOpScalarFunctorIlLi2ELi1ELi1EEEJNS1_13power_functorIlEElEEEvT_T0_DpT1_
    .private_segment_fixed_size: 0
    .sgpr_count:     54
    .sgpr_spill_count: 0
    .symbol:         _ZN2at6native12_GLOBAL__N_125multi_tensor_apply_kernelINS1_18TensorListMetadataILi2EEENS1_21BinaryOpScalarFunctorIlLi2ELi1ELi1EEEJNS1_13power_functorIlEElEEEvT_T0_DpT1_.kd
    .uniform_work_group_size: 1
    .uses_dynamic_stack: false
    .vgpr_count:     26
    .vgpr_spill_count: 0
    .wavefront_size: 64
  - .agpr_count:     0
    .args:
      - .offset:         0
        .size:           3144
        .value_kind:     by_value
      - .offset:         3144
        .size:           1
        .value_kind:     by_value
      - .offset:         3145
        .size:           1
        .value_kind:     by_value
      - .offset:         3146
        .size:           2
        .value_kind:     by_value
      - .offset:         3152
        .size:           4
        .value_kind:     hidden_block_count_x
      - .offset:         3156
        .size:           4
        .value_kind:     hidden_block_count_y
      - .offset:         3160
        .size:           4
        .value_kind:     hidden_block_count_z
      - .offset:         3164
        .size:           2
        .value_kind:     hidden_group_size_x
      - .offset:         3166
        .size:           2
        .value_kind:     hidden_group_size_y
      - .offset:         3168
        .size:           2
        .value_kind:     hidden_group_size_z
      - .offset:         3170
        .size:           2
        .value_kind:     hidden_remainder_x
      - .offset:         3172
        .size:           2
        .value_kind:     hidden_remainder_y
      - .offset:         3174
        .size:           2
        .value_kind:     hidden_remainder_z
      - .offset:         3192
        .size:           8
        .value_kind:     hidden_global_offset_x
      - .offset:         3200
        .size:           8
        .value_kind:     hidden_global_offset_y
      - .offset:         3208
        .size:           8
        .value_kind:     hidden_global_offset_z
      - .offset:         3216
        .size:           2
        .value_kind:     hidden_grid_dims
    .group_segment_fixed_size: 0
    .kernarg_segment_align: 8
    .kernarg_segment_size: 3408
    .language:       OpenCL C
    .language_version:
      - 2
      - 0
    .max_flat_workgroup_size: 512
    .name:           _ZN2at6native12_GLOBAL__N_125multi_tensor_apply_kernelINS1_18TensorListMetadataILi2EEENS1_21BinaryOpScalarFunctorIsLi2ELi1ELi1EEEJNS1_13power_functorIsEEsEEEvT_T0_DpT1_
    .private_segment_fixed_size: 0
    .sgpr_count:     52
    .sgpr_spill_count: 0
    .symbol:         _ZN2at6native12_GLOBAL__N_125multi_tensor_apply_kernelINS1_18TensorListMetadataILi2EEENS1_21BinaryOpScalarFunctorIsLi2ELi1ELi1EEEJNS1_13power_functorIsEEsEEEvT_T0_DpT1_.kd
    .uniform_work_group_size: 1
    .uses_dynamic_stack: false
    .vgpr_count:     17
    .vgpr_spill_count: 0
    .wavefront_size: 64
  - .agpr_count:     0
    .args:
      - .offset:         0
        .size:           3144
        .value_kind:     by_value
      - .offset:         3144
        .size:           1
        .value_kind:     by_value
      - .offset:         3145
        .size:           1
        .value_kind:     by_value
      - .offset:         3152
        .size:           8
        .value_kind:     by_value
      - .offset:         3160
        .size:           4
        .value_kind:     hidden_block_count_x
      - .offset:         3164
        .size:           4
        .value_kind:     hidden_block_count_y
      - .offset:         3168
        .size:           4
        .value_kind:     hidden_block_count_z
      - .offset:         3172
        .size:           2
        .value_kind:     hidden_group_size_x
      - .offset:         3174
        .size:           2
        .value_kind:     hidden_group_size_y
      - .offset:         3176
        .size:           2
        .value_kind:     hidden_group_size_z
      - .offset:         3178
        .size:           2
        .value_kind:     hidden_remainder_x
      - .offset:         3180
        .size:           2
        .value_kind:     hidden_remainder_y
      - .offset:         3182
        .size:           2
        .value_kind:     hidden_remainder_z
      - .offset:         3200
        .size:           8
        .value_kind:     hidden_global_offset_x
      - .offset:         3208
        .size:           8
        .value_kind:     hidden_global_offset_y
      - .offset:         3216
        .size:           8
        .value_kind:     hidden_global_offset_z
      - .offset:         3224
        .size:           2
        .value_kind:     hidden_grid_dims
    .group_segment_fixed_size: 0
    .kernarg_segment_align: 8
    .kernarg_segment_size: 3416
    .language:       OpenCL C
    .language_version:
      - 2
      - 0
    .max_flat_workgroup_size: 512
    .name:           _ZN2at6native12_GLOBAL__N_125multi_tensor_apply_kernelINS1_18TensorListMetadataILi2EEENS1_21BinaryOpScalarFunctorIdLi2ELi1ELi1EEEJNS1_13power_functorIdEEdEEEvT_T0_DpT1_
    .private_segment_fixed_size: 0
    .sgpr_count:     104
    .sgpr_spill_count: 0
    .symbol:         _ZN2at6native12_GLOBAL__N_125multi_tensor_apply_kernelINS1_18TensorListMetadataILi2EEENS1_21BinaryOpScalarFunctorIdLi2ELi1ELi1EEEJNS1_13power_functorIdEEdEEEvT_T0_DpT1_.kd
    .uniform_work_group_size: 1
    .uses_dynamic_stack: false
    .vgpr_count:     124
    .vgpr_spill_count: 0
    .wavefront_size: 64
  - .agpr_count:     0
    .args:
      - .offset:         0
        .size:           3144
        .value_kind:     by_value
      - .offset:         3144
        .size:           1
        .value_kind:     by_value
      - .offset:         3145
        .size:           1
        .value_kind:     by_value
      - .offset:         3148
        .size:           4
        .value_kind:     by_value
      - .offset:         3152
        .size:           4
        .value_kind:     hidden_block_count_x
      - .offset:         3156
        .size:           4
        .value_kind:     hidden_block_count_y
      - .offset:         3160
        .size:           4
        .value_kind:     hidden_block_count_z
      - .offset:         3164
        .size:           2
        .value_kind:     hidden_group_size_x
      - .offset:         3166
        .size:           2
        .value_kind:     hidden_group_size_y
      - .offset:         3168
        .size:           2
        .value_kind:     hidden_group_size_z
      - .offset:         3170
        .size:           2
        .value_kind:     hidden_remainder_x
      - .offset:         3172
        .size:           2
        .value_kind:     hidden_remainder_y
      - .offset:         3174
        .size:           2
        .value_kind:     hidden_remainder_z
      - .offset:         3192
        .size:           8
        .value_kind:     hidden_global_offset_x
      - .offset:         3200
        .size:           8
        .value_kind:     hidden_global_offset_y
      - .offset:         3208
        .size:           8
        .value_kind:     hidden_global_offset_z
      - .offset:         3216
        .size:           2
        .value_kind:     hidden_grid_dims
    .group_segment_fixed_size: 0
    .kernarg_segment_align: 8
    .kernarg_segment_size: 3408
    .language:       OpenCL C
    .language_version:
      - 2
      - 0
    .max_flat_workgroup_size: 512
    .name:           _ZN2at6native12_GLOBAL__N_125multi_tensor_apply_kernelINS1_18TensorListMetadataILi2EEENS1_21BinaryOpScalarFunctorIfLi2ELi1ELi1EEEJNS1_13power_functorIfEEfEEEvT_T0_DpT1_
    .private_segment_fixed_size: 0
    .sgpr_count:     80
    .sgpr_spill_count: 0
    .symbol:         _ZN2at6native12_GLOBAL__N_125multi_tensor_apply_kernelINS1_18TensorListMetadataILi2EEENS1_21BinaryOpScalarFunctorIfLi2ELi1ELi1EEEJNS1_13power_functorIfEEfEEEvT_T0_DpT1_.kd
    .uniform_work_group_size: 1
    .uses_dynamic_stack: false
    .vgpr_count:     66
    .vgpr_spill_count: 0
    .wavefront_size: 64
  - .agpr_count:     0
    .args:
      - .offset:         0
        .size:           3144
        .value_kind:     by_value
      - .offset:         3144
        .size:           1
        .value_kind:     by_value
      - .offset:         3145
        .size:           1
        .value_kind:     by_value
      - .offset:         3152
        .size:           16
        .value_kind:     by_value
      - .offset:         3168
        .size:           4
        .value_kind:     hidden_block_count_x
      - .offset:         3172
        .size:           4
        .value_kind:     hidden_block_count_y
      - .offset:         3176
        .size:           4
        .value_kind:     hidden_block_count_z
      - .offset:         3180
        .size:           2
        .value_kind:     hidden_group_size_x
      - .offset:         3182
        .size:           2
        .value_kind:     hidden_group_size_y
      - .offset:         3184
        .size:           2
        .value_kind:     hidden_group_size_z
      - .offset:         3186
        .size:           2
        .value_kind:     hidden_remainder_x
      - .offset:         3188
        .size:           2
        .value_kind:     hidden_remainder_y
      - .offset:         3190
        .size:           2
        .value_kind:     hidden_remainder_z
      - .offset:         3208
        .size:           8
        .value_kind:     hidden_global_offset_x
      - .offset:         3216
        .size:           8
        .value_kind:     hidden_global_offset_y
      - .offset:         3224
        .size:           8
        .value_kind:     hidden_global_offset_z
      - .offset:         3232
        .size:           2
        .value_kind:     hidden_grid_dims
    .group_segment_fixed_size: 0
    .kernarg_segment_align: 16
    .kernarg_segment_size: 3424
    .language:       OpenCL C
    .language_version:
      - 2
      - 0
    .max_flat_workgroup_size: 512
    .name:           _ZN2at6native12_GLOBAL__N_125multi_tensor_apply_kernelINS1_18TensorListMetadataILi2EEENS1_21BinaryOpScalarFunctorIN3c107complexIdEELi2ELi1ELi1EEEJNS1_13power_functorIS8_EES8_EEEvT_T0_DpT1_
    .private_segment_fixed_size: 0
    .sgpr_count:     76
    .sgpr_spill_count: 0
    .symbol:         _ZN2at6native12_GLOBAL__N_125multi_tensor_apply_kernelINS1_18TensorListMetadataILi2EEENS1_21BinaryOpScalarFunctorIN3c107complexIdEELi2ELi1ELi1EEEJNS1_13power_functorIS8_EES8_EEEvT_T0_DpT1_.kd
    .uniform_work_group_size: 1
    .uses_dynamic_stack: false
    .vgpr_count:     58
    .vgpr_spill_count: 0
    .wavefront_size: 64
  - .agpr_count:     0
    .args:
      - .offset:         0
        .size:           3144
        .value_kind:     by_value
      - .offset:         3144
        .size:           1
        .value_kind:     by_value
      - .offset:         3145
        .size:           1
        .value_kind:     by_value
      - .offset:         3152
        .size:           8
        .value_kind:     by_value
      - .offset:         3160
        .size:           4
        .value_kind:     hidden_block_count_x
      - .offset:         3164
        .size:           4
        .value_kind:     hidden_block_count_y
      - .offset:         3168
        .size:           4
        .value_kind:     hidden_block_count_z
      - .offset:         3172
        .size:           2
        .value_kind:     hidden_group_size_x
      - .offset:         3174
        .size:           2
        .value_kind:     hidden_group_size_y
      - .offset:         3176
        .size:           2
        .value_kind:     hidden_group_size_z
      - .offset:         3178
        .size:           2
        .value_kind:     hidden_remainder_x
      - .offset:         3180
        .size:           2
        .value_kind:     hidden_remainder_y
      - .offset:         3182
        .size:           2
        .value_kind:     hidden_remainder_z
      - .offset:         3200
        .size:           8
        .value_kind:     hidden_global_offset_x
      - .offset:         3208
        .size:           8
        .value_kind:     hidden_global_offset_y
      - .offset:         3216
        .size:           8
        .value_kind:     hidden_global_offset_z
      - .offset:         3224
        .size:           2
        .value_kind:     hidden_grid_dims
    .group_segment_fixed_size: 0
    .kernarg_segment_align: 8
    .kernarg_segment_size: 3416
    .language:       OpenCL C
    .language_version:
      - 2
      - 0
    .max_flat_workgroup_size: 512
    .name:           _ZN2at6native12_GLOBAL__N_125multi_tensor_apply_kernelINS1_18TensorListMetadataILi2EEENS1_21BinaryOpScalarFunctorIN3c107complexIfEELi2ELi1ELi1EEEJNS1_13power_functorIS8_EES8_EEEvT_T0_DpT1_
    .private_segment_fixed_size: 16
    .sgpr_count:     64
    .sgpr_spill_count: 0
    .symbol:         _ZN2at6native12_GLOBAL__N_125multi_tensor_apply_kernelINS1_18TensorListMetadataILi2EEENS1_21BinaryOpScalarFunctorIN3c107complexIfEELi2ELi1ELi1EEEJNS1_13power_functorIS8_EES8_EEEvT_T0_DpT1_.kd
    .uniform_work_group_size: 1
    .uses_dynamic_stack: false
    .vgpr_count:     44
    .vgpr_spill_count: 0
    .wavefront_size: 64
  - .agpr_count:     0
    .args:
      - .offset:         0
        .size:           3144
        .value_kind:     by_value
      - .offset:         3144
        .size:           1
        .value_kind:     by_value
      - .offset:         3145
        .size:           1
        .value_kind:     by_value
      - .offset:         3148
        .size:           4
        .value_kind:     by_value
      - .offset:         3152
        .size:           4
        .value_kind:     hidden_block_count_x
      - .offset:         3156
        .size:           4
        .value_kind:     hidden_block_count_y
      - .offset:         3160
        .size:           4
        .value_kind:     hidden_block_count_z
      - .offset:         3164
        .size:           2
        .value_kind:     hidden_group_size_x
      - .offset:         3166
        .size:           2
        .value_kind:     hidden_group_size_y
      - .offset:         3168
        .size:           2
        .value_kind:     hidden_group_size_z
      - .offset:         3170
        .size:           2
        .value_kind:     hidden_remainder_x
      - .offset:         3172
        .size:           2
        .value_kind:     hidden_remainder_y
      - .offset:         3174
        .size:           2
        .value_kind:     hidden_remainder_z
      - .offset:         3192
        .size:           8
        .value_kind:     hidden_global_offset_x
      - .offset:         3200
        .size:           8
        .value_kind:     hidden_global_offset_y
      - .offset:         3208
        .size:           8
        .value_kind:     hidden_global_offset_z
      - .offset:         3216
        .size:           2
        .value_kind:     hidden_grid_dims
    .group_segment_fixed_size: 0
    .kernarg_segment_align: 8
    .kernarg_segment_size: 3408
    .language:       OpenCL C
    .language_version:
      - 2
      - 0
    .max_flat_workgroup_size: 512
    .name:           _ZN2at6native12_GLOBAL__N_125multi_tensor_apply_kernelINS1_18TensorListMetadataILi2EEENS1_21BinaryOpScalarFunctorIN3c104HalfELi2ELi1ELi1EEEJNS1_13power_functorIfEEfEEEvT_T0_DpT1_
    .private_segment_fixed_size: 0
    .sgpr_count:     76
    .sgpr_spill_count: 0
    .symbol:         _ZN2at6native12_GLOBAL__N_125multi_tensor_apply_kernelINS1_18TensorListMetadataILi2EEENS1_21BinaryOpScalarFunctorIN3c104HalfELi2ELi1ELi1EEEJNS1_13power_functorIfEEfEEEvT_T0_DpT1_.kd
    .uniform_work_group_size: 1
    .uses_dynamic_stack: false
    .vgpr_count:     66
    .vgpr_spill_count: 0
    .wavefront_size: 64
  - .agpr_count:     0
    .args:
      - .offset:         0
        .size:           3144
        .value_kind:     by_value
      - .offset:         3144
        .size:           1
        .value_kind:     by_value
      - .offset:         3145
        .size:           1
        .value_kind:     by_value
      - .offset:         3148
        .size:           4
        .value_kind:     by_value
      - .offset:         3152
        .size:           4
        .value_kind:     hidden_block_count_x
      - .offset:         3156
        .size:           4
        .value_kind:     hidden_block_count_y
      - .offset:         3160
        .size:           4
        .value_kind:     hidden_block_count_z
      - .offset:         3164
        .size:           2
        .value_kind:     hidden_group_size_x
      - .offset:         3166
        .size:           2
        .value_kind:     hidden_group_size_y
      - .offset:         3168
        .size:           2
        .value_kind:     hidden_group_size_z
      - .offset:         3170
        .size:           2
        .value_kind:     hidden_remainder_x
      - .offset:         3172
        .size:           2
        .value_kind:     hidden_remainder_y
      - .offset:         3174
        .size:           2
        .value_kind:     hidden_remainder_z
      - .offset:         3192
        .size:           8
        .value_kind:     hidden_global_offset_x
      - .offset:         3200
        .size:           8
        .value_kind:     hidden_global_offset_y
      - .offset:         3208
        .size:           8
        .value_kind:     hidden_global_offset_z
      - .offset:         3216
        .size:           2
        .value_kind:     hidden_grid_dims
    .group_segment_fixed_size: 0
    .kernarg_segment_align: 8
    .kernarg_segment_size: 3408
    .language:       OpenCL C
    .language_version:
      - 2
      - 0
    .max_flat_workgroup_size: 512
    .name:           _ZN2at6native12_GLOBAL__N_125multi_tensor_apply_kernelINS1_18TensorListMetadataILi2EEENS1_21BinaryOpScalarFunctorIN3c108BFloat16ELi2ELi1ELi1EEEJNS1_13power_functorIfEEfEEEvT_T0_DpT1_
    .private_segment_fixed_size: 0
    .sgpr_count:     80
    .sgpr_spill_count: 0
    .symbol:         _ZN2at6native12_GLOBAL__N_125multi_tensor_apply_kernelINS1_18TensorListMetadataILi2EEENS1_21BinaryOpScalarFunctorIN3c108BFloat16ELi2ELi1ELi1EEEJNS1_13power_functorIfEEfEEEvT_T0_DpT1_.kd
    .uniform_work_group_size: 1
    .uses_dynamic_stack: false
    .vgpr_count:     60
    .vgpr_spill_count: 0
    .wavefront_size: 64
  - .agpr_count:     0
    .args:
      - .offset:         0
        .size:           3144
        .value_kind:     by_value
      - .offset:         3144
        .size:           1
        .value_kind:     by_value
      - .offset:         3145
        .size:           1
        .value_kind:     by_value
      - .offset:         3146
        .size:           1
        .value_kind:     by_value
      - .offset:         3152
        .size:           4
        .value_kind:     hidden_block_count_x
      - .offset:         3156
        .size:           4
        .value_kind:     hidden_block_count_y
      - .offset:         3160
        .size:           4
        .value_kind:     hidden_block_count_z
      - .offset:         3164
        .size:           2
        .value_kind:     hidden_group_size_x
      - .offset:         3166
        .size:           2
        .value_kind:     hidden_group_size_y
      - .offset:         3168
        .size:           2
        .value_kind:     hidden_group_size_z
      - .offset:         3170
        .size:           2
        .value_kind:     hidden_remainder_x
      - .offset:         3172
        .size:           2
        .value_kind:     hidden_remainder_y
      - .offset:         3174
        .size:           2
        .value_kind:     hidden_remainder_z
      - .offset:         3192
        .size:           8
        .value_kind:     hidden_global_offset_x
      - .offset:         3200
        .size:           8
        .value_kind:     hidden_global_offset_y
      - .offset:         3208
        .size:           8
        .value_kind:     hidden_global_offset_z
      - .offset:         3216
        .size:           2
        .value_kind:     hidden_grid_dims
    .group_segment_fixed_size: 0
    .kernarg_segment_align: 8
    .kernarg_segment_size: 3408
    .language:       OpenCL C
    .language_version:
      - 2
      - 0
    .max_flat_workgroup_size: 512
    .name:           _ZN2at6native12_GLOBAL__N_125multi_tensor_apply_kernelINS1_18TensorListMetadataILi2EEENS1_21BinaryOpScalarFunctorIhLi2ELi1ELi1EEEJNS1_21reverse_power_functorIhEEhEEEvT_T0_DpT1_
    .private_segment_fixed_size: 0
    .sgpr_count:     40
    .sgpr_spill_count: 0
    .symbol:         _ZN2at6native12_GLOBAL__N_125multi_tensor_apply_kernelINS1_18TensorListMetadataILi2EEENS1_21BinaryOpScalarFunctorIhLi2ELi1ELi1EEEJNS1_21reverse_power_functorIhEEhEEEvT_T0_DpT1_.kd
    .uniform_work_group_size: 1
    .uses_dynamic_stack: false
    .vgpr_count:     21
    .vgpr_spill_count: 0
    .wavefront_size: 64
  - .agpr_count:     0
    .args:
      - .offset:         0
        .size:           3144
        .value_kind:     by_value
      - .offset:         3144
        .size:           1
        .value_kind:     by_value
      - .offset:         3145
        .size:           1
        .value_kind:     by_value
      - .offset:         3146
        .size:           1
        .value_kind:     by_value
      - .offset:         3152
        .size:           4
        .value_kind:     hidden_block_count_x
      - .offset:         3156
        .size:           4
        .value_kind:     hidden_block_count_y
      - .offset:         3160
        .size:           4
        .value_kind:     hidden_block_count_z
      - .offset:         3164
        .size:           2
        .value_kind:     hidden_group_size_x
      - .offset:         3166
        .size:           2
        .value_kind:     hidden_group_size_y
      - .offset:         3168
        .size:           2
        .value_kind:     hidden_group_size_z
      - .offset:         3170
        .size:           2
        .value_kind:     hidden_remainder_x
      - .offset:         3172
        .size:           2
        .value_kind:     hidden_remainder_y
      - .offset:         3174
        .size:           2
        .value_kind:     hidden_remainder_z
      - .offset:         3192
        .size:           8
        .value_kind:     hidden_global_offset_x
      - .offset:         3200
        .size:           8
        .value_kind:     hidden_global_offset_y
      - .offset:         3208
        .size:           8
        .value_kind:     hidden_global_offset_z
      - .offset:         3216
        .size:           2
        .value_kind:     hidden_grid_dims
    .group_segment_fixed_size: 0
    .kernarg_segment_align: 8
    .kernarg_segment_size: 3408
    .language:       OpenCL C
    .language_version:
      - 2
      - 0
    .max_flat_workgroup_size: 512
    .name:           _ZN2at6native12_GLOBAL__N_125multi_tensor_apply_kernelINS1_18TensorListMetadataILi2EEENS1_21BinaryOpScalarFunctorIaLi2ELi1ELi1EEEJNS1_21reverse_power_functorIaEEaEEEvT_T0_DpT1_
    .private_segment_fixed_size: 0
    .sgpr_count:     48
    .sgpr_spill_count: 0
    .symbol:         _ZN2at6native12_GLOBAL__N_125multi_tensor_apply_kernelINS1_18TensorListMetadataILi2EEENS1_21BinaryOpScalarFunctorIaLi2ELi1ELi1EEEJNS1_21reverse_power_functorIaEEaEEEvT_T0_DpT1_.kd
    .uniform_work_group_size: 1
    .uses_dynamic_stack: false
    .vgpr_count:     19
    .vgpr_spill_count: 0
    .wavefront_size: 64
  - .agpr_count:     0
    .args:
      - .offset:         0
        .size:           3144
        .value_kind:     by_value
      - .offset:         3144
        .size:           1
        .value_kind:     by_value
      - .offset:         3145
        .size:           1
        .value_kind:     by_value
      - .offset:         3148
        .size:           4
        .value_kind:     by_value
      - .offset:         3152
        .size:           4
        .value_kind:     hidden_block_count_x
      - .offset:         3156
        .size:           4
        .value_kind:     hidden_block_count_y
      - .offset:         3160
        .size:           4
        .value_kind:     hidden_block_count_z
      - .offset:         3164
        .size:           2
        .value_kind:     hidden_group_size_x
      - .offset:         3166
        .size:           2
        .value_kind:     hidden_group_size_y
      - .offset:         3168
        .size:           2
        .value_kind:     hidden_group_size_z
      - .offset:         3170
        .size:           2
        .value_kind:     hidden_remainder_x
      - .offset:         3172
        .size:           2
        .value_kind:     hidden_remainder_y
      - .offset:         3174
        .size:           2
        .value_kind:     hidden_remainder_z
      - .offset:         3192
        .size:           8
        .value_kind:     hidden_global_offset_x
      - .offset:         3200
        .size:           8
        .value_kind:     hidden_global_offset_y
      - .offset:         3208
        .size:           8
        .value_kind:     hidden_global_offset_z
      - .offset:         3216
        .size:           2
        .value_kind:     hidden_grid_dims
    .group_segment_fixed_size: 0
    .kernarg_segment_align: 8
    .kernarg_segment_size: 3408
    .language:       OpenCL C
    .language_version:
      - 2
      - 0
    .max_flat_workgroup_size: 512
    .name:           _ZN2at6native12_GLOBAL__N_125multi_tensor_apply_kernelINS1_18TensorListMetadataILi2EEENS1_21BinaryOpScalarFunctorIiLi2ELi1ELi1EEEJNS1_21reverse_power_functorIiEEiEEEvT_T0_DpT1_
    .private_segment_fixed_size: 0
    .sgpr_count:     45
    .sgpr_spill_count: 0
    .symbol:         _ZN2at6native12_GLOBAL__N_125multi_tensor_apply_kernelINS1_18TensorListMetadataILi2EEENS1_21BinaryOpScalarFunctorIiLi2ELi1ELi1EEEJNS1_21reverse_power_functorIiEEiEEEvT_T0_DpT1_.kd
    .uniform_work_group_size: 1
    .uses_dynamic_stack: false
    .vgpr_count:     17
    .vgpr_spill_count: 0
    .wavefront_size: 64
  - .agpr_count:     0
    .args:
      - .offset:         0
        .size:           3144
        .value_kind:     by_value
      - .offset:         3144
        .size:           1
        .value_kind:     by_value
      - .offset:         3145
        .size:           1
        .value_kind:     by_value
      - .offset:         3152
        .size:           8
        .value_kind:     by_value
      - .offset:         3160
        .size:           4
        .value_kind:     hidden_block_count_x
      - .offset:         3164
        .size:           4
        .value_kind:     hidden_block_count_y
      - .offset:         3168
        .size:           4
        .value_kind:     hidden_block_count_z
      - .offset:         3172
        .size:           2
        .value_kind:     hidden_group_size_x
      - .offset:         3174
        .size:           2
        .value_kind:     hidden_group_size_y
      - .offset:         3176
        .size:           2
        .value_kind:     hidden_group_size_z
      - .offset:         3178
        .size:           2
        .value_kind:     hidden_remainder_x
      - .offset:         3180
        .size:           2
        .value_kind:     hidden_remainder_y
      - .offset:         3182
        .size:           2
        .value_kind:     hidden_remainder_z
      - .offset:         3200
        .size:           8
        .value_kind:     hidden_global_offset_x
      - .offset:         3208
        .size:           8
        .value_kind:     hidden_global_offset_y
      - .offset:         3216
        .size:           8
        .value_kind:     hidden_global_offset_z
      - .offset:         3224
        .size:           2
        .value_kind:     hidden_grid_dims
    .group_segment_fixed_size: 0
    .kernarg_segment_align: 8
    .kernarg_segment_size: 3416
    .language:       OpenCL C
    .language_version:
      - 2
      - 0
    .max_flat_workgroup_size: 512
    .name:           _ZN2at6native12_GLOBAL__N_125multi_tensor_apply_kernelINS1_18TensorListMetadataILi2EEENS1_21BinaryOpScalarFunctorIlLi2ELi1ELi1EEEJNS1_21reverse_power_functorIlEElEEEvT_T0_DpT1_
    .private_segment_fixed_size: 0
    .sgpr_count:     51
    .sgpr_spill_count: 0
    .symbol:         _ZN2at6native12_GLOBAL__N_125multi_tensor_apply_kernelINS1_18TensorListMetadataILi2EEENS1_21BinaryOpScalarFunctorIlLi2ELi1ELi1EEEJNS1_21reverse_power_functorIlEElEEEvT_T0_DpT1_.kd
    .uniform_work_group_size: 1
    .uses_dynamic_stack: false
    .vgpr_count:     26
    .vgpr_spill_count: 0
    .wavefront_size: 64
  - .agpr_count:     0
    .args:
      - .offset:         0
        .size:           3144
        .value_kind:     by_value
      - .offset:         3144
        .size:           1
        .value_kind:     by_value
      - .offset:         3145
        .size:           1
        .value_kind:     by_value
      - .offset:         3146
        .size:           2
        .value_kind:     by_value
      - .offset:         3152
        .size:           4
        .value_kind:     hidden_block_count_x
      - .offset:         3156
        .size:           4
        .value_kind:     hidden_block_count_y
      - .offset:         3160
        .size:           4
        .value_kind:     hidden_block_count_z
      - .offset:         3164
        .size:           2
        .value_kind:     hidden_group_size_x
      - .offset:         3166
        .size:           2
        .value_kind:     hidden_group_size_y
      - .offset:         3168
        .size:           2
        .value_kind:     hidden_group_size_z
      - .offset:         3170
        .size:           2
        .value_kind:     hidden_remainder_x
      - .offset:         3172
        .size:           2
        .value_kind:     hidden_remainder_y
      - .offset:         3174
        .size:           2
        .value_kind:     hidden_remainder_z
      - .offset:         3192
        .size:           8
        .value_kind:     hidden_global_offset_x
      - .offset:         3200
        .size:           8
        .value_kind:     hidden_global_offset_y
      - .offset:         3208
        .size:           8
        .value_kind:     hidden_global_offset_z
      - .offset:         3216
        .size:           2
        .value_kind:     hidden_grid_dims
    .group_segment_fixed_size: 0
    .kernarg_segment_align: 8
    .kernarg_segment_size: 3408
    .language:       OpenCL C
    .language_version:
      - 2
      - 0
    .max_flat_workgroup_size: 512
    .name:           _ZN2at6native12_GLOBAL__N_125multi_tensor_apply_kernelINS1_18TensorListMetadataILi2EEENS1_21BinaryOpScalarFunctorIsLi2ELi1ELi1EEEJNS1_21reverse_power_functorIsEEsEEEvT_T0_DpT1_
    .private_segment_fixed_size: 0
    .sgpr_count:     49
    .sgpr_spill_count: 0
    .symbol:         _ZN2at6native12_GLOBAL__N_125multi_tensor_apply_kernelINS1_18TensorListMetadataILi2EEENS1_21BinaryOpScalarFunctorIsLi2ELi1ELi1EEEJNS1_21reverse_power_functorIsEEsEEEvT_T0_DpT1_.kd
    .uniform_work_group_size: 1
    .uses_dynamic_stack: false
    .vgpr_count:     18
    .vgpr_spill_count: 0
    .wavefront_size: 64
  - .agpr_count:     0
    .args:
      - .offset:         0
        .size:           3144
        .value_kind:     by_value
      - .offset:         3144
        .size:           1
        .value_kind:     by_value
      - .offset:         3145
        .size:           1
        .value_kind:     by_value
      - .offset:         3152
        .size:           8
        .value_kind:     by_value
      - .offset:         3160
        .size:           4
        .value_kind:     hidden_block_count_x
      - .offset:         3164
        .size:           4
        .value_kind:     hidden_block_count_y
      - .offset:         3168
        .size:           4
        .value_kind:     hidden_block_count_z
      - .offset:         3172
        .size:           2
        .value_kind:     hidden_group_size_x
      - .offset:         3174
        .size:           2
        .value_kind:     hidden_group_size_y
      - .offset:         3176
        .size:           2
        .value_kind:     hidden_group_size_z
      - .offset:         3178
        .size:           2
        .value_kind:     hidden_remainder_x
      - .offset:         3180
        .size:           2
        .value_kind:     hidden_remainder_y
      - .offset:         3182
        .size:           2
        .value_kind:     hidden_remainder_z
      - .offset:         3200
        .size:           8
        .value_kind:     hidden_global_offset_x
      - .offset:         3208
        .size:           8
        .value_kind:     hidden_global_offset_y
      - .offset:         3216
        .size:           8
        .value_kind:     hidden_global_offset_z
      - .offset:         3224
        .size:           2
        .value_kind:     hidden_grid_dims
    .group_segment_fixed_size: 0
    .kernarg_segment_align: 8
    .kernarg_segment_size: 3416
    .language:       OpenCL C
    .language_version:
      - 2
      - 0
    .max_flat_workgroup_size: 512
    .name:           _ZN2at6native12_GLOBAL__N_125multi_tensor_apply_kernelINS1_18TensorListMetadataILi2EEENS1_21BinaryOpScalarFunctorIdLi2ELi1ELi1EEEJNS1_21reverse_power_functorIdEEdEEEvT_T0_DpT1_
    .private_segment_fixed_size: 0
    .sgpr_count:     104
    .sgpr_spill_count: 0
    .symbol:         _ZN2at6native12_GLOBAL__N_125multi_tensor_apply_kernelINS1_18TensorListMetadataILi2EEENS1_21BinaryOpScalarFunctorIdLi2ELi1ELi1EEEJNS1_21reverse_power_functorIdEEdEEEvT_T0_DpT1_.kd
    .uniform_work_group_size: 1
    .uses_dynamic_stack: false
    .vgpr_count:     124
    .vgpr_spill_count: 0
    .wavefront_size: 64
  - .agpr_count:     0
    .args:
      - .offset:         0
        .size:           3144
        .value_kind:     by_value
      - .offset:         3144
        .size:           1
        .value_kind:     by_value
      - .offset:         3145
        .size:           1
        .value_kind:     by_value
      - .offset:         3148
        .size:           4
        .value_kind:     by_value
      - .offset:         3152
        .size:           4
        .value_kind:     hidden_block_count_x
      - .offset:         3156
        .size:           4
        .value_kind:     hidden_block_count_y
      - .offset:         3160
        .size:           4
        .value_kind:     hidden_block_count_z
      - .offset:         3164
        .size:           2
        .value_kind:     hidden_group_size_x
      - .offset:         3166
        .size:           2
        .value_kind:     hidden_group_size_y
      - .offset:         3168
        .size:           2
        .value_kind:     hidden_group_size_z
      - .offset:         3170
        .size:           2
        .value_kind:     hidden_remainder_x
      - .offset:         3172
        .size:           2
        .value_kind:     hidden_remainder_y
      - .offset:         3174
        .size:           2
        .value_kind:     hidden_remainder_z
      - .offset:         3192
        .size:           8
        .value_kind:     hidden_global_offset_x
      - .offset:         3200
        .size:           8
        .value_kind:     hidden_global_offset_y
      - .offset:         3208
        .size:           8
        .value_kind:     hidden_global_offset_z
      - .offset:         3216
        .size:           2
        .value_kind:     hidden_grid_dims
    .group_segment_fixed_size: 0
    .kernarg_segment_align: 8
    .kernarg_segment_size: 3408
    .language:       OpenCL C
    .language_version:
      - 2
      - 0
    .max_flat_workgroup_size: 512
    .name:           _ZN2at6native12_GLOBAL__N_125multi_tensor_apply_kernelINS1_18TensorListMetadataILi2EEENS1_21BinaryOpScalarFunctorIfLi2ELi1ELi1EEEJNS1_21reverse_power_functorIfEEfEEEvT_T0_DpT1_
    .private_segment_fixed_size: 0
    .sgpr_count:     80
    .sgpr_spill_count: 0
    .symbol:         _ZN2at6native12_GLOBAL__N_125multi_tensor_apply_kernelINS1_18TensorListMetadataILi2EEENS1_21BinaryOpScalarFunctorIfLi2ELi1ELi1EEEJNS1_21reverse_power_functorIfEEfEEEvT_T0_DpT1_.kd
    .uniform_work_group_size: 1
    .uses_dynamic_stack: false
    .vgpr_count:     66
    .vgpr_spill_count: 0
    .wavefront_size: 64
  - .agpr_count:     0
    .args:
      - .offset:         0
        .size:           3144
        .value_kind:     by_value
      - .offset:         3144
        .size:           1
        .value_kind:     by_value
      - .offset:         3145
        .size:           1
        .value_kind:     by_value
      - .offset:         3152
        .size:           16
        .value_kind:     by_value
      - .offset:         3168
        .size:           4
        .value_kind:     hidden_block_count_x
      - .offset:         3172
        .size:           4
        .value_kind:     hidden_block_count_y
      - .offset:         3176
        .size:           4
        .value_kind:     hidden_block_count_z
      - .offset:         3180
        .size:           2
        .value_kind:     hidden_group_size_x
      - .offset:         3182
        .size:           2
        .value_kind:     hidden_group_size_y
      - .offset:         3184
        .size:           2
        .value_kind:     hidden_group_size_z
      - .offset:         3186
        .size:           2
        .value_kind:     hidden_remainder_x
      - .offset:         3188
        .size:           2
        .value_kind:     hidden_remainder_y
      - .offset:         3190
        .size:           2
        .value_kind:     hidden_remainder_z
      - .offset:         3208
        .size:           8
        .value_kind:     hidden_global_offset_x
      - .offset:         3216
        .size:           8
        .value_kind:     hidden_global_offset_y
      - .offset:         3224
        .size:           8
        .value_kind:     hidden_global_offset_z
      - .offset:         3232
        .size:           2
        .value_kind:     hidden_grid_dims
    .group_segment_fixed_size: 0
    .kernarg_segment_align: 16
    .kernarg_segment_size: 3424
    .language:       OpenCL C
    .language_version:
      - 2
      - 0
    .max_flat_workgroup_size: 512
    .name:           _ZN2at6native12_GLOBAL__N_125multi_tensor_apply_kernelINS1_18TensorListMetadataILi2EEENS1_21BinaryOpScalarFunctorIN3c107complexIdEELi2ELi1ELi1EEEJNS1_21reverse_power_functorIS8_EES8_EEEvT_T0_DpT1_
    .private_segment_fixed_size: 0
    .sgpr_count:     76
    .sgpr_spill_count: 0
    .symbol:         _ZN2at6native12_GLOBAL__N_125multi_tensor_apply_kernelINS1_18TensorListMetadataILi2EEENS1_21BinaryOpScalarFunctorIN3c107complexIdEELi2ELi1ELi1EEEJNS1_21reverse_power_functorIS8_EES8_EEEvT_T0_DpT1_.kd
    .uniform_work_group_size: 1
    .uses_dynamic_stack: false
    .vgpr_count:     58
    .vgpr_spill_count: 0
    .wavefront_size: 64
  - .agpr_count:     0
    .args:
      - .offset:         0
        .size:           3144
        .value_kind:     by_value
      - .offset:         3144
        .size:           1
        .value_kind:     by_value
      - .offset:         3145
        .size:           1
        .value_kind:     by_value
      - .offset:         3152
        .size:           8
        .value_kind:     by_value
      - .offset:         3160
        .size:           4
        .value_kind:     hidden_block_count_x
      - .offset:         3164
        .size:           4
        .value_kind:     hidden_block_count_y
      - .offset:         3168
        .size:           4
        .value_kind:     hidden_block_count_z
      - .offset:         3172
        .size:           2
        .value_kind:     hidden_group_size_x
      - .offset:         3174
        .size:           2
        .value_kind:     hidden_group_size_y
      - .offset:         3176
        .size:           2
        .value_kind:     hidden_group_size_z
      - .offset:         3178
        .size:           2
        .value_kind:     hidden_remainder_x
      - .offset:         3180
        .size:           2
        .value_kind:     hidden_remainder_y
      - .offset:         3182
        .size:           2
        .value_kind:     hidden_remainder_z
      - .offset:         3200
        .size:           8
        .value_kind:     hidden_global_offset_x
      - .offset:         3208
        .size:           8
        .value_kind:     hidden_global_offset_y
      - .offset:         3216
        .size:           8
        .value_kind:     hidden_global_offset_z
      - .offset:         3224
        .size:           2
        .value_kind:     hidden_grid_dims
    .group_segment_fixed_size: 0
    .kernarg_segment_align: 8
    .kernarg_segment_size: 3416
    .language:       OpenCL C
    .language_version:
      - 2
      - 0
    .max_flat_workgroup_size: 512
    .name:           _ZN2at6native12_GLOBAL__N_125multi_tensor_apply_kernelINS1_18TensorListMetadataILi2EEENS1_21BinaryOpScalarFunctorIN3c107complexIfEELi2ELi1ELi1EEEJNS1_21reverse_power_functorIS8_EES8_EEEvT_T0_DpT1_
    .private_segment_fixed_size: 16
    .sgpr_count:     64
    .sgpr_spill_count: 0
    .symbol:         _ZN2at6native12_GLOBAL__N_125multi_tensor_apply_kernelINS1_18TensorListMetadataILi2EEENS1_21BinaryOpScalarFunctorIN3c107complexIfEELi2ELi1ELi1EEEJNS1_21reverse_power_functorIS8_EES8_EEEvT_T0_DpT1_.kd
    .uniform_work_group_size: 1
    .uses_dynamic_stack: false
    .vgpr_count:     44
    .vgpr_spill_count: 0
    .wavefront_size: 64
  - .agpr_count:     0
    .args:
      - .offset:         0
        .size:           3144
        .value_kind:     by_value
      - .offset:         3144
        .size:           1
        .value_kind:     by_value
      - .offset:         3145
        .size:           1
        .value_kind:     by_value
      - .offset:         3148
        .size:           4
        .value_kind:     by_value
      - .offset:         3152
        .size:           4
        .value_kind:     hidden_block_count_x
      - .offset:         3156
        .size:           4
        .value_kind:     hidden_block_count_y
      - .offset:         3160
        .size:           4
        .value_kind:     hidden_block_count_z
      - .offset:         3164
        .size:           2
        .value_kind:     hidden_group_size_x
      - .offset:         3166
        .size:           2
        .value_kind:     hidden_group_size_y
      - .offset:         3168
        .size:           2
        .value_kind:     hidden_group_size_z
      - .offset:         3170
        .size:           2
        .value_kind:     hidden_remainder_x
      - .offset:         3172
        .size:           2
        .value_kind:     hidden_remainder_y
      - .offset:         3174
        .size:           2
        .value_kind:     hidden_remainder_z
      - .offset:         3192
        .size:           8
        .value_kind:     hidden_global_offset_x
      - .offset:         3200
        .size:           8
        .value_kind:     hidden_global_offset_y
      - .offset:         3208
        .size:           8
        .value_kind:     hidden_global_offset_z
      - .offset:         3216
        .size:           2
        .value_kind:     hidden_grid_dims
    .group_segment_fixed_size: 0
    .kernarg_segment_align: 8
    .kernarg_segment_size: 3408
    .language:       OpenCL C
    .language_version:
      - 2
      - 0
    .max_flat_workgroup_size: 512
    .name:           _ZN2at6native12_GLOBAL__N_125multi_tensor_apply_kernelINS1_18TensorListMetadataILi2EEENS1_21BinaryOpScalarFunctorIN3c104HalfELi2ELi1ELi1EEEJNS1_21reverse_power_functorIfEEfEEEvT_T0_DpT1_
    .private_segment_fixed_size: 0
    .sgpr_count:     80
    .sgpr_spill_count: 0
    .symbol:         _ZN2at6native12_GLOBAL__N_125multi_tensor_apply_kernelINS1_18TensorListMetadataILi2EEENS1_21BinaryOpScalarFunctorIN3c104HalfELi2ELi1ELi1EEEJNS1_21reverse_power_functorIfEEfEEEvT_T0_DpT1_.kd
    .uniform_work_group_size: 1
    .uses_dynamic_stack: false
    .vgpr_count:     64
    .vgpr_spill_count: 0
    .wavefront_size: 64
  - .agpr_count:     0
    .args:
      - .offset:         0
        .size:           3144
        .value_kind:     by_value
      - .offset:         3144
        .size:           1
        .value_kind:     by_value
      - .offset:         3145
        .size:           1
        .value_kind:     by_value
      - .offset:         3148
        .size:           4
        .value_kind:     by_value
      - .offset:         3152
        .size:           4
        .value_kind:     hidden_block_count_x
      - .offset:         3156
        .size:           4
        .value_kind:     hidden_block_count_y
      - .offset:         3160
        .size:           4
        .value_kind:     hidden_block_count_z
      - .offset:         3164
        .size:           2
        .value_kind:     hidden_group_size_x
      - .offset:         3166
        .size:           2
        .value_kind:     hidden_group_size_y
      - .offset:         3168
        .size:           2
        .value_kind:     hidden_group_size_z
      - .offset:         3170
        .size:           2
        .value_kind:     hidden_remainder_x
      - .offset:         3172
        .size:           2
        .value_kind:     hidden_remainder_y
      - .offset:         3174
        .size:           2
        .value_kind:     hidden_remainder_z
      - .offset:         3192
        .size:           8
        .value_kind:     hidden_global_offset_x
      - .offset:         3200
        .size:           8
        .value_kind:     hidden_global_offset_y
      - .offset:         3208
        .size:           8
        .value_kind:     hidden_global_offset_z
      - .offset:         3216
        .size:           2
        .value_kind:     hidden_grid_dims
    .group_segment_fixed_size: 0
    .kernarg_segment_align: 8
    .kernarg_segment_size: 3408
    .language:       OpenCL C
    .language_version:
      - 2
      - 0
    .max_flat_workgroup_size: 512
    .name:           _ZN2at6native12_GLOBAL__N_125multi_tensor_apply_kernelINS1_18TensorListMetadataILi2EEENS1_21BinaryOpScalarFunctorIN3c108BFloat16ELi2ELi1ELi1EEEJNS1_21reverse_power_functorIfEEfEEEvT_T0_DpT1_
    .private_segment_fixed_size: 0
    .sgpr_count:     80
    .sgpr_spill_count: 0
    .symbol:         _ZN2at6native12_GLOBAL__N_125multi_tensor_apply_kernelINS1_18TensorListMetadataILi2EEENS1_21BinaryOpScalarFunctorIN3c108BFloat16ELi2ELi1ELi1EEEJNS1_21reverse_power_functorIfEEfEEEvT_T0_DpT1_.kd
    .uniform_work_group_size: 1
    .uses_dynamic_stack: false
    .vgpr_count:     60
    .vgpr_spill_count: 0
    .wavefront_size: 64
  - .agpr_count:     0
    .args:
      - .offset:         0
        .size:           3368
        .value_kind:     by_value
      - .offset:         3368
        .size:           1
        .value_kind:     by_value
      - .offset:         3369
        .size:           1
        .value_kind:     by_value
      - .offset:         3370
        .size:           1
        .value_kind:     by_value
      - .offset:         3376
        .size:           4
        .value_kind:     hidden_block_count_x
      - .offset:         3380
        .size:           4
        .value_kind:     hidden_block_count_y
      - .offset:         3384
        .size:           4
        .value_kind:     hidden_block_count_z
      - .offset:         3388
        .size:           2
        .value_kind:     hidden_group_size_x
      - .offset:         3390
        .size:           2
        .value_kind:     hidden_group_size_y
      - .offset:         3392
        .size:           2
        .value_kind:     hidden_group_size_z
      - .offset:         3394
        .size:           2
        .value_kind:     hidden_remainder_x
      - .offset:         3396
        .size:           2
        .value_kind:     hidden_remainder_y
      - .offset:         3398
        .size:           2
        .value_kind:     hidden_remainder_z
      - .offset:         3416
        .size:           8
        .value_kind:     hidden_global_offset_x
      - .offset:         3424
        .size:           8
        .value_kind:     hidden_global_offset_y
      - .offset:         3432
        .size:           8
        .value_kind:     hidden_global_offset_z
      - .offset:         3440
        .size:           2
        .value_kind:     hidden_grid_dims
    .group_segment_fixed_size: 0
    .kernarg_segment_align: 8
    .kernarg_segment_size: 3632
    .language:       OpenCL C
    .language_version:
      - 2
      - 0
    .max_flat_workgroup_size: 512
    .name:           _ZN2at6native12_GLOBAL__N_125multi_tensor_apply_kernelINS1_18TensorListMetadataILi1EEENS1_21BinaryOpScalarFunctorIhLi1ELi1ELi0EEEJSt5minusIhEhEEEvT_T0_DpT1_
    .private_segment_fixed_size: 0
    .sgpr_count:     29
    .sgpr_spill_count: 0
    .symbol:         _ZN2at6native12_GLOBAL__N_125multi_tensor_apply_kernelINS1_18TensorListMetadataILi1EEENS1_21BinaryOpScalarFunctorIhLi1ELi1ELi0EEEJSt5minusIhEhEEEvT_T0_DpT1_.kd
    .uniform_work_group_size: 1
    .uses_dynamic_stack: false
    .vgpr_count:     30
    .vgpr_spill_count: 0
    .wavefront_size: 64
  - .agpr_count:     0
    .args:
      - .offset:         0
        .size:           3368
        .value_kind:     by_value
      - .offset:         3368
        .size:           1
        .value_kind:     by_value
      - .offset:         3369
        .size:           1
        .value_kind:     by_value
      - .offset:         3370
        .size:           1
        .value_kind:     by_value
      - .offset:         3376
        .size:           4
        .value_kind:     hidden_block_count_x
      - .offset:         3380
        .size:           4
        .value_kind:     hidden_block_count_y
      - .offset:         3384
        .size:           4
        .value_kind:     hidden_block_count_z
      - .offset:         3388
        .size:           2
        .value_kind:     hidden_group_size_x
      - .offset:         3390
        .size:           2
        .value_kind:     hidden_group_size_y
      - .offset:         3392
        .size:           2
        .value_kind:     hidden_group_size_z
      - .offset:         3394
        .size:           2
        .value_kind:     hidden_remainder_x
      - .offset:         3396
        .size:           2
        .value_kind:     hidden_remainder_y
      - .offset:         3398
        .size:           2
        .value_kind:     hidden_remainder_z
      - .offset:         3416
        .size:           8
        .value_kind:     hidden_global_offset_x
      - .offset:         3424
        .size:           8
        .value_kind:     hidden_global_offset_y
      - .offset:         3432
        .size:           8
        .value_kind:     hidden_global_offset_z
      - .offset:         3440
        .size:           2
        .value_kind:     hidden_grid_dims
    .group_segment_fixed_size: 0
    .kernarg_segment_align: 8
    .kernarg_segment_size: 3632
    .language:       OpenCL C
    .language_version:
      - 2
      - 0
    .max_flat_workgroup_size: 512
    .name:           _ZN2at6native12_GLOBAL__N_125multi_tensor_apply_kernelINS1_18TensorListMetadataILi1EEENS1_21BinaryOpScalarFunctorIaLi1ELi1ELi0EEEJSt5minusIaEaEEEvT_T0_DpT1_
    .private_segment_fixed_size: 0
    .sgpr_count:     29
    .sgpr_spill_count: 0
    .symbol:         _ZN2at6native12_GLOBAL__N_125multi_tensor_apply_kernelINS1_18TensorListMetadataILi1EEENS1_21BinaryOpScalarFunctorIaLi1ELi1ELi0EEEJSt5minusIaEaEEEvT_T0_DpT1_.kd
    .uniform_work_group_size: 1
    .uses_dynamic_stack: false
    .vgpr_count:     30
    .vgpr_spill_count: 0
    .wavefront_size: 64
  - .agpr_count:     0
    .args:
      - .offset:         0
        .size:           3368
        .value_kind:     by_value
      - .offset:         3368
        .size:           1
        .value_kind:     by_value
      - .offset:         3369
        .size:           1
        .value_kind:     by_value
      - .offset:         3372
        .size:           4
        .value_kind:     by_value
      - .offset:         3376
        .size:           4
        .value_kind:     hidden_block_count_x
      - .offset:         3380
        .size:           4
        .value_kind:     hidden_block_count_y
      - .offset:         3384
        .size:           4
        .value_kind:     hidden_block_count_z
      - .offset:         3388
        .size:           2
        .value_kind:     hidden_group_size_x
      - .offset:         3390
        .size:           2
        .value_kind:     hidden_group_size_y
      - .offset:         3392
        .size:           2
        .value_kind:     hidden_group_size_z
      - .offset:         3394
        .size:           2
        .value_kind:     hidden_remainder_x
      - .offset:         3396
        .size:           2
        .value_kind:     hidden_remainder_y
      - .offset:         3398
        .size:           2
        .value_kind:     hidden_remainder_z
      - .offset:         3416
        .size:           8
        .value_kind:     hidden_global_offset_x
      - .offset:         3424
        .size:           8
        .value_kind:     hidden_global_offset_y
      - .offset:         3432
        .size:           8
        .value_kind:     hidden_global_offset_z
      - .offset:         3440
        .size:           2
        .value_kind:     hidden_grid_dims
    .group_segment_fixed_size: 0
    .kernarg_segment_align: 8
    .kernarg_segment_size: 3632
    .language:       OpenCL C
    .language_version:
      - 2
      - 0
    .max_flat_workgroup_size: 512
    .name:           _ZN2at6native12_GLOBAL__N_125multi_tensor_apply_kernelINS1_18TensorListMetadataILi1EEENS1_21BinaryOpScalarFunctorIiLi1ELi1ELi0EEEJSt5minusIiEiEEEvT_T0_DpT1_
    .private_segment_fixed_size: 0
    .sgpr_count:     34
    .sgpr_spill_count: 0
    .symbol:         _ZN2at6native12_GLOBAL__N_125multi_tensor_apply_kernelINS1_18TensorListMetadataILi1EEENS1_21BinaryOpScalarFunctorIiLi1ELi1ELi0EEEJSt5minusIiEiEEEvT_T0_DpT1_.kd
    .uniform_work_group_size: 1
    .uses_dynamic_stack: false
    .vgpr_count:     22
    .vgpr_spill_count: 0
    .wavefront_size: 64
  - .agpr_count:     0
    .args:
      - .offset:         0
        .size:           3368
        .value_kind:     by_value
      - .offset:         3368
        .size:           1
        .value_kind:     by_value
      - .offset:         3369
        .size:           1
        .value_kind:     by_value
      - .offset:         3376
        .size:           8
        .value_kind:     by_value
      - .offset:         3384
        .size:           4
        .value_kind:     hidden_block_count_x
      - .offset:         3388
        .size:           4
        .value_kind:     hidden_block_count_y
      - .offset:         3392
        .size:           4
        .value_kind:     hidden_block_count_z
      - .offset:         3396
        .size:           2
        .value_kind:     hidden_group_size_x
      - .offset:         3398
        .size:           2
        .value_kind:     hidden_group_size_y
      - .offset:         3400
        .size:           2
        .value_kind:     hidden_group_size_z
      - .offset:         3402
        .size:           2
        .value_kind:     hidden_remainder_x
      - .offset:         3404
        .size:           2
        .value_kind:     hidden_remainder_y
      - .offset:         3406
        .size:           2
        .value_kind:     hidden_remainder_z
      - .offset:         3424
        .size:           8
        .value_kind:     hidden_global_offset_x
      - .offset:         3432
        .size:           8
        .value_kind:     hidden_global_offset_y
      - .offset:         3440
        .size:           8
        .value_kind:     hidden_global_offset_z
      - .offset:         3448
        .size:           2
        .value_kind:     hidden_grid_dims
    .group_segment_fixed_size: 0
    .kernarg_segment_align: 8
    .kernarg_segment_size: 3640
    .language:       OpenCL C
    .language_version:
      - 2
      - 0
    .max_flat_workgroup_size: 512
    .name:           _ZN2at6native12_GLOBAL__N_125multi_tensor_apply_kernelINS1_18TensorListMetadataILi1EEENS1_21BinaryOpScalarFunctorIlLi1ELi1ELi0EEEJSt5minusIlElEEEvT_T0_DpT1_
    .private_segment_fixed_size: 0
    .sgpr_count:     35
    .sgpr_spill_count: 0
    .symbol:         _ZN2at6native12_GLOBAL__N_125multi_tensor_apply_kernelINS1_18TensorListMetadataILi1EEENS1_21BinaryOpScalarFunctorIlLi1ELi1ELi0EEEJSt5minusIlElEEEvT_T0_DpT1_.kd
    .uniform_work_group_size: 1
    .uses_dynamic_stack: false
    .vgpr_count:     27
    .vgpr_spill_count: 0
    .wavefront_size: 64
  - .agpr_count:     0
    .args:
      - .offset:         0
        .size:           3368
        .value_kind:     by_value
      - .offset:         3368
        .size:           1
        .value_kind:     by_value
      - .offset:         3369
        .size:           1
        .value_kind:     by_value
      - .offset:         3370
        .size:           2
        .value_kind:     by_value
      - .offset:         3376
        .size:           4
        .value_kind:     hidden_block_count_x
      - .offset:         3380
        .size:           4
        .value_kind:     hidden_block_count_y
      - .offset:         3384
        .size:           4
        .value_kind:     hidden_block_count_z
      - .offset:         3388
        .size:           2
        .value_kind:     hidden_group_size_x
      - .offset:         3390
        .size:           2
        .value_kind:     hidden_group_size_y
      - .offset:         3392
        .size:           2
        .value_kind:     hidden_group_size_z
      - .offset:         3394
        .size:           2
        .value_kind:     hidden_remainder_x
      - .offset:         3396
        .size:           2
        .value_kind:     hidden_remainder_y
      - .offset:         3398
        .size:           2
        .value_kind:     hidden_remainder_z
      - .offset:         3416
        .size:           8
        .value_kind:     hidden_global_offset_x
      - .offset:         3424
        .size:           8
        .value_kind:     hidden_global_offset_y
      - .offset:         3432
        .size:           8
        .value_kind:     hidden_global_offset_z
      - .offset:         3440
        .size:           2
        .value_kind:     hidden_grid_dims
    .group_segment_fixed_size: 0
    .kernarg_segment_align: 8
    .kernarg_segment_size: 3632
    .language:       OpenCL C
    .language_version:
      - 2
      - 0
    .max_flat_workgroup_size: 512
    .name:           _ZN2at6native12_GLOBAL__N_125multi_tensor_apply_kernelINS1_18TensorListMetadataILi1EEENS1_21BinaryOpScalarFunctorIsLi1ELi1ELi0EEEJSt5minusIsEsEEEvT_T0_DpT1_
    .private_segment_fixed_size: 0
    .sgpr_count:     33
    .sgpr_spill_count: 0
    .symbol:         _ZN2at6native12_GLOBAL__N_125multi_tensor_apply_kernelINS1_18TensorListMetadataILi1EEENS1_21BinaryOpScalarFunctorIsLi1ELi1ELi0EEEJSt5minusIsEsEEEvT_T0_DpT1_.kd
    .uniform_work_group_size: 1
    .uses_dynamic_stack: false
    .vgpr_count:     22
    .vgpr_spill_count: 0
    .wavefront_size: 64
  - .agpr_count:     0
    .args:
      - .offset:         0
        .size:           3368
        .value_kind:     by_value
      - .offset:         3368
        .size:           1
        .value_kind:     by_value
      - .offset:         3369
        .size:           1
        .value_kind:     by_value
      - .offset:         3376
        .size:           8
        .value_kind:     by_value
      - .offset:         3384
        .size:           4
        .value_kind:     hidden_block_count_x
      - .offset:         3388
        .size:           4
        .value_kind:     hidden_block_count_y
      - .offset:         3392
        .size:           4
        .value_kind:     hidden_block_count_z
      - .offset:         3396
        .size:           2
        .value_kind:     hidden_group_size_x
      - .offset:         3398
        .size:           2
        .value_kind:     hidden_group_size_y
      - .offset:         3400
        .size:           2
        .value_kind:     hidden_group_size_z
      - .offset:         3402
        .size:           2
        .value_kind:     hidden_remainder_x
      - .offset:         3404
        .size:           2
        .value_kind:     hidden_remainder_y
      - .offset:         3406
        .size:           2
        .value_kind:     hidden_remainder_z
      - .offset:         3424
        .size:           8
        .value_kind:     hidden_global_offset_x
      - .offset:         3432
        .size:           8
        .value_kind:     hidden_global_offset_y
      - .offset:         3440
        .size:           8
        .value_kind:     hidden_global_offset_z
      - .offset:         3448
        .size:           2
        .value_kind:     hidden_grid_dims
    .group_segment_fixed_size: 0
    .kernarg_segment_align: 8
    .kernarg_segment_size: 3640
    .language:       OpenCL C
    .language_version:
      - 2
      - 0
    .max_flat_workgroup_size: 512
    .name:           _ZN2at6native12_GLOBAL__N_125multi_tensor_apply_kernelINS1_18TensorListMetadataILi1EEENS1_21BinaryOpScalarFunctorIdLi1ELi1ELi0EEEJSt5minusIdEdEEEvT_T0_DpT1_
    .private_segment_fixed_size: 0
    .sgpr_count:     35
    .sgpr_spill_count: 0
    .symbol:         _ZN2at6native12_GLOBAL__N_125multi_tensor_apply_kernelINS1_18TensorListMetadataILi1EEENS1_21BinaryOpScalarFunctorIdLi1ELi1ELi0EEEJSt5minusIdEdEEEvT_T0_DpT1_.kd
    .uniform_work_group_size: 1
    .uses_dynamic_stack: false
    .vgpr_count:     26
    .vgpr_spill_count: 0
    .wavefront_size: 64
  - .agpr_count:     0
    .args:
      - .offset:         0
        .size:           3368
        .value_kind:     by_value
      - .offset:         3368
        .size:           1
        .value_kind:     by_value
      - .offset:         3369
        .size:           1
        .value_kind:     by_value
      - .offset:         3372
        .size:           4
        .value_kind:     by_value
      - .offset:         3376
        .size:           4
        .value_kind:     hidden_block_count_x
      - .offset:         3380
        .size:           4
        .value_kind:     hidden_block_count_y
      - .offset:         3384
        .size:           4
        .value_kind:     hidden_block_count_z
      - .offset:         3388
        .size:           2
        .value_kind:     hidden_group_size_x
      - .offset:         3390
        .size:           2
        .value_kind:     hidden_group_size_y
      - .offset:         3392
        .size:           2
        .value_kind:     hidden_group_size_z
      - .offset:         3394
        .size:           2
        .value_kind:     hidden_remainder_x
      - .offset:         3396
        .size:           2
        .value_kind:     hidden_remainder_y
      - .offset:         3398
        .size:           2
        .value_kind:     hidden_remainder_z
      - .offset:         3416
        .size:           8
        .value_kind:     hidden_global_offset_x
      - .offset:         3424
        .size:           8
        .value_kind:     hidden_global_offset_y
      - .offset:         3432
        .size:           8
        .value_kind:     hidden_global_offset_z
      - .offset:         3440
        .size:           2
        .value_kind:     hidden_grid_dims
    .group_segment_fixed_size: 0
    .kernarg_segment_align: 8
    .kernarg_segment_size: 3632
    .language:       OpenCL C
    .language_version:
      - 2
      - 0
    .max_flat_workgroup_size: 512
    .name:           _ZN2at6native12_GLOBAL__N_125multi_tensor_apply_kernelINS1_18TensorListMetadataILi1EEENS1_21BinaryOpScalarFunctorIfLi1ELi1ELi0EEEJSt5minusIfEfEEEvT_T0_DpT1_
    .private_segment_fixed_size: 0
    .sgpr_count:     34
    .sgpr_spill_count: 0
    .symbol:         _ZN2at6native12_GLOBAL__N_125multi_tensor_apply_kernelINS1_18TensorListMetadataILi1EEENS1_21BinaryOpScalarFunctorIfLi1ELi1ELi0EEEJSt5minusIfEfEEEvT_T0_DpT1_.kd
    .uniform_work_group_size: 1
    .uses_dynamic_stack: false
    .vgpr_count:     22
    .vgpr_spill_count: 0
    .wavefront_size: 64
  - .agpr_count:     0
    .args:
      - .offset:         0
        .size:           3368
        .value_kind:     by_value
      - .offset:         3368
        .size:           1
        .value_kind:     by_value
      - .offset:         3369
        .size:           1
        .value_kind:     by_value
      - .offset:         3376
        .size:           16
        .value_kind:     by_value
      - .offset:         3392
        .size:           4
        .value_kind:     hidden_block_count_x
      - .offset:         3396
        .size:           4
        .value_kind:     hidden_block_count_y
      - .offset:         3400
        .size:           4
        .value_kind:     hidden_block_count_z
      - .offset:         3404
        .size:           2
        .value_kind:     hidden_group_size_x
      - .offset:         3406
        .size:           2
        .value_kind:     hidden_group_size_y
      - .offset:         3408
        .size:           2
        .value_kind:     hidden_group_size_z
      - .offset:         3410
        .size:           2
        .value_kind:     hidden_remainder_x
      - .offset:         3412
        .size:           2
        .value_kind:     hidden_remainder_y
      - .offset:         3414
        .size:           2
        .value_kind:     hidden_remainder_z
      - .offset:         3432
        .size:           8
        .value_kind:     hidden_global_offset_x
      - .offset:         3440
        .size:           8
        .value_kind:     hidden_global_offset_y
      - .offset:         3448
        .size:           8
        .value_kind:     hidden_global_offset_z
      - .offset:         3456
        .size:           2
        .value_kind:     hidden_grid_dims
    .group_segment_fixed_size: 0
    .kernarg_segment_align: 16
    .kernarg_segment_size: 3648
    .language:       OpenCL C
    .language_version:
      - 2
      - 0
    .max_flat_workgroup_size: 512
    .name:           _ZN2at6native12_GLOBAL__N_125multi_tensor_apply_kernelINS1_18TensorListMetadataILi1EEENS1_21BinaryOpScalarFunctorIN3c107complexIdEELi1ELi1ELi0EEEJSt5minusIS8_ES8_EEEvT_T0_DpT1_
    .private_segment_fixed_size: 0
    .sgpr_count:     36
    .sgpr_spill_count: 0
    .symbol:         _ZN2at6native12_GLOBAL__N_125multi_tensor_apply_kernelINS1_18TensorListMetadataILi1EEENS1_21BinaryOpScalarFunctorIN3c107complexIdEELi1ELi1ELi0EEEJSt5minusIS8_ES8_EEEvT_T0_DpT1_.kd
    .uniform_work_group_size: 1
    .uses_dynamic_stack: false
    .vgpr_count:     40
    .vgpr_spill_count: 0
    .wavefront_size: 64
  - .agpr_count:     0
    .args:
      - .offset:         0
        .size:           3368
        .value_kind:     by_value
      - .offset:         3368
        .size:           1
        .value_kind:     by_value
      - .offset:         3369
        .size:           1
        .value_kind:     by_value
      - .offset:         3376
        .size:           8
        .value_kind:     by_value
      - .offset:         3384
        .size:           4
        .value_kind:     hidden_block_count_x
      - .offset:         3388
        .size:           4
        .value_kind:     hidden_block_count_y
      - .offset:         3392
        .size:           4
        .value_kind:     hidden_block_count_z
      - .offset:         3396
        .size:           2
        .value_kind:     hidden_group_size_x
      - .offset:         3398
        .size:           2
        .value_kind:     hidden_group_size_y
      - .offset:         3400
        .size:           2
        .value_kind:     hidden_group_size_z
      - .offset:         3402
        .size:           2
        .value_kind:     hidden_remainder_x
      - .offset:         3404
        .size:           2
        .value_kind:     hidden_remainder_y
      - .offset:         3406
        .size:           2
        .value_kind:     hidden_remainder_z
      - .offset:         3424
        .size:           8
        .value_kind:     hidden_global_offset_x
      - .offset:         3432
        .size:           8
        .value_kind:     hidden_global_offset_y
      - .offset:         3440
        .size:           8
        .value_kind:     hidden_global_offset_z
      - .offset:         3448
        .size:           2
        .value_kind:     hidden_grid_dims
    .group_segment_fixed_size: 0
    .kernarg_segment_align: 8
    .kernarg_segment_size: 3640
    .language:       OpenCL C
    .language_version:
      - 2
      - 0
    .max_flat_workgroup_size: 512
    .name:           _ZN2at6native12_GLOBAL__N_125multi_tensor_apply_kernelINS1_18TensorListMetadataILi1EEENS1_21BinaryOpScalarFunctorIN3c107complexIfEELi1ELi1ELi0EEEJSt5minusIS8_ES8_EEEvT_T0_DpT1_
    .private_segment_fixed_size: 16
    .sgpr_count:     34
    .sgpr_spill_count: 0
    .symbol:         _ZN2at6native12_GLOBAL__N_125multi_tensor_apply_kernelINS1_18TensorListMetadataILi1EEENS1_21BinaryOpScalarFunctorIN3c107complexIfEELi1ELi1ELi0EEEJSt5minusIS8_ES8_EEEvT_T0_DpT1_.kd
    .uniform_work_group_size: 1
    .uses_dynamic_stack: false
    .vgpr_count:     38
    .vgpr_spill_count: 0
    .wavefront_size: 64
  - .agpr_count:     0
    .args:
      - .offset:         0
        .size:           3368
        .value_kind:     by_value
      - .offset:         3368
        .size:           1
        .value_kind:     by_value
      - .offset:         3369
        .size:           1
        .value_kind:     by_value
      - .offset:         3370
        .size:           1
        .value_kind:     by_value
      - .offset:         3376
        .size:           4
        .value_kind:     hidden_block_count_x
      - .offset:         3380
        .size:           4
        .value_kind:     hidden_block_count_y
      - .offset:         3384
        .size:           4
        .value_kind:     hidden_block_count_z
      - .offset:         3388
        .size:           2
        .value_kind:     hidden_group_size_x
      - .offset:         3390
        .size:           2
        .value_kind:     hidden_group_size_y
      - .offset:         3392
        .size:           2
        .value_kind:     hidden_group_size_z
      - .offset:         3394
        .size:           2
        .value_kind:     hidden_remainder_x
      - .offset:         3396
        .size:           2
        .value_kind:     hidden_remainder_y
      - .offset:         3398
        .size:           2
        .value_kind:     hidden_remainder_z
      - .offset:         3416
        .size:           8
        .value_kind:     hidden_global_offset_x
      - .offset:         3424
        .size:           8
        .value_kind:     hidden_global_offset_y
      - .offset:         3432
        .size:           8
        .value_kind:     hidden_global_offset_z
      - .offset:         3440
        .size:           2
        .value_kind:     hidden_grid_dims
    .group_segment_fixed_size: 0
    .kernarg_segment_align: 8
    .kernarg_segment_size: 3632
    .language:       OpenCL C
    .language_version:
      - 2
      - 0
    .max_flat_workgroup_size: 512
    .name:           _ZN2at6native12_GLOBAL__N_125multi_tensor_apply_kernelINS1_18TensorListMetadataILi1EEENS1_21BinaryOpScalarFunctorIbLi1ELi1ELi0EEEJSt5minusIbEbEEEvT_T0_DpT1_
    .private_segment_fixed_size: 0
    .sgpr_count:     38
    .sgpr_spill_count: 0
    .symbol:         _ZN2at6native12_GLOBAL__N_125multi_tensor_apply_kernelINS1_18TensorListMetadataILi1EEENS1_21BinaryOpScalarFunctorIbLi1ELi1ELi0EEEJSt5minusIbEbEEEvT_T0_DpT1_.kd
    .uniform_work_group_size: 1
    .uses_dynamic_stack: false
    .vgpr_count:     28
    .vgpr_spill_count: 0
    .wavefront_size: 64
  - .agpr_count:     0
    .args:
      - .offset:         0
        .size:           3368
        .value_kind:     by_value
      - .offset:         3368
        .size:           1
        .value_kind:     by_value
      - .offset:         3369
        .size:           1
        .value_kind:     by_value
      - .offset:         3372
        .size:           4
        .value_kind:     by_value
      - .offset:         3376
        .size:           4
        .value_kind:     hidden_block_count_x
      - .offset:         3380
        .size:           4
        .value_kind:     hidden_block_count_y
      - .offset:         3384
        .size:           4
        .value_kind:     hidden_block_count_z
      - .offset:         3388
        .size:           2
        .value_kind:     hidden_group_size_x
      - .offset:         3390
        .size:           2
        .value_kind:     hidden_group_size_y
      - .offset:         3392
        .size:           2
        .value_kind:     hidden_group_size_z
      - .offset:         3394
        .size:           2
        .value_kind:     hidden_remainder_x
      - .offset:         3396
        .size:           2
        .value_kind:     hidden_remainder_y
      - .offset:         3398
        .size:           2
        .value_kind:     hidden_remainder_z
      - .offset:         3416
        .size:           8
        .value_kind:     hidden_global_offset_x
      - .offset:         3424
        .size:           8
        .value_kind:     hidden_global_offset_y
      - .offset:         3432
        .size:           8
        .value_kind:     hidden_global_offset_z
      - .offset:         3440
        .size:           2
        .value_kind:     hidden_grid_dims
    .group_segment_fixed_size: 0
    .kernarg_segment_align: 8
    .kernarg_segment_size: 3632
    .language:       OpenCL C
    .language_version:
      - 2
      - 0
    .max_flat_workgroup_size: 512
    .name:           _ZN2at6native12_GLOBAL__N_125multi_tensor_apply_kernelINS1_18TensorListMetadataILi1EEENS1_21BinaryOpScalarFunctorIN3c104HalfELi1ELi1ELi0EEEJSt5minusIfEfEEEvT_T0_DpT1_
    .private_segment_fixed_size: 0
    .sgpr_count:     33
    .sgpr_spill_count: 0
    .symbol:         _ZN2at6native12_GLOBAL__N_125multi_tensor_apply_kernelINS1_18TensorListMetadataILi1EEENS1_21BinaryOpScalarFunctorIN3c104HalfELi1ELi1ELi0EEEJSt5minusIfEfEEEvT_T0_DpT1_.kd
    .uniform_work_group_size: 1
    .uses_dynamic_stack: false
    .vgpr_count:     22
    .vgpr_spill_count: 0
    .wavefront_size: 64
  - .agpr_count:     0
    .args:
      - .offset:         0
        .size:           3368
        .value_kind:     by_value
      - .offset:         3368
        .size:           1
        .value_kind:     by_value
      - .offset:         3369
        .size:           1
        .value_kind:     by_value
      - .offset:         3372
        .size:           4
        .value_kind:     by_value
      - .offset:         3376
        .size:           4
        .value_kind:     hidden_block_count_x
      - .offset:         3380
        .size:           4
        .value_kind:     hidden_block_count_y
      - .offset:         3384
        .size:           4
        .value_kind:     hidden_block_count_z
      - .offset:         3388
        .size:           2
        .value_kind:     hidden_group_size_x
      - .offset:         3390
        .size:           2
        .value_kind:     hidden_group_size_y
      - .offset:         3392
        .size:           2
        .value_kind:     hidden_group_size_z
      - .offset:         3394
        .size:           2
        .value_kind:     hidden_remainder_x
      - .offset:         3396
        .size:           2
        .value_kind:     hidden_remainder_y
      - .offset:         3398
        .size:           2
        .value_kind:     hidden_remainder_z
      - .offset:         3416
        .size:           8
        .value_kind:     hidden_global_offset_x
      - .offset:         3424
        .size:           8
        .value_kind:     hidden_global_offset_y
      - .offset:         3432
        .size:           8
        .value_kind:     hidden_global_offset_z
      - .offset:         3440
        .size:           2
        .value_kind:     hidden_grid_dims
    .group_segment_fixed_size: 0
    .kernarg_segment_align: 8
    .kernarg_segment_size: 3632
    .language:       OpenCL C
    .language_version:
      - 2
      - 0
    .max_flat_workgroup_size: 512
    .name:           _ZN2at6native12_GLOBAL__N_125multi_tensor_apply_kernelINS1_18TensorListMetadataILi1EEENS1_21BinaryOpScalarFunctorIN3c108BFloat16ELi1ELi1ELi0EEEJSt5minusIfEfEEEvT_T0_DpT1_
    .private_segment_fixed_size: 0
    .sgpr_count:     34
    .sgpr_spill_count: 0
    .symbol:         _ZN2at6native12_GLOBAL__N_125multi_tensor_apply_kernelINS1_18TensorListMetadataILi1EEENS1_21BinaryOpScalarFunctorIN3c108BFloat16ELi1ELi1ELi0EEEJSt5minusIfEfEEEvT_T0_DpT1_.kd
    .uniform_work_group_size: 1
    .uses_dynamic_stack: false
    .vgpr_count:     24
    .vgpr_spill_count: 0
    .wavefront_size: 64
  - .agpr_count:     0
    .args:
      - .offset:         0
        .size:           3144
        .value_kind:     by_value
      - .offset:         3144
        .size:           1
        .value_kind:     by_value
      - .offset:         3145
        .size:           1
        .value_kind:     by_value
      - .offset:         3146
        .size:           1
        .value_kind:     by_value
      - .offset:         3152
        .size:           4
        .value_kind:     hidden_block_count_x
      - .offset:         3156
        .size:           4
        .value_kind:     hidden_block_count_y
      - .offset:         3160
        .size:           4
        .value_kind:     hidden_block_count_z
      - .offset:         3164
        .size:           2
        .value_kind:     hidden_group_size_x
      - .offset:         3166
        .size:           2
        .value_kind:     hidden_group_size_y
      - .offset:         3168
        .size:           2
        .value_kind:     hidden_group_size_z
      - .offset:         3170
        .size:           2
        .value_kind:     hidden_remainder_x
      - .offset:         3172
        .size:           2
        .value_kind:     hidden_remainder_y
      - .offset:         3174
        .size:           2
        .value_kind:     hidden_remainder_z
      - .offset:         3192
        .size:           8
        .value_kind:     hidden_global_offset_x
      - .offset:         3200
        .size:           8
        .value_kind:     hidden_global_offset_y
      - .offset:         3208
        .size:           8
        .value_kind:     hidden_global_offset_z
      - .offset:         3216
        .size:           2
        .value_kind:     hidden_grid_dims
    .group_segment_fixed_size: 0
    .kernarg_segment_align: 8
    .kernarg_segment_size: 3408
    .language:       OpenCL C
    .language_version:
      - 2
      - 0
    .max_flat_workgroup_size: 512
    .name:           _ZN2at6native12_GLOBAL__N_125multi_tensor_apply_kernelINS1_18TensorListMetadataILi2EEENS1_21BinaryOpScalarFunctorIhLi2ELi1ELi1EEEJSt5minusIhEhEEEvT_T0_DpT1_
    .private_segment_fixed_size: 0
    .sgpr_count:     31
    .sgpr_spill_count: 0
    .symbol:         _ZN2at6native12_GLOBAL__N_125multi_tensor_apply_kernelINS1_18TensorListMetadataILi2EEENS1_21BinaryOpScalarFunctorIhLi2ELi1ELi1EEEJSt5minusIhEhEEEvT_T0_DpT1_.kd
    .uniform_work_group_size: 1
    .uses_dynamic_stack: false
    .vgpr_count:     32
    .vgpr_spill_count: 0
    .wavefront_size: 64
  - .agpr_count:     0
    .args:
      - .offset:         0
        .size:           3144
        .value_kind:     by_value
      - .offset:         3144
        .size:           1
        .value_kind:     by_value
      - .offset:         3145
        .size:           1
        .value_kind:     by_value
      - .offset:         3146
        .size:           1
        .value_kind:     by_value
      - .offset:         3152
        .size:           4
        .value_kind:     hidden_block_count_x
      - .offset:         3156
        .size:           4
        .value_kind:     hidden_block_count_y
      - .offset:         3160
        .size:           4
        .value_kind:     hidden_block_count_z
      - .offset:         3164
        .size:           2
        .value_kind:     hidden_group_size_x
      - .offset:         3166
        .size:           2
        .value_kind:     hidden_group_size_y
      - .offset:         3168
        .size:           2
        .value_kind:     hidden_group_size_z
      - .offset:         3170
        .size:           2
        .value_kind:     hidden_remainder_x
      - .offset:         3172
        .size:           2
        .value_kind:     hidden_remainder_y
      - .offset:         3174
        .size:           2
        .value_kind:     hidden_remainder_z
      - .offset:         3192
        .size:           8
        .value_kind:     hidden_global_offset_x
      - .offset:         3200
        .size:           8
        .value_kind:     hidden_global_offset_y
      - .offset:         3208
        .size:           8
        .value_kind:     hidden_global_offset_z
      - .offset:         3216
        .size:           2
        .value_kind:     hidden_grid_dims
    .group_segment_fixed_size: 0
    .kernarg_segment_align: 8
    .kernarg_segment_size: 3408
    .language:       OpenCL C
    .language_version:
      - 2
      - 0
    .max_flat_workgroup_size: 512
    .name:           _ZN2at6native12_GLOBAL__N_125multi_tensor_apply_kernelINS1_18TensorListMetadataILi2EEENS1_21BinaryOpScalarFunctorIaLi2ELi1ELi1EEEJSt5minusIaEaEEEvT_T0_DpT1_
    .private_segment_fixed_size: 0
    .sgpr_count:     31
    .sgpr_spill_count: 0
    .symbol:         _ZN2at6native12_GLOBAL__N_125multi_tensor_apply_kernelINS1_18TensorListMetadataILi2EEENS1_21BinaryOpScalarFunctorIaLi2ELi1ELi1EEEJSt5minusIaEaEEEvT_T0_DpT1_.kd
    .uniform_work_group_size: 1
    .uses_dynamic_stack: false
    .vgpr_count:     32
    .vgpr_spill_count: 0
    .wavefront_size: 64
  - .agpr_count:     0
    .args:
      - .offset:         0
        .size:           3144
        .value_kind:     by_value
      - .offset:         3144
        .size:           1
        .value_kind:     by_value
      - .offset:         3145
        .size:           1
        .value_kind:     by_value
      - .offset:         3148
        .size:           4
        .value_kind:     by_value
      - .offset:         3152
        .size:           4
        .value_kind:     hidden_block_count_x
      - .offset:         3156
        .size:           4
        .value_kind:     hidden_block_count_y
      - .offset:         3160
        .size:           4
        .value_kind:     hidden_block_count_z
      - .offset:         3164
        .size:           2
        .value_kind:     hidden_group_size_x
      - .offset:         3166
        .size:           2
        .value_kind:     hidden_group_size_y
      - .offset:         3168
        .size:           2
        .value_kind:     hidden_group_size_z
      - .offset:         3170
        .size:           2
        .value_kind:     hidden_remainder_x
      - .offset:         3172
        .size:           2
        .value_kind:     hidden_remainder_y
      - .offset:         3174
        .size:           2
        .value_kind:     hidden_remainder_z
      - .offset:         3192
        .size:           8
        .value_kind:     hidden_global_offset_x
      - .offset:         3200
        .size:           8
        .value_kind:     hidden_global_offset_y
      - .offset:         3208
        .size:           8
        .value_kind:     hidden_global_offset_z
      - .offset:         3216
        .size:           2
        .value_kind:     hidden_grid_dims
    .group_segment_fixed_size: 0
    .kernarg_segment_align: 8
    .kernarg_segment_size: 3408
    .language:       OpenCL C
    .language_version:
      - 2
      - 0
    .max_flat_workgroup_size: 512
    .name:           _ZN2at6native12_GLOBAL__N_125multi_tensor_apply_kernelINS1_18TensorListMetadataILi2EEENS1_21BinaryOpScalarFunctorIiLi2ELi1ELi1EEEJSt5minusIiEiEEEvT_T0_DpT1_
    .private_segment_fixed_size: 0
    .sgpr_count:     32
    .sgpr_spill_count: 0
    .symbol:         _ZN2at6native12_GLOBAL__N_125multi_tensor_apply_kernelINS1_18TensorListMetadataILi2EEENS1_21BinaryOpScalarFunctorIiLi2ELi1ELi1EEEJSt5minusIiEiEEEvT_T0_DpT1_.kd
    .uniform_work_group_size: 1
    .uses_dynamic_stack: false
    .vgpr_count:     32
    .vgpr_spill_count: 0
    .wavefront_size: 64
  - .agpr_count:     0
    .args:
      - .offset:         0
        .size:           3144
        .value_kind:     by_value
      - .offset:         3144
        .size:           1
        .value_kind:     by_value
      - .offset:         3145
        .size:           1
        .value_kind:     by_value
      - .offset:         3152
        .size:           8
        .value_kind:     by_value
      - .offset:         3160
        .size:           4
        .value_kind:     hidden_block_count_x
      - .offset:         3164
        .size:           4
        .value_kind:     hidden_block_count_y
      - .offset:         3168
        .size:           4
        .value_kind:     hidden_block_count_z
      - .offset:         3172
        .size:           2
        .value_kind:     hidden_group_size_x
      - .offset:         3174
        .size:           2
        .value_kind:     hidden_group_size_y
      - .offset:         3176
        .size:           2
        .value_kind:     hidden_group_size_z
      - .offset:         3178
        .size:           2
        .value_kind:     hidden_remainder_x
      - .offset:         3180
        .size:           2
        .value_kind:     hidden_remainder_y
      - .offset:         3182
        .size:           2
        .value_kind:     hidden_remainder_z
      - .offset:         3200
        .size:           8
        .value_kind:     hidden_global_offset_x
      - .offset:         3208
        .size:           8
        .value_kind:     hidden_global_offset_y
      - .offset:         3216
        .size:           8
        .value_kind:     hidden_global_offset_z
      - .offset:         3224
        .size:           2
        .value_kind:     hidden_grid_dims
    .group_segment_fixed_size: 0
    .kernarg_segment_align: 8
    .kernarg_segment_size: 3416
    .language:       OpenCL C
    .language_version:
      - 2
      - 0
    .max_flat_workgroup_size: 512
    .name:           _ZN2at6native12_GLOBAL__N_125multi_tensor_apply_kernelINS1_18TensorListMetadataILi2EEENS1_21BinaryOpScalarFunctorIlLi2ELi1ELi1EEEJSt5minusIlElEEEvT_T0_DpT1_
    .private_segment_fixed_size: 0
    .sgpr_count:     35
    .sgpr_spill_count: 0
    .symbol:         _ZN2at6native12_GLOBAL__N_125multi_tensor_apply_kernelINS1_18TensorListMetadataILi2EEENS1_21BinaryOpScalarFunctorIlLi2ELi1ELi1EEEJSt5minusIlElEEEvT_T0_DpT1_.kd
    .uniform_work_group_size: 1
    .uses_dynamic_stack: false
    .vgpr_count:     34
    .vgpr_spill_count: 0
    .wavefront_size: 64
  - .agpr_count:     0
    .args:
      - .offset:         0
        .size:           3144
        .value_kind:     by_value
      - .offset:         3144
        .size:           1
        .value_kind:     by_value
      - .offset:         3145
        .size:           1
        .value_kind:     by_value
      - .offset:         3146
        .size:           2
        .value_kind:     by_value
      - .offset:         3152
        .size:           4
        .value_kind:     hidden_block_count_x
      - .offset:         3156
        .size:           4
        .value_kind:     hidden_block_count_y
      - .offset:         3160
        .size:           4
        .value_kind:     hidden_block_count_z
      - .offset:         3164
        .size:           2
        .value_kind:     hidden_group_size_x
      - .offset:         3166
        .size:           2
        .value_kind:     hidden_group_size_y
      - .offset:         3168
        .size:           2
        .value_kind:     hidden_group_size_z
      - .offset:         3170
        .size:           2
        .value_kind:     hidden_remainder_x
      - .offset:         3172
        .size:           2
        .value_kind:     hidden_remainder_y
      - .offset:         3174
        .size:           2
        .value_kind:     hidden_remainder_z
      - .offset:         3192
        .size:           8
        .value_kind:     hidden_global_offset_x
      - .offset:         3200
        .size:           8
        .value_kind:     hidden_global_offset_y
      - .offset:         3208
        .size:           8
        .value_kind:     hidden_global_offset_z
      - .offset:         3216
        .size:           2
        .value_kind:     hidden_grid_dims
    .group_segment_fixed_size: 0
    .kernarg_segment_align: 8
    .kernarg_segment_size: 3408
    .language:       OpenCL C
    .language_version:
      - 2
      - 0
    .max_flat_workgroup_size: 512
    .name:           _ZN2at6native12_GLOBAL__N_125multi_tensor_apply_kernelINS1_18TensorListMetadataILi2EEENS1_21BinaryOpScalarFunctorIsLi2ELi1ELi1EEEJSt5minusIsEsEEEvT_T0_DpT1_
    .private_segment_fixed_size: 0
    .sgpr_count:     33
    .sgpr_spill_count: 0
    .symbol:         _ZN2at6native12_GLOBAL__N_125multi_tensor_apply_kernelINS1_18TensorListMetadataILi2EEENS1_21BinaryOpScalarFunctorIsLi2ELi1ELi1EEEJSt5minusIsEsEEEvT_T0_DpT1_.kd
    .uniform_work_group_size: 1
    .uses_dynamic_stack: false
    .vgpr_count:     32
    .vgpr_spill_count: 0
    .wavefront_size: 64
  - .agpr_count:     0
    .args:
      - .offset:         0
        .size:           3144
        .value_kind:     by_value
      - .offset:         3144
        .size:           1
        .value_kind:     by_value
      - .offset:         3145
        .size:           1
        .value_kind:     by_value
      - .offset:         3152
        .size:           8
        .value_kind:     by_value
      - .offset:         3160
        .size:           4
        .value_kind:     hidden_block_count_x
      - .offset:         3164
        .size:           4
        .value_kind:     hidden_block_count_y
      - .offset:         3168
        .size:           4
        .value_kind:     hidden_block_count_z
      - .offset:         3172
        .size:           2
        .value_kind:     hidden_group_size_x
      - .offset:         3174
        .size:           2
        .value_kind:     hidden_group_size_y
      - .offset:         3176
        .size:           2
        .value_kind:     hidden_group_size_z
      - .offset:         3178
        .size:           2
        .value_kind:     hidden_remainder_x
      - .offset:         3180
        .size:           2
        .value_kind:     hidden_remainder_y
      - .offset:         3182
        .size:           2
        .value_kind:     hidden_remainder_z
      - .offset:         3200
        .size:           8
        .value_kind:     hidden_global_offset_x
      - .offset:         3208
        .size:           8
        .value_kind:     hidden_global_offset_y
      - .offset:         3216
        .size:           8
        .value_kind:     hidden_global_offset_z
      - .offset:         3224
        .size:           2
        .value_kind:     hidden_grid_dims
    .group_segment_fixed_size: 0
    .kernarg_segment_align: 8
    .kernarg_segment_size: 3416
    .language:       OpenCL C
    .language_version:
      - 2
      - 0
    .max_flat_workgroup_size: 512
    .name:           _ZN2at6native12_GLOBAL__N_125multi_tensor_apply_kernelINS1_18TensorListMetadataILi2EEENS1_21BinaryOpScalarFunctorIdLi2ELi1ELi1EEEJSt5minusIdEdEEEvT_T0_DpT1_
    .private_segment_fixed_size: 0
    .sgpr_count:     35
    .sgpr_spill_count: 0
    .symbol:         _ZN2at6native12_GLOBAL__N_125multi_tensor_apply_kernelINS1_18TensorListMetadataILi2EEENS1_21BinaryOpScalarFunctorIdLi2ELi1ELi1EEEJSt5minusIdEdEEEvT_T0_DpT1_.kd
    .uniform_work_group_size: 1
    .uses_dynamic_stack: false
    .vgpr_count:     34
    .vgpr_spill_count: 0
    .wavefront_size: 64
  - .agpr_count:     0
    .args:
      - .offset:         0
        .size:           3144
        .value_kind:     by_value
      - .offset:         3144
        .size:           1
        .value_kind:     by_value
      - .offset:         3145
        .size:           1
        .value_kind:     by_value
      - .offset:         3148
        .size:           4
        .value_kind:     by_value
      - .offset:         3152
        .size:           4
        .value_kind:     hidden_block_count_x
      - .offset:         3156
        .size:           4
        .value_kind:     hidden_block_count_y
      - .offset:         3160
        .size:           4
        .value_kind:     hidden_block_count_z
      - .offset:         3164
        .size:           2
        .value_kind:     hidden_group_size_x
      - .offset:         3166
        .size:           2
        .value_kind:     hidden_group_size_y
      - .offset:         3168
        .size:           2
        .value_kind:     hidden_group_size_z
      - .offset:         3170
        .size:           2
        .value_kind:     hidden_remainder_x
      - .offset:         3172
        .size:           2
        .value_kind:     hidden_remainder_y
      - .offset:         3174
        .size:           2
        .value_kind:     hidden_remainder_z
      - .offset:         3192
        .size:           8
        .value_kind:     hidden_global_offset_x
      - .offset:         3200
        .size:           8
        .value_kind:     hidden_global_offset_y
      - .offset:         3208
        .size:           8
        .value_kind:     hidden_global_offset_z
      - .offset:         3216
        .size:           2
        .value_kind:     hidden_grid_dims
    .group_segment_fixed_size: 0
    .kernarg_segment_align: 8
    .kernarg_segment_size: 3408
    .language:       OpenCL C
    .language_version:
      - 2
      - 0
    .max_flat_workgroup_size: 512
    .name:           _ZN2at6native12_GLOBAL__N_125multi_tensor_apply_kernelINS1_18TensorListMetadataILi2EEENS1_21BinaryOpScalarFunctorIfLi2ELi1ELi1EEEJSt5minusIfEfEEEvT_T0_DpT1_
    .private_segment_fixed_size: 0
    .sgpr_count:     32
    .sgpr_spill_count: 0
    .symbol:         _ZN2at6native12_GLOBAL__N_125multi_tensor_apply_kernelINS1_18TensorListMetadataILi2EEENS1_21BinaryOpScalarFunctorIfLi2ELi1ELi1EEEJSt5minusIfEfEEEvT_T0_DpT1_.kd
    .uniform_work_group_size: 1
    .uses_dynamic_stack: false
    .vgpr_count:     32
    .vgpr_spill_count: 0
    .wavefront_size: 64
  - .agpr_count:     0
    .args:
      - .offset:         0
        .size:           3144
        .value_kind:     by_value
      - .offset:         3144
        .size:           1
        .value_kind:     by_value
      - .offset:         3145
        .size:           1
        .value_kind:     by_value
      - .offset:         3152
        .size:           16
        .value_kind:     by_value
      - .offset:         3168
        .size:           4
        .value_kind:     hidden_block_count_x
      - .offset:         3172
        .size:           4
        .value_kind:     hidden_block_count_y
      - .offset:         3176
        .size:           4
        .value_kind:     hidden_block_count_z
      - .offset:         3180
        .size:           2
        .value_kind:     hidden_group_size_x
      - .offset:         3182
        .size:           2
        .value_kind:     hidden_group_size_y
      - .offset:         3184
        .size:           2
        .value_kind:     hidden_group_size_z
      - .offset:         3186
        .size:           2
        .value_kind:     hidden_remainder_x
      - .offset:         3188
        .size:           2
        .value_kind:     hidden_remainder_y
      - .offset:         3190
        .size:           2
        .value_kind:     hidden_remainder_z
      - .offset:         3208
        .size:           8
        .value_kind:     hidden_global_offset_x
      - .offset:         3216
        .size:           8
        .value_kind:     hidden_global_offset_y
      - .offset:         3224
        .size:           8
        .value_kind:     hidden_global_offset_z
      - .offset:         3232
        .size:           2
        .value_kind:     hidden_grid_dims
    .group_segment_fixed_size: 0
    .kernarg_segment_align: 16
    .kernarg_segment_size: 3424
    .language:       OpenCL C
    .language_version:
      - 2
      - 0
    .max_flat_workgroup_size: 512
    .name:           _ZN2at6native12_GLOBAL__N_125multi_tensor_apply_kernelINS1_18TensorListMetadataILi2EEENS1_21BinaryOpScalarFunctorIN3c107complexIdEELi2ELi1ELi1EEEJSt5minusIS8_ES8_EEEvT_T0_DpT1_
    .private_segment_fixed_size: 0
    .sgpr_count:     40
    .sgpr_spill_count: 0
    .symbol:         _ZN2at6native12_GLOBAL__N_125multi_tensor_apply_kernelINS1_18TensorListMetadataILi2EEENS1_21BinaryOpScalarFunctorIN3c107complexIdEELi2ELi1ELi1EEEJSt5minusIS8_ES8_EEEvT_T0_DpT1_.kd
    .uniform_work_group_size: 1
    .uses_dynamic_stack: false
    .vgpr_count:     26
    .vgpr_spill_count: 0
    .wavefront_size: 64
  - .agpr_count:     0
    .args:
      - .offset:         0
        .size:           3144
        .value_kind:     by_value
      - .offset:         3144
        .size:           1
        .value_kind:     by_value
      - .offset:         3145
        .size:           1
        .value_kind:     by_value
      - .offset:         3152
        .size:           8
        .value_kind:     by_value
      - .offset:         3160
        .size:           4
        .value_kind:     hidden_block_count_x
      - .offset:         3164
        .size:           4
        .value_kind:     hidden_block_count_y
      - .offset:         3168
        .size:           4
        .value_kind:     hidden_block_count_z
      - .offset:         3172
        .size:           2
        .value_kind:     hidden_group_size_x
      - .offset:         3174
        .size:           2
        .value_kind:     hidden_group_size_y
      - .offset:         3176
        .size:           2
        .value_kind:     hidden_group_size_z
      - .offset:         3178
        .size:           2
        .value_kind:     hidden_remainder_x
      - .offset:         3180
        .size:           2
        .value_kind:     hidden_remainder_y
      - .offset:         3182
        .size:           2
        .value_kind:     hidden_remainder_z
      - .offset:         3200
        .size:           8
        .value_kind:     hidden_global_offset_x
      - .offset:         3208
        .size:           8
        .value_kind:     hidden_global_offset_y
      - .offset:         3216
        .size:           8
        .value_kind:     hidden_global_offset_z
      - .offset:         3224
        .size:           2
        .value_kind:     hidden_grid_dims
    .group_segment_fixed_size: 0
    .kernarg_segment_align: 8
    .kernarg_segment_size: 3416
    .language:       OpenCL C
    .language_version:
      - 2
      - 0
    .max_flat_workgroup_size: 512
    .name:           _ZN2at6native12_GLOBAL__N_125multi_tensor_apply_kernelINS1_18TensorListMetadataILi2EEENS1_21BinaryOpScalarFunctorIN3c107complexIfEELi2ELi1ELi1EEEJSt5minusIS8_ES8_EEEvT_T0_DpT1_
    .private_segment_fixed_size: 16
    .sgpr_count:     38
    .sgpr_spill_count: 0
    .symbol:         _ZN2at6native12_GLOBAL__N_125multi_tensor_apply_kernelINS1_18TensorListMetadataILi2EEENS1_21BinaryOpScalarFunctorIN3c107complexIfEELi2ELi1ELi1EEEJSt5minusIS8_ES8_EEEvT_T0_DpT1_.kd
    .uniform_work_group_size: 1
    .uses_dynamic_stack: false
    .vgpr_count:     38
    .vgpr_spill_count: 0
    .wavefront_size: 64
  - .agpr_count:     0
    .args:
      - .offset:         0
        .size:           3144
        .value_kind:     by_value
      - .offset:         3144
        .size:           1
        .value_kind:     by_value
      - .offset:         3145
        .size:           1
        .value_kind:     by_value
      - .offset:         3146
        .size:           1
        .value_kind:     by_value
      - .offset:         3152
        .size:           4
        .value_kind:     hidden_block_count_x
      - .offset:         3156
        .size:           4
        .value_kind:     hidden_block_count_y
      - .offset:         3160
        .size:           4
        .value_kind:     hidden_block_count_z
      - .offset:         3164
        .size:           2
        .value_kind:     hidden_group_size_x
      - .offset:         3166
        .size:           2
        .value_kind:     hidden_group_size_y
      - .offset:         3168
        .size:           2
        .value_kind:     hidden_group_size_z
      - .offset:         3170
        .size:           2
        .value_kind:     hidden_remainder_x
      - .offset:         3172
        .size:           2
        .value_kind:     hidden_remainder_y
      - .offset:         3174
        .size:           2
        .value_kind:     hidden_remainder_z
      - .offset:         3192
        .size:           8
        .value_kind:     hidden_global_offset_x
      - .offset:         3200
        .size:           8
        .value_kind:     hidden_global_offset_y
      - .offset:         3208
        .size:           8
        .value_kind:     hidden_global_offset_z
      - .offset:         3216
        .size:           2
        .value_kind:     hidden_grid_dims
    .group_segment_fixed_size: 0
    .kernarg_segment_align: 8
    .kernarg_segment_size: 3408
    .language:       OpenCL C
    .language_version:
      - 2
      - 0
    .max_flat_workgroup_size: 512
    .name:           _ZN2at6native12_GLOBAL__N_125multi_tensor_apply_kernelINS1_18TensorListMetadataILi2EEENS1_21BinaryOpScalarFunctorIbLi2ELi1ELi1EEEJSt5minusIbEbEEEvT_T0_DpT1_
    .private_segment_fixed_size: 0
    .sgpr_count:     41
    .sgpr_spill_count: 0
    .symbol:         _ZN2at6native12_GLOBAL__N_125multi_tensor_apply_kernelINS1_18TensorListMetadataILi2EEENS1_21BinaryOpScalarFunctorIbLi2ELi1ELi1EEEJSt5minusIbEbEEEvT_T0_DpT1_.kd
    .uniform_work_group_size: 1
    .uses_dynamic_stack: false
    .vgpr_count:     30
    .vgpr_spill_count: 0
    .wavefront_size: 64
  - .agpr_count:     0
    .args:
      - .offset:         0
        .size:           3144
        .value_kind:     by_value
      - .offset:         3144
        .size:           1
        .value_kind:     by_value
      - .offset:         3145
        .size:           1
        .value_kind:     by_value
      - .offset:         3148
        .size:           4
        .value_kind:     by_value
      - .offset:         3152
        .size:           4
        .value_kind:     hidden_block_count_x
      - .offset:         3156
        .size:           4
        .value_kind:     hidden_block_count_y
      - .offset:         3160
        .size:           4
        .value_kind:     hidden_block_count_z
      - .offset:         3164
        .size:           2
        .value_kind:     hidden_group_size_x
      - .offset:         3166
        .size:           2
        .value_kind:     hidden_group_size_y
      - .offset:         3168
        .size:           2
        .value_kind:     hidden_group_size_z
      - .offset:         3170
        .size:           2
        .value_kind:     hidden_remainder_x
      - .offset:         3172
        .size:           2
        .value_kind:     hidden_remainder_y
      - .offset:         3174
        .size:           2
        .value_kind:     hidden_remainder_z
      - .offset:         3192
        .size:           8
        .value_kind:     hidden_global_offset_x
      - .offset:         3200
        .size:           8
        .value_kind:     hidden_global_offset_y
      - .offset:         3208
        .size:           8
        .value_kind:     hidden_global_offset_z
      - .offset:         3216
        .size:           2
        .value_kind:     hidden_grid_dims
    .group_segment_fixed_size: 0
    .kernarg_segment_align: 8
    .kernarg_segment_size: 3408
    .language:       OpenCL C
    .language_version:
      - 2
      - 0
    .max_flat_workgroup_size: 512
    .name:           _ZN2at6native12_GLOBAL__N_125multi_tensor_apply_kernelINS1_18TensorListMetadataILi2EEENS1_21BinaryOpScalarFunctorIN3c104HalfELi2ELi1ELi1EEEJSt5minusIfEfEEEvT_T0_DpT1_
    .private_segment_fixed_size: 0
    .sgpr_count:     33
    .sgpr_spill_count: 0
    .symbol:         _ZN2at6native12_GLOBAL__N_125multi_tensor_apply_kernelINS1_18TensorListMetadataILi2EEENS1_21BinaryOpScalarFunctorIN3c104HalfELi2ELi1ELi1EEEJSt5minusIfEfEEEvT_T0_DpT1_.kd
    .uniform_work_group_size: 1
    .uses_dynamic_stack: false
    .vgpr_count:     32
    .vgpr_spill_count: 0
    .wavefront_size: 64
  - .agpr_count:     0
    .args:
      - .offset:         0
        .size:           3144
        .value_kind:     by_value
      - .offset:         3144
        .size:           1
        .value_kind:     by_value
      - .offset:         3145
        .size:           1
        .value_kind:     by_value
      - .offset:         3148
        .size:           4
        .value_kind:     by_value
      - .offset:         3152
        .size:           4
        .value_kind:     hidden_block_count_x
      - .offset:         3156
        .size:           4
        .value_kind:     hidden_block_count_y
      - .offset:         3160
        .size:           4
        .value_kind:     hidden_block_count_z
      - .offset:         3164
        .size:           2
        .value_kind:     hidden_group_size_x
      - .offset:         3166
        .size:           2
        .value_kind:     hidden_group_size_y
      - .offset:         3168
        .size:           2
        .value_kind:     hidden_group_size_z
      - .offset:         3170
        .size:           2
        .value_kind:     hidden_remainder_x
      - .offset:         3172
        .size:           2
        .value_kind:     hidden_remainder_y
      - .offset:         3174
        .size:           2
        .value_kind:     hidden_remainder_z
      - .offset:         3192
        .size:           8
        .value_kind:     hidden_global_offset_x
      - .offset:         3200
        .size:           8
        .value_kind:     hidden_global_offset_y
      - .offset:         3208
        .size:           8
        .value_kind:     hidden_global_offset_z
      - .offset:         3216
        .size:           2
        .value_kind:     hidden_grid_dims
    .group_segment_fixed_size: 0
    .kernarg_segment_align: 8
    .kernarg_segment_size: 3408
    .language:       OpenCL C
    .language_version:
      - 2
      - 0
    .max_flat_workgroup_size: 512
    .name:           _ZN2at6native12_GLOBAL__N_125multi_tensor_apply_kernelINS1_18TensorListMetadataILi2EEENS1_21BinaryOpScalarFunctorIN3c108BFloat16ELi2ELi1ELi1EEEJSt5minusIfEfEEEvT_T0_DpT1_
    .private_segment_fixed_size: 0
    .sgpr_count:     33
    .sgpr_spill_count: 0
    .symbol:         _ZN2at6native12_GLOBAL__N_125multi_tensor_apply_kernelINS1_18TensorListMetadataILi2EEENS1_21BinaryOpScalarFunctorIN3c108BFloat16ELi2ELi1ELi1EEEJSt5minusIfEfEEEvT_T0_DpT1_.kd
    .uniform_work_group_size: 1
    .uses_dynamic_stack: false
    .vgpr_count:     34
    .vgpr_spill_count: 0
    .wavefront_size: 64
  - .agpr_count:     0
    .args:
      - .offset:         0
        .size:           3368
        .value_kind:     by_value
      - .offset:         3368
        .size:           1
        .value_kind:     by_value
      - .offset:         3369
        .size:           1
        .value_kind:     by_value
      - .offset:         3370
        .size:           1
        .value_kind:     by_value
      - .offset:         3376
        .size:           4
        .value_kind:     hidden_block_count_x
      - .offset:         3380
        .size:           4
        .value_kind:     hidden_block_count_y
      - .offset:         3384
        .size:           4
        .value_kind:     hidden_block_count_z
      - .offset:         3388
        .size:           2
        .value_kind:     hidden_group_size_x
      - .offset:         3390
        .size:           2
        .value_kind:     hidden_group_size_y
      - .offset:         3392
        .size:           2
        .value_kind:     hidden_group_size_z
      - .offset:         3394
        .size:           2
        .value_kind:     hidden_remainder_x
      - .offset:         3396
        .size:           2
        .value_kind:     hidden_remainder_y
      - .offset:         3398
        .size:           2
        .value_kind:     hidden_remainder_z
      - .offset:         3416
        .size:           8
        .value_kind:     hidden_global_offset_x
      - .offset:         3424
        .size:           8
        .value_kind:     hidden_global_offset_y
      - .offset:         3432
        .size:           8
        .value_kind:     hidden_global_offset_z
      - .offset:         3440
        .size:           2
        .value_kind:     hidden_grid_dims
    .group_segment_fixed_size: 0
    .kernarg_segment_align: 8
    .kernarg_segment_size: 3632
    .language:       OpenCL C
    .language_version:
      - 2
      - 0
    .max_flat_workgroup_size: 512
    .name:           _ZN2at6native12_GLOBAL__N_125multi_tensor_apply_kernelINS1_18TensorListMetadataILi1EEENS1_21BinaryOpScalarFunctorIhLi1ELi1ELi0EEEJNS0_7minimumIhEEhEEEvT_T0_DpT1_
    .private_segment_fixed_size: 0
    .sgpr_count:     29
    .sgpr_spill_count: 0
    .symbol:         _ZN2at6native12_GLOBAL__N_125multi_tensor_apply_kernelINS1_18TensorListMetadataILi1EEENS1_21BinaryOpScalarFunctorIhLi1ELi1ELi0EEEJNS0_7minimumIhEEhEEEvT_T0_DpT1_.kd
    .uniform_work_group_size: 1
    .uses_dynamic_stack: false
    .vgpr_count:     30
    .vgpr_spill_count: 0
    .wavefront_size: 64
  - .agpr_count:     0
    .args:
      - .offset:         0
        .size:           3368
        .value_kind:     by_value
      - .offset:         3368
        .size:           1
        .value_kind:     by_value
      - .offset:         3369
        .size:           1
        .value_kind:     by_value
      - .offset:         3370
        .size:           1
        .value_kind:     by_value
      - .offset:         3376
        .size:           4
        .value_kind:     hidden_block_count_x
      - .offset:         3380
        .size:           4
        .value_kind:     hidden_block_count_y
      - .offset:         3384
        .size:           4
        .value_kind:     hidden_block_count_z
      - .offset:         3388
        .size:           2
        .value_kind:     hidden_group_size_x
      - .offset:         3390
        .size:           2
        .value_kind:     hidden_group_size_y
      - .offset:         3392
        .size:           2
        .value_kind:     hidden_group_size_z
      - .offset:         3394
        .size:           2
        .value_kind:     hidden_remainder_x
      - .offset:         3396
        .size:           2
        .value_kind:     hidden_remainder_y
      - .offset:         3398
        .size:           2
        .value_kind:     hidden_remainder_z
      - .offset:         3416
        .size:           8
        .value_kind:     hidden_global_offset_x
      - .offset:         3424
        .size:           8
        .value_kind:     hidden_global_offset_y
      - .offset:         3432
        .size:           8
        .value_kind:     hidden_global_offset_z
      - .offset:         3440
        .size:           2
        .value_kind:     hidden_grid_dims
    .group_segment_fixed_size: 0
    .kernarg_segment_align: 8
    .kernarg_segment_size: 3632
    .language:       OpenCL C
    .language_version:
      - 2
      - 0
    .max_flat_workgroup_size: 512
    .name:           _ZN2at6native12_GLOBAL__N_125multi_tensor_apply_kernelINS1_18TensorListMetadataILi1EEENS1_21BinaryOpScalarFunctorIaLi1ELi1ELi0EEEJNS0_7minimumIaEEaEEEvT_T0_DpT1_
    .private_segment_fixed_size: 0
    .sgpr_count:     29
    .sgpr_spill_count: 0
    .symbol:         _ZN2at6native12_GLOBAL__N_125multi_tensor_apply_kernelINS1_18TensorListMetadataILi1EEENS1_21BinaryOpScalarFunctorIaLi1ELi1ELi0EEEJNS0_7minimumIaEEaEEEvT_T0_DpT1_.kd
    .uniform_work_group_size: 1
    .uses_dynamic_stack: false
    .vgpr_count:     30
    .vgpr_spill_count: 0
    .wavefront_size: 64
  - .agpr_count:     0
    .args:
      - .offset:         0
        .size:           3368
        .value_kind:     by_value
      - .offset:         3368
        .size:           1
        .value_kind:     by_value
      - .offset:         3369
        .size:           1
        .value_kind:     by_value
      - .offset:         3372
        .size:           4
        .value_kind:     by_value
      - .offset:         3376
        .size:           4
        .value_kind:     hidden_block_count_x
      - .offset:         3380
        .size:           4
        .value_kind:     hidden_block_count_y
      - .offset:         3384
        .size:           4
        .value_kind:     hidden_block_count_z
      - .offset:         3388
        .size:           2
        .value_kind:     hidden_group_size_x
      - .offset:         3390
        .size:           2
        .value_kind:     hidden_group_size_y
      - .offset:         3392
        .size:           2
        .value_kind:     hidden_group_size_z
      - .offset:         3394
        .size:           2
        .value_kind:     hidden_remainder_x
      - .offset:         3396
        .size:           2
        .value_kind:     hidden_remainder_y
      - .offset:         3398
        .size:           2
        .value_kind:     hidden_remainder_z
      - .offset:         3416
        .size:           8
        .value_kind:     hidden_global_offset_x
      - .offset:         3424
        .size:           8
        .value_kind:     hidden_global_offset_y
      - .offset:         3432
        .size:           8
        .value_kind:     hidden_global_offset_z
      - .offset:         3440
        .size:           2
        .value_kind:     hidden_grid_dims
    .group_segment_fixed_size: 0
    .kernarg_segment_align: 8
    .kernarg_segment_size: 3632
    .language:       OpenCL C
    .language_version:
      - 2
      - 0
    .max_flat_workgroup_size: 512
    .name:           _ZN2at6native12_GLOBAL__N_125multi_tensor_apply_kernelINS1_18TensorListMetadataILi1EEENS1_21BinaryOpScalarFunctorIiLi1ELi1ELi0EEEJNS0_7minimumIiEEiEEEvT_T0_DpT1_
    .private_segment_fixed_size: 0
    .sgpr_count:     34
    .sgpr_spill_count: 0
    .symbol:         _ZN2at6native12_GLOBAL__N_125multi_tensor_apply_kernelINS1_18TensorListMetadataILi1EEENS1_21BinaryOpScalarFunctorIiLi1ELi1ELi0EEEJNS0_7minimumIiEEiEEEvT_T0_DpT1_.kd
    .uniform_work_group_size: 1
    .uses_dynamic_stack: false
    .vgpr_count:     22
    .vgpr_spill_count: 0
    .wavefront_size: 64
  - .agpr_count:     0
    .args:
      - .offset:         0
        .size:           3368
        .value_kind:     by_value
      - .offset:         3368
        .size:           1
        .value_kind:     by_value
      - .offset:         3369
        .size:           1
        .value_kind:     by_value
      - .offset:         3376
        .size:           8
        .value_kind:     by_value
      - .offset:         3384
        .size:           4
        .value_kind:     hidden_block_count_x
      - .offset:         3388
        .size:           4
        .value_kind:     hidden_block_count_y
      - .offset:         3392
        .size:           4
        .value_kind:     hidden_block_count_z
      - .offset:         3396
        .size:           2
        .value_kind:     hidden_group_size_x
      - .offset:         3398
        .size:           2
        .value_kind:     hidden_group_size_y
      - .offset:         3400
        .size:           2
        .value_kind:     hidden_group_size_z
      - .offset:         3402
        .size:           2
        .value_kind:     hidden_remainder_x
      - .offset:         3404
        .size:           2
        .value_kind:     hidden_remainder_y
      - .offset:         3406
        .size:           2
        .value_kind:     hidden_remainder_z
      - .offset:         3424
        .size:           8
        .value_kind:     hidden_global_offset_x
      - .offset:         3432
        .size:           8
        .value_kind:     hidden_global_offset_y
      - .offset:         3440
        .size:           8
        .value_kind:     hidden_global_offset_z
      - .offset:         3448
        .size:           2
        .value_kind:     hidden_grid_dims
    .group_segment_fixed_size: 0
    .kernarg_segment_align: 8
    .kernarg_segment_size: 3640
    .language:       OpenCL C
    .language_version:
      - 2
      - 0
    .max_flat_workgroup_size: 512
    .name:           _ZN2at6native12_GLOBAL__N_125multi_tensor_apply_kernelINS1_18TensorListMetadataILi1EEENS1_21BinaryOpScalarFunctorIlLi1ELi1ELi0EEEJNS0_7minimumIlEElEEEvT_T0_DpT1_
    .private_segment_fixed_size: 0
    .sgpr_count:     35
    .sgpr_spill_count: 0
    .symbol:         _ZN2at6native12_GLOBAL__N_125multi_tensor_apply_kernelINS1_18TensorListMetadataILi1EEENS1_21BinaryOpScalarFunctorIlLi1ELi1ELi0EEEJNS0_7minimumIlEElEEEvT_T0_DpT1_.kd
    .uniform_work_group_size: 1
    .uses_dynamic_stack: false
    .vgpr_count:     27
    .vgpr_spill_count: 0
    .wavefront_size: 64
  - .agpr_count:     0
    .args:
      - .offset:         0
        .size:           3368
        .value_kind:     by_value
      - .offset:         3368
        .size:           1
        .value_kind:     by_value
      - .offset:         3369
        .size:           1
        .value_kind:     by_value
      - .offset:         3370
        .size:           2
        .value_kind:     by_value
      - .offset:         3376
        .size:           4
        .value_kind:     hidden_block_count_x
      - .offset:         3380
        .size:           4
        .value_kind:     hidden_block_count_y
      - .offset:         3384
        .size:           4
        .value_kind:     hidden_block_count_z
      - .offset:         3388
        .size:           2
        .value_kind:     hidden_group_size_x
      - .offset:         3390
        .size:           2
        .value_kind:     hidden_group_size_y
      - .offset:         3392
        .size:           2
        .value_kind:     hidden_group_size_z
      - .offset:         3394
        .size:           2
        .value_kind:     hidden_remainder_x
      - .offset:         3396
        .size:           2
        .value_kind:     hidden_remainder_y
      - .offset:         3398
        .size:           2
        .value_kind:     hidden_remainder_z
      - .offset:         3416
        .size:           8
        .value_kind:     hidden_global_offset_x
      - .offset:         3424
        .size:           8
        .value_kind:     hidden_global_offset_y
      - .offset:         3432
        .size:           8
        .value_kind:     hidden_global_offset_z
      - .offset:         3440
        .size:           2
        .value_kind:     hidden_grid_dims
    .group_segment_fixed_size: 0
    .kernarg_segment_align: 8
    .kernarg_segment_size: 3632
    .language:       OpenCL C
    .language_version:
      - 2
      - 0
    .max_flat_workgroup_size: 512
    .name:           _ZN2at6native12_GLOBAL__N_125multi_tensor_apply_kernelINS1_18TensorListMetadataILi1EEENS1_21BinaryOpScalarFunctorIsLi1ELi1ELi0EEEJNS0_7minimumIsEEsEEEvT_T0_DpT1_
    .private_segment_fixed_size: 0
    .sgpr_count:     33
    .sgpr_spill_count: 0
    .symbol:         _ZN2at6native12_GLOBAL__N_125multi_tensor_apply_kernelINS1_18TensorListMetadataILi1EEENS1_21BinaryOpScalarFunctorIsLi1ELi1ELi0EEEJNS0_7minimumIsEEsEEEvT_T0_DpT1_.kd
    .uniform_work_group_size: 1
    .uses_dynamic_stack: false
    .vgpr_count:     22
    .vgpr_spill_count: 0
    .wavefront_size: 64
  - .agpr_count:     0
    .args:
      - .offset:         0
        .size:           3368
        .value_kind:     by_value
      - .offset:         3368
        .size:           1
        .value_kind:     by_value
      - .offset:         3369
        .size:           1
        .value_kind:     by_value
      - .offset:         3376
        .size:           8
        .value_kind:     by_value
      - .offset:         3384
        .size:           4
        .value_kind:     hidden_block_count_x
      - .offset:         3388
        .size:           4
        .value_kind:     hidden_block_count_y
      - .offset:         3392
        .size:           4
        .value_kind:     hidden_block_count_z
      - .offset:         3396
        .size:           2
        .value_kind:     hidden_group_size_x
      - .offset:         3398
        .size:           2
        .value_kind:     hidden_group_size_y
      - .offset:         3400
        .size:           2
        .value_kind:     hidden_group_size_z
      - .offset:         3402
        .size:           2
        .value_kind:     hidden_remainder_x
      - .offset:         3404
        .size:           2
        .value_kind:     hidden_remainder_y
      - .offset:         3406
        .size:           2
        .value_kind:     hidden_remainder_z
      - .offset:         3424
        .size:           8
        .value_kind:     hidden_global_offset_x
      - .offset:         3432
        .size:           8
        .value_kind:     hidden_global_offset_y
      - .offset:         3440
        .size:           8
        .value_kind:     hidden_global_offset_z
      - .offset:         3448
        .size:           2
        .value_kind:     hidden_grid_dims
    .group_segment_fixed_size: 0
    .kernarg_segment_align: 8
    .kernarg_segment_size: 3640
    .language:       OpenCL C
    .language_version:
      - 2
      - 0
    .max_flat_workgroup_size: 512
    .name:           _ZN2at6native12_GLOBAL__N_125multi_tensor_apply_kernelINS1_18TensorListMetadataILi1EEENS1_21BinaryOpScalarFunctorIdLi1ELi1ELi0EEEJNS0_7minimumIdEEdEEEvT_T0_DpT1_
    .private_segment_fixed_size: 0
    .sgpr_count:     37
    .sgpr_spill_count: 0
    .symbol:         _ZN2at6native12_GLOBAL__N_125multi_tensor_apply_kernelINS1_18TensorListMetadataILi1EEENS1_21BinaryOpScalarFunctorIdLi1ELi1ELi0EEEJNS0_7minimumIdEEdEEEvT_T0_DpT1_.kd
    .uniform_work_group_size: 1
    .uses_dynamic_stack: false
    .vgpr_count:     27
    .vgpr_spill_count: 0
    .wavefront_size: 64
  - .agpr_count:     0
    .args:
      - .offset:         0
        .size:           3368
        .value_kind:     by_value
      - .offset:         3368
        .size:           1
        .value_kind:     by_value
      - .offset:         3369
        .size:           1
        .value_kind:     by_value
      - .offset:         3372
        .size:           4
        .value_kind:     by_value
      - .offset:         3376
        .size:           4
        .value_kind:     hidden_block_count_x
      - .offset:         3380
        .size:           4
        .value_kind:     hidden_block_count_y
      - .offset:         3384
        .size:           4
        .value_kind:     hidden_block_count_z
      - .offset:         3388
        .size:           2
        .value_kind:     hidden_group_size_x
      - .offset:         3390
        .size:           2
        .value_kind:     hidden_group_size_y
      - .offset:         3392
        .size:           2
        .value_kind:     hidden_group_size_z
      - .offset:         3394
        .size:           2
        .value_kind:     hidden_remainder_x
      - .offset:         3396
        .size:           2
        .value_kind:     hidden_remainder_y
      - .offset:         3398
        .size:           2
        .value_kind:     hidden_remainder_z
      - .offset:         3416
        .size:           8
        .value_kind:     hidden_global_offset_x
      - .offset:         3424
        .size:           8
        .value_kind:     hidden_global_offset_y
      - .offset:         3432
        .size:           8
        .value_kind:     hidden_global_offset_z
      - .offset:         3440
        .size:           2
        .value_kind:     hidden_grid_dims
    .group_segment_fixed_size: 0
    .kernarg_segment_align: 8
    .kernarg_segment_size: 3632
    .language:       OpenCL C
    .language_version:
      - 2
      - 0
    .max_flat_workgroup_size: 512
    .name:           _ZN2at6native12_GLOBAL__N_125multi_tensor_apply_kernelINS1_18TensorListMetadataILi1EEENS1_21BinaryOpScalarFunctorIfLi1ELi1ELi0EEEJNS0_7minimumIfEEfEEEvT_T0_DpT1_
    .private_segment_fixed_size: 0
    .sgpr_count:     56
    .sgpr_spill_count: 0
    .symbol:         _ZN2at6native12_GLOBAL__N_125multi_tensor_apply_kernelINS1_18TensorListMetadataILi1EEENS1_21BinaryOpScalarFunctorIfLi1ELi1ELi0EEEJNS0_7minimumIfEEfEEEvT_T0_DpT1_.kd
    .uniform_work_group_size: 1
    .uses_dynamic_stack: false
    .vgpr_count:     23
    .vgpr_spill_count: 0
    .wavefront_size: 64
  - .agpr_count:     0
    .args:
      - .offset:         0
        .size:           3368
        .value_kind:     by_value
      - .offset:         3368
        .size:           1
        .value_kind:     by_value
      - .offset:         3369
        .size:           1
        .value_kind:     by_value
      - .offset:         3372
        .size:           4
        .value_kind:     by_value
      - .offset:         3376
        .size:           4
        .value_kind:     hidden_block_count_x
      - .offset:         3380
        .size:           4
        .value_kind:     hidden_block_count_y
      - .offset:         3384
        .size:           4
        .value_kind:     hidden_block_count_z
      - .offset:         3388
        .size:           2
        .value_kind:     hidden_group_size_x
      - .offset:         3390
        .size:           2
        .value_kind:     hidden_group_size_y
      - .offset:         3392
        .size:           2
        .value_kind:     hidden_group_size_z
      - .offset:         3394
        .size:           2
        .value_kind:     hidden_remainder_x
      - .offset:         3396
        .size:           2
        .value_kind:     hidden_remainder_y
      - .offset:         3398
        .size:           2
        .value_kind:     hidden_remainder_z
      - .offset:         3416
        .size:           8
        .value_kind:     hidden_global_offset_x
      - .offset:         3424
        .size:           8
        .value_kind:     hidden_global_offset_y
      - .offset:         3432
        .size:           8
        .value_kind:     hidden_global_offset_z
      - .offset:         3440
        .size:           2
        .value_kind:     hidden_grid_dims
    .group_segment_fixed_size: 0
    .kernarg_segment_align: 8
    .kernarg_segment_size: 3632
    .language:       OpenCL C
    .language_version:
      - 2
      - 0
    .max_flat_workgroup_size: 512
    .name:           _ZN2at6native12_GLOBAL__N_125multi_tensor_apply_kernelINS1_18TensorListMetadataILi1EEENS1_21BinaryOpScalarFunctorIN3c104HalfELi1ELi1ELi0EEEJNS0_7minimumIfEEfEEEvT_T0_DpT1_
    .private_segment_fixed_size: 0
    .sgpr_count:     35
    .sgpr_spill_count: 0
    .symbol:         _ZN2at6native12_GLOBAL__N_125multi_tensor_apply_kernelINS1_18TensorListMetadataILi1EEENS1_21BinaryOpScalarFunctorIN3c104HalfELi1ELi1ELi0EEEJNS0_7minimumIfEEfEEEvT_T0_DpT1_.kd
    .uniform_work_group_size: 1
    .uses_dynamic_stack: false
    .vgpr_count:     24
    .vgpr_spill_count: 0
    .wavefront_size: 64
  - .agpr_count:     0
    .args:
      - .offset:         0
        .size:           3368
        .value_kind:     by_value
      - .offset:         3368
        .size:           1
        .value_kind:     by_value
      - .offset:         3369
        .size:           1
        .value_kind:     by_value
      - .offset:         3372
        .size:           4
        .value_kind:     by_value
      - .offset:         3376
        .size:           4
        .value_kind:     hidden_block_count_x
      - .offset:         3380
        .size:           4
        .value_kind:     hidden_block_count_y
      - .offset:         3384
        .size:           4
        .value_kind:     hidden_block_count_z
      - .offset:         3388
        .size:           2
        .value_kind:     hidden_group_size_x
      - .offset:         3390
        .size:           2
        .value_kind:     hidden_group_size_y
      - .offset:         3392
        .size:           2
        .value_kind:     hidden_group_size_z
      - .offset:         3394
        .size:           2
        .value_kind:     hidden_remainder_x
      - .offset:         3396
        .size:           2
        .value_kind:     hidden_remainder_y
      - .offset:         3398
        .size:           2
        .value_kind:     hidden_remainder_z
      - .offset:         3416
        .size:           8
        .value_kind:     hidden_global_offset_x
      - .offset:         3424
        .size:           8
        .value_kind:     hidden_global_offset_y
      - .offset:         3432
        .size:           8
        .value_kind:     hidden_global_offset_z
      - .offset:         3440
        .size:           2
        .value_kind:     hidden_grid_dims
    .group_segment_fixed_size: 0
    .kernarg_segment_align: 8
    .kernarg_segment_size: 3632
    .language:       OpenCL C
    .language_version:
      - 2
      - 0
    .max_flat_workgroup_size: 512
    .name:           _ZN2at6native12_GLOBAL__N_125multi_tensor_apply_kernelINS1_18TensorListMetadataILi1EEENS1_21BinaryOpScalarFunctorIN3c108BFloat16ELi1ELi1ELi0EEEJNS0_7minimumIfEEfEEEvT_T0_DpT1_
    .private_segment_fixed_size: 0
    .sgpr_count:     36
    .sgpr_spill_count: 0
    .symbol:         _ZN2at6native12_GLOBAL__N_125multi_tensor_apply_kernelINS1_18TensorListMetadataILi1EEENS1_21BinaryOpScalarFunctorIN3c108BFloat16ELi1ELi1ELi0EEEJNS0_7minimumIfEEfEEEvT_T0_DpT1_.kd
    .uniform_work_group_size: 1
    .uses_dynamic_stack: false
    .vgpr_count:     24
    .vgpr_spill_count: 0
    .wavefront_size: 64
  - .agpr_count:     0
    .args:
      - .offset:         0
        .size:           3144
        .value_kind:     by_value
      - .offset:         3144
        .size:           1
        .value_kind:     by_value
      - .offset:         3145
        .size:           1
        .value_kind:     by_value
      - .offset:         3146
        .size:           1
        .value_kind:     by_value
      - .offset:         3152
        .size:           4
        .value_kind:     hidden_block_count_x
      - .offset:         3156
        .size:           4
        .value_kind:     hidden_block_count_y
      - .offset:         3160
        .size:           4
        .value_kind:     hidden_block_count_z
      - .offset:         3164
        .size:           2
        .value_kind:     hidden_group_size_x
      - .offset:         3166
        .size:           2
        .value_kind:     hidden_group_size_y
      - .offset:         3168
        .size:           2
        .value_kind:     hidden_group_size_z
      - .offset:         3170
        .size:           2
        .value_kind:     hidden_remainder_x
      - .offset:         3172
        .size:           2
        .value_kind:     hidden_remainder_y
      - .offset:         3174
        .size:           2
        .value_kind:     hidden_remainder_z
      - .offset:         3192
        .size:           8
        .value_kind:     hidden_global_offset_x
      - .offset:         3200
        .size:           8
        .value_kind:     hidden_global_offset_y
      - .offset:         3208
        .size:           8
        .value_kind:     hidden_global_offset_z
      - .offset:         3216
        .size:           2
        .value_kind:     hidden_grid_dims
    .group_segment_fixed_size: 0
    .kernarg_segment_align: 8
    .kernarg_segment_size: 3408
    .language:       OpenCL C
    .language_version:
      - 2
      - 0
    .max_flat_workgroup_size: 512
    .name:           _ZN2at6native12_GLOBAL__N_125multi_tensor_apply_kernelINS1_18TensorListMetadataILi2EEENS1_21BinaryOpScalarFunctorIhLi2ELi1ELi1EEEJNS0_7minimumIhEEhEEEvT_T0_DpT1_
    .private_segment_fixed_size: 0
    .sgpr_count:     31
    .sgpr_spill_count: 0
    .symbol:         _ZN2at6native12_GLOBAL__N_125multi_tensor_apply_kernelINS1_18TensorListMetadataILi2EEENS1_21BinaryOpScalarFunctorIhLi2ELi1ELi1EEEJNS0_7minimumIhEEhEEEvT_T0_DpT1_.kd
    .uniform_work_group_size: 1
    .uses_dynamic_stack: false
    .vgpr_count:     32
    .vgpr_spill_count: 0
    .wavefront_size: 64
  - .agpr_count:     0
    .args:
      - .offset:         0
        .size:           3144
        .value_kind:     by_value
      - .offset:         3144
        .size:           1
        .value_kind:     by_value
      - .offset:         3145
        .size:           1
        .value_kind:     by_value
      - .offset:         3146
        .size:           1
        .value_kind:     by_value
      - .offset:         3152
        .size:           4
        .value_kind:     hidden_block_count_x
      - .offset:         3156
        .size:           4
        .value_kind:     hidden_block_count_y
      - .offset:         3160
        .size:           4
        .value_kind:     hidden_block_count_z
      - .offset:         3164
        .size:           2
        .value_kind:     hidden_group_size_x
      - .offset:         3166
        .size:           2
        .value_kind:     hidden_group_size_y
      - .offset:         3168
        .size:           2
        .value_kind:     hidden_group_size_z
      - .offset:         3170
        .size:           2
        .value_kind:     hidden_remainder_x
      - .offset:         3172
        .size:           2
        .value_kind:     hidden_remainder_y
      - .offset:         3174
        .size:           2
        .value_kind:     hidden_remainder_z
      - .offset:         3192
        .size:           8
        .value_kind:     hidden_global_offset_x
      - .offset:         3200
        .size:           8
        .value_kind:     hidden_global_offset_y
      - .offset:         3208
        .size:           8
        .value_kind:     hidden_global_offset_z
      - .offset:         3216
        .size:           2
        .value_kind:     hidden_grid_dims
    .group_segment_fixed_size: 0
    .kernarg_segment_align: 8
    .kernarg_segment_size: 3408
    .language:       OpenCL C
    .language_version:
      - 2
      - 0
    .max_flat_workgroup_size: 512
    .name:           _ZN2at6native12_GLOBAL__N_125multi_tensor_apply_kernelINS1_18TensorListMetadataILi2EEENS1_21BinaryOpScalarFunctorIaLi2ELi1ELi1EEEJNS0_7minimumIaEEaEEEvT_T0_DpT1_
    .private_segment_fixed_size: 0
    .sgpr_count:     31
    .sgpr_spill_count: 0
    .symbol:         _ZN2at6native12_GLOBAL__N_125multi_tensor_apply_kernelINS1_18TensorListMetadataILi2EEENS1_21BinaryOpScalarFunctorIaLi2ELi1ELi1EEEJNS0_7minimumIaEEaEEEvT_T0_DpT1_.kd
    .uniform_work_group_size: 1
    .uses_dynamic_stack: false
    .vgpr_count:     32
    .vgpr_spill_count: 0
    .wavefront_size: 64
  - .agpr_count:     0
    .args:
      - .offset:         0
        .size:           3144
        .value_kind:     by_value
      - .offset:         3144
        .size:           1
        .value_kind:     by_value
      - .offset:         3145
        .size:           1
        .value_kind:     by_value
      - .offset:         3148
        .size:           4
        .value_kind:     by_value
      - .offset:         3152
        .size:           4
        .value_kind:     hidden_block_count_x
      - .offset:         3156
        .size:           4
        .value_kind:     hidden_block_count_y
      - .offset:         3160
        .size:           4
        .value_kind:     hidden_block_count_z
      - .offset:         3164
        .size:           2
        .value_kind:     hidden_group_size_x
      - .offset:         3166
        .size:           2
        .value_kind:     hidden_group_size_y
      - .offset:         3168
        .size:           2
        .value_kind:     hidden_group_size_z
      - .offset:         3170
        .size:           2
        .value_kind:     hidden_remainder_x
      - .offset:         3172
        .size:           2
        .value_kind:     hidden_remainder_y
      - .offset:         3174
        .size:           2
        .value_kind:     hidden_remainder_z
      - .offset:         3192
        .size:           8
        .value_kind:     hidden_global_offset_x
      - .offset:         3200
        .size:           8
        .value_kind:     hidden_global_offset_y
      - .offset:         3208
        .size:           8
        .value_kind:     hidden_global_offset_z
      - .offset:         3216
        .size:           2
        .value_kind:     hidden_grid_dims
    .group_segment_fixed_size: 0
    .kernarg_segment_align: 8
    .kernarg_segment_size: 3408
    .language:       OpenCL C
    .language_version:
      - 2
      - 0
    .max_flat_workgroup_size: 512
    .name:           _ZN2at6native12_GLOBAL__N_125multi_tensor_apply_kernelINS1_18TensorListMetadataILi2EEENS1_21BinaryOpScalarFunctorIiLi2ELi1ELi1EEEJNS0_7minimumIiEEiEEEvT_T0_DpT1_
    .private_segment_fixed_size: 0
    .sgpr_count:     32
    .sgpr_spill_count: 0
    .symbol:         _ZN2at6native12_GLOBAL__N_125multi_tensor_apply_kernelINS1_18TensorListMetadataILi2EEENS1_21BinaryOpScalarFunctorIiLi2ELi1ELi1EEEJNS0_7minimumIiEEiEEEvT_T0_DpT1_.kd
    .uniform_work_group_size: 1
    .uses_dynamic_stack: false
    .vgpr_count:     32
    .vgpr_spill_count: 0
    .wavefront_size: 64
  - .agpr_count:     0
    .args:
      - .offset:         0
        .size:           3144
        .value_kind:     by_value
      - .offset:         3144
        .size:           1
        .value_kind:     by_value
      - .offset:         3145
        .size:           1
        .value_kind:     by_value
      - .offset:         3152
        .size:           8
        .value_kind:     by_value
      - .offset:         3160
        .size:           4
        .value_kind:     hidden_block_count_x
      - .offset:         3164
        .size:           4
        .value_kind:     hidden_block_count_y
      - .offset:         3168
        .size:           4
        .value_kind:     hidden_block_count_z
      - .offset:         3172
        .size:           2
        .value_kind:     hidden_group_size_x
      - .offset:         3174
        .size:           2
        .value_kind:     hidden_group_size_y
      - .offset:         3176
        .size:           2
        .value_kind:     hidden_group_size_z
      - .offset:         3178
        .size:           2
        .value_kind:     hidden_remainder_x
      - .offset:         3180
        .size:           2
        .value_kind:     hidden_remainder_y
      - .offset:         3182
        .size:           2
        .value_kind:     hidden_remainder_z
      - .offset:         3200
        .size:           8
        .value_kind:     hidden_global_offset_x
      - .offset:         3208
        .size:           8
        .value_kind:     hidden_global_offset_y
      - .offset:         3216
        .size:           8
        .value_kind:     hidden_global_offset_z
      - .offset:         3224
        .size:           2
        .value_kind:     hidden_grid_dims
    .group_segment_fixed_size: 0
    .kernarg_segment_align: 8
    .kernarg_segment_size: 3416
    .language:       OpenCL C
    .language_version:
      - 2
      - 0
    .max_flat_workgroup_size: 512
    .name:           _ZN2at6native12_GLOBAL__N_125multi_tensor_apply_kernelINS1_18TensorListMetadataILi2EEENS1_21BinaryOpScalarFunctorIlLi2ELi1ELi1EEEJNS0_7minimumIlEElEEEvT_T0_DpT1_
    .private_segment_fixed_size: 0
    .sgpr_count:     35
    .sgpr_spill_count: 0
    .symbol:         _ZN2at6native12_GLOBAL__N_125multi_tensor_apply_kernelINS1_18TensorListMetadataILi2EEENS1_21BinaryOpScalarFunctorIlLi2ELi1ELi1EEEJNS0_7minimumIlEElEEEvT_T0_DpT1_.kd
    .uniform_work_group_size: 1
    .uses_dynamic_stack: false
    .vgpr_count:     34
    .vgpr_spill_count: 0
    .wavefront_size: 64
  - .agpr_count:     0
    .args:
      - .offset:         0
        .size:           3144
        .value_kind:     by_value
      - .offset:         3144
        .size:           1
        .value_kind:     by_value
      - .offset:         3145
        .size:           1
        .value_kind:     by_value
      - .offset:         3146
        .size:           2
        .value_kind:     by_value
      - .offset:         3152
        .size:           4
        .value_kind:     hidden_block_count_x
      - .offset:         3156
        .size:           4
        .value_kind:     hidden_block_count_y
      - .offset:         3160
        .size:           4
        .value_kind:     hidden_block_count_z
      - .offset:         3164
        .size:           2
        .value_kind:     hidden_group_size_x
      - .offset:         3166
        .size:           2
        .value_kind:     hidden_group_size_y
      - .offset:         3168
        .size:           2
        .value_kind:     hidden_group_size_z
      - .offset:         3170
        .size:           2
        .value_kind:     hidden_remainder_x
      - .offset:         3172
        .size:           2
        .value_kind:     hidden_remainder_y
      - .offset:         3174
        .size:           2
        .value_kind:     hidden_remainder_z
      - .offset:         3192
        .size:           8
        .value_kind:     hidden_global_offset_x
      - .offset:         3200
        .size:           8
        .value_kind:     hidden_global_offset_y
      - .offset:         3208
        .size:           8
        .value_kind:     hidden_global_offset_z
      - .offset:         3216
        .size:           2
        .value_kind:     hidden_grid_dims
    .group_segment_fixed_size: 0
    .kernarg_segment_align: 8
    .kernarg_segment_size: 3408
    .language:       OpenCL C
    .language_version:
      - 2
      - 0
    .max_flat_workgroup_size: 512
    .name:           _ZN2at6native12_GLOBAL__N_125multi_tensor_apply_kernelINS1_18TensorListMetadataILi2EEENS1_21BinaryOpScalarFunctorIsLi2ELi1ELi1EEEJNS0_7minimumIsEEsEEEvT_T0_DpT1_
    .private_segment_fixed_size: 0
    .sgpr_count:     33
    .sgpr_spill_count: 0
    .symbol:         _ZN2at6native12_GLOBAL__N_125multi_tensor_apply_kernelINS1_18TensorListMetadataILi2EEENS1_21BinaryOpScalarFunctorIsLi2ELi1ELi1EEEJNS0_7minimumIsEEsEEEvT_T0_DpT1_.kd
    .uniform_work_group_size: 1
    .uses_dynamic_stack: false
    .vgpr_count:     32
    .vgpr_spill_count: 0
    .wavefront_size: 64
  - .agpr_count:     0
    .args:
      - .offset:         0
        .size:           3144
        .value_kind:     by_value
      - .offset:         3144
        .size:           1
        .value_kind:     by_value
      - .offset:         3145
        .size:           1
        .value_kind:     by_value
      - .offset:         3152
        .size:           8
        .value_kind:     by_value
      - .offset:         3160
        .size:           4
        .value_kind:     hidden_block_count_x
      - .offset:         3164
        .size:           4
        .value_kind:     hidden_block_count_y
      - .offset:         3168
        .size:           4
        .value_kind:     hidden_block_count_z
      - .offset:         3172
        .size:           2
        .value_kind:     hidden_group_size_x
      - .offset:         3174
        .size:           2
        .value_kind:     hidden_group_size_y
      - .offset:         3176
        .size:           2
        .value_kind:     hidden_group_size_z
      - .offset:         3178
        .size:           2
        .value_kind:     hidden_remainder_x
      - .offset:         3180
        .size:           2
        .value_kind:     hidden_remainder_y
      - .offset:         3182
        .size:           2
        .value_kind:     hidden_remainder_z
      - .offset:         3200
        .size:           8
        .value_kind:     hidden_global_offset_x
      - .offset:         3208
        .size:           8
        .value_kind:     hidden_global_offset_y
      - .offset:         3216
        .size:           8
        .value_kind:     hidden_global_offset_z
      - .offset:         3224
        .size:           2
        .value_kind:     hidden_grid_dims
    .group_segment_fixed_size: 0
    .kernarg_segment_align: 8
    .kernarg_segment_size: 3416
    .language:       OpenCL C
    .language_version:
      - 2
      - 0
    .max_flat_workgroup_size: 512
    .name:           _ZN2at6native12_GLOBAL__N_125multi_tensor_apply_kernelINS1_18TensorListMetadataILi2EEENS1_21BinaryOpScalarFunctorIdLi2ELi1ELi1EEEJNS0_7minimumIdEEdEEEvT_T0_DpT1_
    .private_segment_fixed_size: 0
    .sgpr_count:     37
    .sgpr_spill_count: 0
    .symbol:         _ZN2at6native12_GLOBAL__N_125multi_tensor_apply_kernelINS1_18TensorListMetadataILi2EEENS1_21BinaryOpScalarFunctorIdLi2ELi1ELi1EEEJNS0_7minimumIdEEdEEEvT_T0_DpT1_.kd
    .uniform_work_group_size: 1
    .uses_dynamic_stack: false
    .vgpr_count:     34
    .vgpr_spill_count: 0
    .wavefront_size: 64
  - .agpr_count:     0
    .args:
      - .offset:         0
        .size:           3144
        .value_kind:     by_value
      - .offset:         3144
        .size:           1
        .value_kind:     by_value
      - .offset:         3145
        .size:           1
        .value_kind:     by_value
      - .offset:         3148
        .size:           4
        .value_kind:     by_value
      - .offset:         3152
        .size:           4
        .value_kind:     hidden_block_count_x
      - .offset:         3156
        .size:           4
        .value_kind:     hidden_block_count_y
      - .offset:         3160
        .size:           4
        .value_kind:     hidden_block_count_z
      - .offset:         3164
        .size:           2
        .value_kind:     hidden_group_size_x
      - .offset:         3166
        .size:           2
        .value_kind:     hidden_group_size_y
      - .offset:         3168
        .size:           2
        .value_kind:     hidden_group_size_z
      - .offset:         3170
        .size:           2
        .value_kind:     hidden_remainder_x
      - .offset:         3172
        .size:           2
        .value_kind:     hidden_remainder_y
      - .offset:         3174
        .size:           2
        .value_kind:     hidden_remainder_z
      - .offset:         3192
        .size:           8
        .value_kind:     hidden_global_offset_x
      - .offset:         3200
        .size:           8
        .value_kind:     hidden_global_offset_y
      - .offset:         3208
        .size:           8
        .value_kind:     hidden_global_offset_z
      - .offset:         3216
        .size:           2
        .value_kind:     hidden_grid_dims
    .group_segment_fixed_size: 0
    .kernarg_segment_align: 8
    .kernarg_segment_size: 3408
    .language:       OpenCL C
    .language_version:
      - 2
      - 0
    .max_flat_workgroup_size: 512
    .name:           _ZN2at6native12_GLOBAL__N_125multi_tensor_apply_kernelINS1_18TensorListMetadataILi2EEENS1_21BinaryOpScalarFunctorIfLi2ELi1ELi1EEEJNS0_7minimumIfEEfEEEvT_T0_DpT1_
    .private_segment_fixed_size: 0
    .sgpr_count:     36
    .sgpr_spill_count: 0
    .symbol:         _ZN2at6native12_GLOBAL__N_125multi_tensor_apply_kernelINS1_18TensorListMetadataILi2EEENS1_21BinaryOpScalarFunctorIfLi2ELi1ELi1EEEJNS0_7minimumIfEEfEEEvT_T0_DpT1_.kd
    .uniform_work_group_size: 1
    .uses_dynamic_stack: false
    .vgpr_count:     32
    .vgpr_spill_count: 0
    .wavefront_size: 64
  - .agpr_count:     0
    .args:
      - .offset:         0
        .size:           3144
        .value_kind:     by_value
      - .offset:         3144
        .size:           1
        .value_kind:     by_value
      - .offset:         3145
        .size:           1
        .value_kind:     by_value
      - .offset:         3148
        .size:           4
        .value_kind:     by_value
      - .offset:         3152
        .size:           4
        .value_kind:     hidden_block_count_x
      - .offset:         3156
        .size:           4
        .value_kind:     hidden_block_count_y
      - .offset:         3160
        .size:           4
        .value_kind:     hidden_block_count_z
      - .offset:         3164
        .size:           2
        .value_kind:     hidden_group_size_x
      - .offset:         3166
        .size:           2
        .value_kind:     hidden_group_size_y
      - .offset:         3168
        .size:           2
        .value_kind:     hidden_group_size_z
      - .offset:         3170
        .size:           2
        .value_kind:     hidden_remainder_x
      - .offset:         3172
        .size:           2
        .value_kind:     hidden_remainder_y
      - .offset:         3174
        .size:           2
        .value_kind:     hidden_remainder_z
      - .offset:         3192
        .size:           8
        .value_kind:     hidden_global_offset_x
      - .offset:         3200
        .size:           8
        .value_kind:     hidden_global_offset_y
      - .offset:         3208
        .size:           8
        .value_kind:     hidden_global_offset_z
      - .offset:         3216
        .size:           2
        .value_kind:     hidden_grid_dims
    .group_segment_fixed_size: 0
    .kernarg_segment_align: 8
    .kernarg_segment_size: 3408
    .language:       OpenCL C
    .language_version:
      - 2
      - 0
    .max_flat_workgroup_size: 512
    .name:           _ZN2at6native12_GLOBAL__N_125multi_tensor_apply_kernelINS1_18TensorListMetadataILi2EEENS1_21BinaryOpScalarFunctorIN3c104HalfELi2ELi1ELi1EEEJNS0_7minimumIfEEfEEEvT_T0_DpT1_
    .private_segment_fixed_size: 0
    .sgpr_count:     40
    .sgpr_spill_count: 0
    .symbol:         _ZN2at6native12_GLOBAL__N_125multi_tensor_apply_kernelINS1_18TensorListMetadataILi2EEENS1_21BinaryOpScalarFunctorIN3c104HalfELi2ELi1ELi1EEEJNS0_7minimumIfEEfEEEvT_T0_DpT1_.kd
    .uniform_work_group_size: 1
    .uses_dynamic_stack: false
    .vgpr_count:     34
    .vgpr_spill_count: 0
    .wavefront_size: 64
  - .agpr_count:     0
    .args:
      - .offset:         0
        .size:           3144
        .value_kind:     by_value
      - .offset:         3144
        .size:           1
        .value_kind:     by_value
      - .offset:         3145
        .size:           1
        .value_kind:     by_value
      - .offset:         3148
        .size:           4
        .value_kind:     by_value
      - .offset:         3152
        .size:           4
        .value_kind:     hidden_block_count_x
      - .offset:         3156
        .size:           4
        .value_kind:     hidden_block_count_y
      - .offset:         3160
        .size:           4
        .value_kind:     hidden_block_count_z
      - .offset:         3164
        .size:           2
        .value_kind:     hidden_group_size_x
      - .offset:         3166
        .size:           2
        .value_kind:     hidden_group_size_y
      - .offset:         3168
        .size:           2
        .value_kind:     hidden_group_size_z
      - .offset:         3170
        .size:           2
        .value_kind:     hidden_remainder_x
      - .offset:         3172
        .size:           2
        .value_kind:     hidden_remainder_y
      - .offset:         3174
        .size:           2
        .value_kind:     hidden_remainder_z
      - .offset:         3192
        .size:           8
        .value_kind:     hidden_global_offset_x
      - .offset:         3200
        .size:           8
        .value_kind:     hidden_global_offset_y
      - .offset:         3208
        .size:           8
        .value_kind:     hidden_global_offset_z
      - .offset:         3216
        .size:           2
        .value_kind:     hidden_grid_dims
    .group_segment_fixed_size: 0
    .kernarg_segment_align: 8
    .kernarg_segment_size: 3408
    .language:       OpenCL C
    .language_version:
      - 2
      - 0
    .max_flat_workgroup_size: 512
    .name:           _ZN2at6native12_GLOBAL__N_125multi_tensor_apply_kernelINS1_18TensorListMetadataILi2EEENS1_21BinaryOpScalarFunctorIN3c108BFloat16ELi2ELi1ELi1EEEJNS0_7minimumIfEEfEEEvT_T0_DpT1_
    .private_segment_fixed_size: 0
    .sgpr_count:     37
    .sgpr_spill_count: 0
    .symbol:         _ZN2at6native12_GLOBAL__N_125multi_tensor_apply_kernelINS1_18TensorListMetadataILi2EEENS1_21BinaryOpScalarFunctorIN3c108BFloat16ELi2ELi1ELi1EEEJNS0_7minimumIfEEfEEEvT_T0_DpT1_.kd
    .uniform_work_group_size: 1
    .uses_dynamic_stack: false
    .vgpr_count:     32
    .vgpr_spill_count: 0
    .wavefront_size: 64
  - .agpr_count:     0
    .args:
      - .offset:         0
        .size:           3368
        .value_kind:     by_value
      - .offset:         3368
        .size:           1
        .value_kind:     by_value
      - .offset:         3369
        .size:           1
        .value_kind:     by_value
      - .offset:         3370
        .size:           1
        .value_kind:     by_value
      - .offset:         3376
        .size:           4
        .value_kind:     hidden_block_count_x
      - .offset:         3380
        .size:           4
        .value_kind:     hidden_block_count_y
      - .offset:         3384
        .size:           4
        .value_kind:     hidden_block_count_z
      - .offset:         3388
        .size:           2
        .value_kind:     hidden_group_size_x
      - .offset:         3390
        .size:           2
        .value_kind:     hidden_group_size_y
      - .offset:         3392
        .size:           2
        .value_kind:     hidden_group_size_z
      - .offset:         3394
        .size:           2
        .value_kind:     hidden_remainder_x
      - .offset:         3396
        .size:           2
        .value_kind:     hidden_remainder_y
      - .offset:         3398
        .size:           2
        .value_kind:     hidden_remainder_z
      - .offset:         3416
        .size:           8
        .value_kind:     hidden_global_offset_x
      - .offset:         3424
        .size:           8
        .value_kind:     hidden_global_offset_y
      - .offset:         3432
        .size:           8
        .value_kind:     hidden_global_offset_z
      - .offset:         3440
        .size:           2
        .value_kind:     hidden_grid_dims
    .group_segment_fixed_size: 0
    .kernarg_segment_align: 8
    .kernarg_segment_size: 3632
    .language:       OpenCL C
    .language_version:
      - 2
      - 0
    .max_flat_workgroup_size: 512
    .name:           _ZN2at6native12_GLOBAL__N_125multi_tensor_apply_kernelINS1_18TensorListMetadataILi1EEENS1_21BinaryOpScalarFunctorIhLi1ELi1ELi0EEEJNS0_7maximumIhEEhEEEvT_T0_DpT1_
    .private_segment_fixed_size: 0
    .sgpr_count:     29
    .sgpr_spill_count: 0
    .symbol:         _ZN2at6native12_GLOBAL__N_125multi_tensor_apply_kernelINS1_18TensorListMetadataILi1EEENS1_21BinaryOpScalarFunctorIhLi1ELi1ELi0EEEJNS0_7maximumIhEEhEEEvT_T0_DpT1_.kd
    .uniform_work_group_size: 1
    .uses_dynamic_stack: false
    .vgpr_count:     30
    .vgpr_spill_count: 0
    .wavefront_size: 64
  - .agpr_count:     0
    .args:
      - .offset:         0
        .size:           3368
        .value_kind:     by_value
      - .offset:         3368
        .size:           1
        .value_kind:     by_value
      - .offset:         3369
        .size:           1
        .value_kind:     by_value
      - .offset:         3370
        .size:           1
        .value_kind:     by_value
      - .offset:         3376
        .size:           4
        .value_kind:     hidden_block_count_x
      - .offset:         3380
        .size:           4
        .value_kind:     hidden_block_count_y
      - .offset:         3384
        .size:           4
        .value_kind:     hidden_block_count_z
      - .offset:         3388
        .size:           2
        .value_kind:     hidden_group_size_x
      - .offset:         3390
        .size:           2
        .value_kind:     hidden_group_size_y
      - .offset:         3392
        .size:           2
        .value_kind:     hidden_group_size_z
      - .offset:         3394
        .size:           2
        .value_kind:     hidden_remainder_x
      - .offset:         3396
        .size:           2
        .value_kind:     hidden_remainder_y
      - .offset:         3398
        .size:           2
        .value_kind:     hidden_remainder_z
      - .offset:         3416
        .size:           8
        .value_kind:     hidden_global_offset_x
      - .offset:         3424
        .size:           8
        .value_kind:     hidden_global_offset_y
      - .offset:         3432
        .size:           8
        .value_kind:     hidden_global_offset_z
      - .offset:         3440
        .size:           2
        .value_kind:     hidden_grid_dims
    .group_segment_fixed_size: 0
    .kernarg_segment_align: 8
    .kernarg_segment_size: 3632
    .language:       OpenCL C
    .language_version:
      - 2
      - 0
    .max_flat_workgroup_size: 512
    .name:           _ZN2at6native12_GLOBAL__N_125multi_tensor_apply_kernelINS1_18TensorListMetadataILi1EEENS1_21BinaryOpScalarFunctorIaLi1ELi1ELi0EEEJNS0_7maximumIaEEaEEEvT_T0_DpT1_
    .private_segment_fixed_size: 0
    .sgpr_count:     29
    .sgpr_spill_count: 0
    .symbol:         _ZN2at6native12_GLOBAL__N_125multi_tensor_apply_kernelINS1_18TensorListMetadataILi1EEENS1_21BinaryOpScalarFunctorIaLi1ELi1ELi0EEEJNS0_7maximumIaEEaEEEvT_T0_DpT1_.kd
    .uniform_work_group_size: 1
    .uses_dynamic_stack: false
    .vgpr_count:     30
    .vgpr_spill_count: 0
    .wavefront_size: 64
  - .agpr_count:     0
    .args:
      - .offset:         0
        .size:           3368
        .value_kind:     by_value
      - .offset:         3368
        .size:           1
        .value_kind:     by_value
      - .offset:         3369
        .size:           1
        .value_kind:     by_value
      - .offset:         3372
        .size:           4
        .value_kind:     by_value
      - .offset:         3376
        .size:           4
        .value_kind:     hidden_block_count_x
      - .offset:         3380
        .size:           4
        .value_kind:     hidden_block_count_y
      - .offset:         3384
        .size:           4
        .value_kind:     hidden_block_count_z
      - .offset:         3388
        .size:           2
        .value_kind:     hidden_group_size_x
      - .offset:         3390
        .size:           2
        .value_kind:     hidden_group_size_y
      - .offset:         3392
        .size:           2
        .value_kind:     hidden_group_size_z
      - .offset:         3394
        .size:           2
        .value_kind:     hidden_remainder_x
      - .offset:         3396
        .size:           2
        .value_kind:     hidden_remainder_y
      - .offset:         3398
        .size:           2
        .value_kind:     hidden_remainder_z
      - .offset:         3416
        .size:           8
        .value_kind:     hidden_global_offset_x
      - .offset:         3424
        .size:           8
        .value_kind:     hidden_global_offset_y
      - .offset:         3432
        .size:           8
        .value_kind:     hidden_global_offset_z
      - .offset:         3440
        .size:           2
        .value_kind:     hidden_grid_dims
    .group_segment_fixed_size: 0
    .kernarg_segment_align: 8
    .kernarg_segment_size: 3632
    .language:       OpenCL C
    .language_version:
      - 2
      - 0
    .max_flat_workgroup_size: 512
    .name:           _ZN2at6native12_GLOBAL__N_125multi_tensor_apply_kernelINS1_18TensorListMetadataILi1EEENS1_21BinaryOpScalarFunctorIiLi1ELi1ELi0EEEJNS0_7maximumIiEEiEEEvT_T0_DpT1_
    .private_segment_fixed_size: 0
    .sgpr_count:     34
    .sgpr_spill_count: 0
    .symbol:         _ZN2at6native12_GLOBAL__N_125multi_tensor_apply_kernelINS1_18TensorListMetadataILi1EEENS1_21BinaryOpScalarFunctorIiLi1ELi1ELi0EEEJNS0_7maximumIiEEiEEEvT_T0_DpT1_.kd
    .uniform_work_group_size: 1
    .uses_dynamic_stack: false
    .vgpr_count:     22
    .vgpr_spill_count: 0
    .wavefront_size: 64
  - .agpr_count:     0
    .args:
      - .offset:         0
        .size:           3368
        .value_kind:     by_value
      - .offset:         3368
        .size:           1
        .value_kind:     by_value
      - .offset:         3369
        .size:           1
        .value_kind:     by_value
      - .offset:         3376
        .size:           8
        .value_kind:     by_value
      - .offset:         3384
        .size:           4
        .value_kind:     hidden_block_count_x
      - .offset:         3388
        .size:           4
        .value_kind:     hidden_block_count_y
      - .offset:         3392
        .size:           4
        .value_kind:     hidden_block_count_z
      - .offset:         3396
        .size:           2
        .value_kind:     hidden_group_size_x
      - .offset:         3398
        .size:           2
        .value_kind:     hidden_group_size_y
      - .offset:         3400
        .size:           2
        .value_kind:     hidden_group_size_z
      - .offset:         3402
        .size:           2
        .value_kind:     hidden_remainder_x
      - .offset:         3404
        .size:           2
        .value_kind:     hidden_remainder_y
      - .offset:         3406
        .size:           2
        .value_kind:     hidden_remainder_z
      - .offset:         3424
        .size:           8
        .value_kind:     hidden_global_offset_x
      - .offset:         3432
        .size:           8
        .value_kind:     hidden_global_offset_y
      - .offset:         3440
        .size:           8
        .value_kind:     hidden_global_offset_z
      - .offset:         3448
        .size:           2
        .value_kind:     hidden_grid_dims
    .group_segment_fixed_size: 0
    .kernarg_segment_align: 8
    .kernarg_segment_size: 3640
    .language:       OpenCL C
    .language_version:
      - 2
      - 0
    .max_flat_workgroup_size: 512
    .name:           _ZN2at6native12_GLOBAL__N_125multi_tensor_apply_kernelINS1_18TensorListMetadataILi1EEENS1_21BinaryOpScalarFunctorIlLi1ELi1ELi0EEEJNS0_7maximumIlEElEEEvT_T0_DpT1_
    .private_segment_fixed_size: 0
    .sgpr_count:     35
    .sgpr_spill_count: 0
    .symbol:         _ZN2at6native12_GLOBAL__N_125multi_tensor_apply_kernelINS1_18TensorListMetadataILi1EEENS1_21BinaryOpScalarFunctorIlLi1ELi1ELi0EEEJNS0_7maximumIlEElEEEvT_T0_DpT1_.kd
    .uniform_work_group_size: 1
    .uses_dynamic_stack: false
    .vgpr_count:     27
    .vgpr_spill_count: 0
    .wavefront_size: 64
  - .agpr_count:     0
    .args:
      - .offset:         0
        .size:           3368
        .value_kind:     by_value
      - .offset:         3368
        .size:           1
        .value_kind:     by_value
      - .offset:         3369
        .size:           1
        .value_kind:     by_value
      - .offset:         3370
        .size:           2
        .value_kind:     by_value
      - .offset:         3376
        .size:           4
        .value_kind:     hidden_block_count_x
      - .offset:         3380
        .size:           4
        .value_kind:     hidden_block_count_y
      - .offset:         3384
        .size:           4
        .value_kind:     hidden_block_count_z
      - .offset:         3388
        .size:           2
        .value_kind:     hidden_group_size_x
      - .offset:         3390
        .size:           2
        .value_kind:     hidden_group_size_y
      - .offset:         3392
        .size:           2
        .value_kind:     hidden_group_size_z
      - .offset:         3394
        .size:           2
        .value_kind:     hidden_remainder_x
      - .offset:         3396
        .size:           2
        .value_kind:     hidden_remainder_y
      - .offset:         3398
        .size:           2
        .value_kind:     hidden_remainder_z
      - .offset:         3416
        .size:           8
        .value_kind:     hidden_global_offset_x
      - .offset:         3424
        .size:           8
        .value_kind:     hidden_global_offset_y
      - .offset:         3432
        .size:           8
        .value_kind:     hidden_global_offset_z
      - .offset:         3440
        .size:           2
        .value_kind:     hidden_grid_dims
    .group_segment_fixed_size: 0
    .kernarg_segment_align: 8
    .kernarg_segment_size: 3632
    .language:       OpenCL C
    .language_version:
      - 2
      - 0
    .max_flat_workgroup_size: 512
    .name:           _ZN2at6native12_GLOBAL__N_125multi_tensor_apply_kernelINS1_18TensorListMetadataILi1EEENS1_21BinaryOpScalarFunctorIsLi1ELi1ELi0EEEJNS0_7maximumIsEEsEEEvT_T0_DpT1_
    .private_segment_fixed_size: 0
    .sgpr_count:     33
    .sgpr_spill_count: 0
    .symbol:         _ZN2at6native12_GLOBAL__N_125multi_tensor_apply_kernelINS1_18TensorListMetadataILi1EEENS1_21BinaryOpScalarFunctorIsLi1ELi1ELi0EEEJNS0_7maximumIsEEsEEEvT_T0_DpT1_.kd
    .uniform_work_group_size: 1
    .uses_dynamic_stack: false
    .vgpr_count:     22
    .vgpr_spill_count: 0
    .wavefront_size: 64
  - .agpr_count:     0
    .args:
      - .offset:         0
        .size:           3368
        .value_kind:     by_value
      - .offset:         3368
        .size:           1
        .value_kind:     by_value
      - .offset:         3369
        .size:           1
        .value_kind:     by_value
      - .offset:         3376
        .size:           8
        .value_kind:     by_value
      - .offset:         3384
        .size:           4
        .value_kind:     hidden_block_count_x
      - .offset:         3388
        .size:           4
        .value_kind:     hidden_block_count_y
      - .offset:         3392
        .size:           4
        .value_kind:     hidden_block_count_z
      - .offset:         3396
        .size:           2
        .value_kind:     hidden_group_size_x
      - .offset:         3398
        .size:           2
        .value_kind:     hidden_group_size_y
      - .offset:         3400
        .size:           2
        .value_kind:     hidden_group_size_z
      - .offset:         3402
        .size:           2
        .value_kind:     hidden_remainder_x
      - .offset:         3404
        .size:           2
        .value_kind:     hidden_remainder_y
      - .offset:         3406
        .size:           2
        .value_kind:     hidden_remainder_z
      - .offset:         3424
        .size:           8
        .value_kind:     hidden_global_offset_x
      - .offset:         3432
        .size:           8
        .value_kind:     hidden_global_offset_y
      - .offset:         3440
        .size:           8
        .value_kind:     hidden_global_offset_z
      - .offset:         3448
        .size:           2
        .value_kind:     hidden_grid_dims
    .group_segment_fixed_size: 0
    .kernarg_segment_align: 8
    .kernarg_segment_size: 3640
    .language:       OpenCL C
    .language_version:
      - 2
      - 0
    .max_flat_workgroup_size: 512
    .name:           _ZN2at6native12_GLOBAL__N_125multi_tensor_apply_kernelINS1_18TensorListMetadataILi1EEENS1_21BinaryOpScalarFunctorIdLi1ELi1ELi0EEEJNS0_7maximumIdEEdEEEvT_T0_DpT1_
    .private_segment_fixed_size: 0
    .sgpr_count:     37
    .sgpr_spill_count: 0
    .symbol:         _ZN2at6native12_GLOBAL__N_125multi_tensor_apply_kernelINS1_18TensorListMetadataILi1EEENS1_21BinaryOpScalarFunctorIdLi1ELi1ELi0EEEJNS0_7maximumIdEEdEEEvT_T0_DpT1_.kd
    .uniform_work_group_size: 1
    .uses_dynamic_stack: false
    .vgpr_count:     27
    .vgpr_spill_count: 0
    .wavefront_size: 64
  - .agpr_count:     0
    .args:
      - .offset:         0
        .size:           3368
        .value_kind:     by_value
      - .offset:         3368
        .size:           1
        .value_kind:     by_value
      - .offset:         3369
        .size:           1
        .value_kind:     by_value
      - .offset:         3372
        .size:           4
        .value_kind:     by_value
      - .offset:         3376
        .size:           4
        .value_kind:     hidden_block_count_x
      - .offset:         3380
        .size:           4
        .value_kind:     hidden_block_count_y
      - .offset:         3384
        .size:           4
        .value_kind:     hidden_block_count_z
      - .offset:         3388
        .size:           2
        .value_kind:     hidden_group_size_x
      - .offset:         3390
        .size:           2
        .value_kind:     hidden_group_size_y
      - .offset:         3392
        .size:           2
        .value_kind:     hidden_group_size_z
      - .offset:         3394
        .size:           2
        .value_kind:     hidden_remainder_x
      - .offset:         3396
        .size:           2
        .value_kind:     hidden_remainder_y
      - .offset:         3398
        .size:           2
        .value_kind:     hidden_remainder_z
      - .offset:         3416
        .size:           8
        .value_kind:     hidden_global_offset_x
      - .offset:         3424
        .size:           8
        .value_kind:     hidden_global_offset_y
      - .offset:         3432
        .size:           8
        .value_kind:     hidden_global_offset_z
      - .offset:         3440
        .size:           2
        .value_kind:     hidden_grid_dims
    .group_segment_fixed_size: 0
    .kernarg_segment_align: 8
    .kernarg_segment_size: 3632
    .language:       OpenCL C
    .language_version:
      - 2
      - 0
    .max_flat_workgroup_size: 512
    .name:           _ZN2at6native12_GLOBAL__N_125multi_tensor_apply_kernelINS1_18TensorListMetadataILi1EEENS1_21BinaryOpScalarFunctorIfLi1ELi1ELi0EEEJNS0_7maximumIfEEfEEEvT_T0_DpT1_
    .private_segment_fixed_size: 0
    .sgpr_count:     56
    .sgpr_spill_count: 0
    .symbol:         _ZN2at6native12_GLOBAL__N_125multi_tensor_apply_kernelINS1_18TensorListMetadataILi1EEENS1_21BinaryOpScalarFunctorIfLi1ELi1ELi0EEEJNS0_7maximumIfEEfEEEvT_T0_DpT1_.kd
    .uniform_work_group_size: 1
    .uses_dynamic_stack: false
    .vgpr_count:     23
    .vgpr_spill_count: 0
    .wavefront_size: 64
  - .agpr_count:     0
    .args:
      - .offset:         0
        .size:           3368
        .value_kind:     by_value
      - .offset:         3368
        .size:           1
        .value_kind:     by_value
      - .offset:         3369
        .size:           1
        .value_kind:     by_value
      - .offset:         3372
        .size:           4
        .value_kind:     by_value
      - .offset:         3376
        .size:           4
        .value_kind:     hidden_block_count_x
      - .offset:         3380
        .size:           4
        .value_kind:     hidden_block_count_y
      - .offset:         3384
        .size:           4
        .value_kind:     hidden_block_count_z
      - .offset:         3388
        .size:           2
        .value_kind:     hidden_group_size_x
      - .offset:         3390
        .size:           2
        .value_kind:     hidden_group_size_y
      - .offset:         3392
        .size:           2
        .value_kind:     hidden_group_size_z
      - .offset:         3394
        .size:           2
        .value_kind:     hidden_remainder_x
      - .offset:         3396
        .size:           2
        .value_kind:     hidden_remainder_y
      - .offset:         3398
        .size:           2
        .value_kind:     hidden_remainder_z
      - .offset:         3416
        .size:           8
        .value_kind:     hidden_global_offset_x
      - .offset:         3424
        .size:           8
        .value_kind:     hidden_global_offset_y
      - .offset:         3432
        .size:           8
        .value_kind:     hidden_global_offset_z
      - .offset:         3440
        .size:           2
        .value_kind:     hidden_grid_dims
    .group_segment_fixed_size: 0
    .kernarg_segment_align: 8
    .kernarg_segment_size: 3632
    .language:       OpenCL C
    .language_version:
      - 2
      - 0
    .max_flat_workgroup_size: 512
    .name:           _ZN2at6native12_GLOBAL__N_125multi_tensor_apply_kernelINS1_18TensorListMetadataILi1EEENS1_21BinaryOpScalarFunctorIN3c104HalfELi1ELi1ELi0EEEJNS0_7maximumIfEEfEEEvT_T0_DpT1_
    .private_segment_fixed_size: 0
    .sgpr_count:     35
    .sgpr_spill_count: 0
    .symbol:         _ZN2at6native12_GLOBAL__N_125multi_tensor_apply_kernelINS1_18TensorListMetadataILi1EEENS1_21BinaryOpScalarFunctorIN3c104HalfELi1ELi1ELi0EEEJNS0_7maximumIfEEfEEEvT_T0_DpT1_.kd
    .uniform_work_group_size: 1
    .uses_dynamic_stack: false
    .vgpr_count:     24
    .vgpr_spill_count: 0
    .wavefront_size: 64
  - .agpr_count:     0
    .args:
      - .offset:         0
        .size:           3368
        .value_kind:     by_value
      - .offset:         3368
        .size:           1
        .value_kind:     by_value
      - .offset:         3369
        .size:           1
        .value_kind:     by_value
      - .offset:         3372
        .size:           4
        .value_kind:     by_value
      - .offset:         3376
        .size:           4
        .value_kind:     hidden_block_count_x
      - .offset:         3380
        .size:           4
        .value_kind:     hidden_block_count_y
      - .offset:         3384
        .size:           4
        .value_kind:     hidden_block_count_z
      - .offset:         3388
        .size:           2
        .value_kind:     hidden_group_size_x
      - .offset:         3390
        .size:           2
        .value_kind:     hidden_group_size_y
      - .offset:         3392
        .size:           2
        .value_kind:     hidden_group_size_z
      - .offset:         3394
        .size:           2
        .value_kind:     hidden_remainder_x
      - .offset:         3396
        .size:           2
        .value_kind:     hidden_remainder_y
      - .offset:         3398
        .size:           2
        .value_kind:     hidden_remainder_z
      - .offset:         3416
        .size:           8
        .value_kind:     hidden_global_offset_x
      - .offset:         3424
        .size:           8
        .value_kind:     hidden_global_offset_y
      - .offset:         3432
        .size:           8
        .value_kind:     hidden_global_offset_z
      - .offset:         3440
        .size:           2
        .value_kind:     hidden_grid_dims
    .group_segment_fixed_size: 0
    .kernarg_segment_align: 8
    .kernarg_segment_size: 3632
    .language:       OpenCL C
    .language_version:
      - 2
      - 0
    .max_flat_workgroup_size: 512
    .name:           _ZN2at6native12_GLOBAL__N_125multi_tensor_apply_kernelINS1_18TensorListMetadataILi1EEENS1_21BinaryOpScalarFunctorIN3c108BFloat16ELi1ELi1ELi0EEEJNS0_7maximumIfEEfEEEvT_T0_DpT1_
    .private_segment_fixed_size: 0
    .sgpr_count:     36
    .sgpr_spill_count: 0
    .symbol:         _ZN2at6native12_GLOBAL__N_125multi_tensor_apply_kernelINS1_18TensorListMetadataILi1EEENS1_21BinaryOpScalarFunctorIN3c108BFloat16ELi1ELi1ELi0EEEJNS0_7maximumIfEEfEEEvT_T0_DpT1_.kd
    .uniform_work_group_size: 1
    .uses_dynamic_stack: false
    .vgpr_count:     24
    .vgpr_spill_count: 0
    .wavefront_size: 64
  - .agpr_count:     0
    .args:
      - .offset:         0
        .size:           3144
        .value_kind:     by_value
      - .offset:         3144
        .size:           1
        .value_kind:     by_value
      - .offset:         3145
        .size:           1
        .value_kind:     by_value
      - .offset:         3146
        .size:           1
        .value_kind:     by_value
      - .offset:         3152
        .size:           4
        .value_kind:     hidden_block_count_x
      - .offset:         3156
        .size:           4
        .value_kind:     hidden_block_count_y
      - .offset:         3160
        .size:           4
        .value_kind:     hidden_block_count_z
      - .offset:         3164
        .size:           2
        .value_kind:     hidden_group_size_x
      - .offset:         3166
        .size:           2
        .value_kind:     hidden_group_size_y
      - .offset:         3168
        .size:           2
        .value_kind:     hidden_group_size_z
      - .offset:         3170
        .size:           2
        .value_kind:     hidden_remainder_x
      - .offset:         3172
        .size:           2
        .value_kind:     hidden_remainder_y
      - .offset:         3174
        .size:           2
        .value_kind:     hidden_remainder_z
      - .offset:         3192
        .size:           8
        .value_kind:     hidden_global_offset_x
      - .offset:         3200
        .size:           8
        .value_kind:     hidden_global_offset_y
      - .offset:         3208
        .size:           8
        .value_kind:     hidden_global_offset_z
      - .offset:         3216
        .size:           2
        .value_kind:     hidden_grid_dims
    .group_segment_fixed_size: 0
    .kernarg_segment_align: 8
    .kernarg_segment_size: 3408
    .language:       OpenCL C
    .language_version:
      - 2
      - 0
    .max_flat_workgroup_size: 512
    .name:           _ZN2at6native12_GLOBAL__N_125multi_tensor_apply_kernelINS1_18TensorListMetadataILi2EEENS1_21BinaryOpScalarFunctorIhLi2ELi1ELi1EEEJNS0_7maximumIhEEhEEEvT_T0_DpT1_
    .private_segment_fixed_size: 0
    .sgpr_count:     31
    .sgpr_spill_count: 0
    .symbol:         _ZN2at6native12_GLOBAL__N_125multi_tensor_apply_kernelINS1_18TensorListMetadataILi2EEENS1_21BinaryOpScalarFunctorIhLi2ELi1ELi1EEEJNS0_7maximumIhEEhEEEvT_T0_DpT1_.kd
    .uniform_work_group_size: 1
    .uses_dynamic_stack: false
    .vgpr_count:     32
    .vgpr_spill_count: 0
    .wavefront_size: 64
  - .agpr_count:     0
    .args:
      - .offset:         0
        .size:           3144
        .value_kind:     by_value
      - .offset:         3144
        .size:           1
        .value_kind:     by_value
      - .offset:         3145
        .size:           1
        .value_kind:     by_value
      - .offset:         3146
        .size:           1
        .value_kind:     by_value
      - .offset:         3152
        .size:           4
        .value_kind:     hidden_block_count_x
      - .offset:         3156
        .size:           4
        .value_kind:     hidden_block_count_y
      - .offset:         3160
        .size:           4
        .value_kind:     hidden_block_count_z
      - .offset:         3164
        .size:           2
        .value_kind:     hidden_group_size_x
      - .offset:         3166
        .size:           2
        .value_kind:     hidden_group_size_y
      - .offset:         3168
        .size:           2
        .value_kind:     hidden_group_size_z
      - .offset:         3170
        .size:           2
        .value_kind:     hidden_remainder_x
      - .offset:         3172
        .size:           2
        .value_kind:     hidden_remainder_y
      - .offset:         3174
        .size:           2
        .value_kind:     hidden_remainder_z
      - .offset:         3192
        .size:           8
        .value_kind:     hidden_global_offset_x
      - .offset:         3200
        .size:           8
        .value_kind:     hidden_global_offset_y
      - .offset:         3208
        .size:           8
        .value_kind:     hidden_global_offset_z
      - .offset:         3216
        .size:           2
        .value_kind:     hidden_grid_dims
    .group_segment_fixed_size: 0
    .kernarg_segment_align: 8
    .kernarg_segment_size: 3408
    .language:       OpenCL C
    .language_version:
      - 2
      - 0
    .max_flat_workgroup_size: 512
    .name:           _ZN2at6native12_GLOBAL__N_125multi_tensor_apply_kernelINS1_18TensorListMetadataILi2EEENS1_21BinaryOpScalarFunctorIaLi2ELi1ELi1EEEJNS0_7maximumIaEEaEEEvT_T0_DpT1_
    .private_segment_fixed_size: 0
    .sgpr_count:     31
    .sgpr_spill_count: 0
    .symbol:         _ZN2at6native12_GLOBAL__N_125multi_tensor_apply_kernelINS1_18TensorListMetadataILi2EEENS1_21BinaryOpScalarFunctorIaLi2ELi1ELi1EEEJNS0_7maximumIaEEaEEEvT_T0_DpT1_.kd
    .uniform_work_group_size: 1
    .uses_dynamic_stack: false
    .vgpr_count:     32
    .vgpr_spill_count: 0
    .wavefront_size: 64
  - .agpr_count:     0
    .args:
      - .offset:         0
        .size:           3144
        .value_kind:     by_value
      - .offset:         3144
        .size:           1
        .value_kind:     by_value
      - .offset:         3145
        .size:           1
        .value_kind:     by_value
      - .offset:         3148
        .size:           4
        .value_kind:     by_value
      - .offset:         3152
        .size:           4
        .value_kind:     hidden_block_count_x
      - .offset:         3156
        .size:           4
        .value_kind:     hidden_block_count_y
      - .offset:         3160
        .size:           4
        .value_kind:     hidden_block_count_z
      - .offset:         3164
        .size:           2
        .value_kind:     hidden_group_size_x
      - .offset:         3166
        .size:           2
        .value_kind:     hidden_group_size_y
      - .offset:         3168
        .size:           2
        .value_kind:     hidden_group_size_z
      - .offset:         3170
        .size:           2
        .value_kind:     hidden_remainder_x
      - .offset:         3172
        .size:           2
        .value_kind:     hidden_remainder_y
      - .offset:         3174
        .size:           2
        .value_kind:     hidden_remainder_z
      - .offset:         3192
        .size:           8
        .value_kind:     hidden_global_offset_x
      - .offset:         3200
        .size:           8
        .value_kind:     hidden_global_offset_y
      - .offset:         3208
        .size:           8
        .value_kind:     hidden_global_offset_z
      - .offset:         3216
        .size:           2
        .value_kind:     hidden_grid_dims
    .group_segment_fixed_size: 0
    .kernarg_segment_align: 8
    .kernarg_segment_size: 3408
    .language:       OpenCL C
    .language_version:
      - 2
      - 0
    .max_flat_workgroup_size: 512
    .name:           _ZN2at6native12_GLOBAL__N_125multi_tensor_apply_kernelINS1_18TensorListMetadataILi2EEENS1_21BinaryOpScalarFunctorIiLi2ELi1ELi1EEEJNS0_7maximumIiEEiEEEvT_T0_DpT1_
    .private_segment_fixed_size: 0
    .sgpr_count:     32
    .sgpr_spill_count: 0
    .symbol:         _ZN2at6native12_GLOBAL__N_125multi_tensor_apply_kernelINS1_18TensorListMetadataILi2EEENS1_21BinaryOpScalarFunctorIiLi2ELi1ELi1EEEJNS0_7maximumIiEEiEEEvT_T0_DpT1_.kd
    .uniform_work_group_size: 1
    .uses_dynamic_stack: false
    .vgpr_count:     32
    .vgpr_spill_count: 0
    .wavefront_size: 64
  - .agpr_count:     0
    .args:
      - .offset:         0
        .size:           3144
        .value_kind:     by_value
      - .offset:         3144
        .size:           1
        .value_kind:     by_value
      - .offset:         3145
        .size:           1
        .value_kind:     by_value
      - .offset:         3152
        .size:           8
        .value_kind:     by_value
      - .offset:         3160
        .size:           4
        .value_kind:     hidden_block_count_x
      - .offset:         3164
        .size:           4
        .value_kind:     hidden_block_count_y
      - .offset:         3168
        .size:           4
        .value_kind:     hidden_block_count_z
      - .offset:         3172
        .size:           2
        .value_kind:     hidden_group_size_x
      - .offset:         3174
        .size:           2
        .value_kind:     hidden_group_size_y
      - .offset:         3176
        .size:           2
        .value_kind:     hidden_group_size_z
      - .offset:         3178
        .size:           2
        .value_kind:     hidden_remainder_x
      - .offset:         3180
        .size:           2
        .value_kind:     hidden_remainder_y
      - .offset:         3182
        .size:           2
        .value_kind:     hidden_remainder_z
      - .offset:         3200
        .size:           8
        .value_kind:     hidden_global_offset_x
      - .offset:         3208
        .size:           8
        .value_kind:     hidden_global_offset_y
      - .offset:         3216
        .size:           8
        .value_kind:     hidden_global_offset_z
      - .offset:         3224
        .size:           2
        .value_kind:     hidden_grid_dims
    .group_segment_fixed_size: 0
    .kernarg_segment_align: 8
    .kernarg_segment_size: 3416
    .language:       OpenCL C
    .language_version:
      - 2
      - 0
    .max_flat_workgroup_size: 512
    .name:           _ZN2at6native12_GLOBAL__N_125multi_tensor_apply_kernelINS1_18TensorListMetadataILi2EEENS1_21BinaryOpScalarFunctorIlLi2ELi1ELi1EEEJNS0_7maximumIlEElEEEvT_T0_DpT1_
    .private_segment_fixed_size: 0
    .sgpr_count:     35
    .sgpr_spill_count: 0
    .symbol:         _ZN2at6native12_GLOBAL__N_125multi_tensor_apply_kernelINS1_18TensorListMetadataILi2EEENS1_21BinaryOpScalarFunctorIlLi2ELi1ELi1EEEJNS0_7maximumIlEElEEEvT_T0_DpT1_.kd
    .uniform_work_group_size: 1
    .uses_dynamic_stack: false
    .vgpr_count:     34
    .vgpr_spill_count: 0
    .wavefront_size: 64
  - .agpr_count:     0
    .args:
      - .offset:         0
        .size:           3144
        .value_kind:     by_value
      - .offset:         3144
        .size:           1
        .value_kind:     by_value
      - .offset:         3145
        .size:           1
        .value_kind:     by_value
      - .offset:         3146
        .size:           2
        .value_kind:     by_value
      - .offset:         3152
        .size:           4
        .value_kind:     hidden_block_count_x
      - .offset:         3156
        .size:           4
        .value_kind:     hidden_block_count_y
      - .offset:         3160
        .size:           4
        .value_kind:     hidden_block_count_z
      - .offset:         3164
        .size:           2
        .value_kind:     hidden_group_size_x
      - .offset:         3166
        .size:           2
        .value_kind:     hidden_group_size_y
      - .offset:         3168
        .size:           2
        .value_kind:     hidden_group_size_z
      - .offset:         3170
        .size:           2
        .value_kind:     hidden_remainder_x
      - .offset:         3172
        .size:           2
        .value_kind:     hidden_remainder_y
      - .offset:         3174
        .size:           2
        .value_kind:     hidden_remainder_z
      - .offset:         3192
        .size:           8
        .value_kind:     hidden_global_offset_x
      - .offset:         3200
        .size:           8
        .value_kind:     hidden_global_offset_y
      - .offset:         3208
        .size:           8
        .value_kind:     hidden_global_offset_z
      - .offset:         3216
        .size:           2
        .value_kind:     hidden_grid_dims
    .group_segment_fixed_size: 0
    .kernarg_segment_align: 8
    .kernarg_segment_size: 3408
    .language:       OpenCL C
    .language_version:
      - 2
      - 0
    .max_flat_workgroup_size: 512
    .name:           _ZN2at6native12_GLOBAL__N_125multi_tensor_apply_kernelINS1_18TensorListMetadataILi2EEENS1_21BinaryOpScalarFunctorIsLi2ELi1ELi1EEEJNS0_7maximumIsEEsEEEvT_T0_DpT1_
    .private_segment_fixed_size: 0
    .sgpr_count:     33
    .sgpr_spill_count: 0
    .symbol:         _ZN2at6native12_GLOBAL__N_125multi_tensor_apply_kernelINS1_18TensorListMetadataILi2EEENS1_21BinaryOpScalarFunctorIsLi2ELi1ELi1EEEJNS0_7maximumIsEEsEEEvT_T0_DpT1_.kd
    .uniform_work_group_size: 1
    .uses_dynamic_stack: false
    .vgpr_count:     32
    .vgpr_spill_count: 0
    .wavefront_size: 64
  - .agpr_count:     0
    .args:
      - .offset:         0
        .size:           3144
        .value_kind:     by_value
      - .offset:         3144
        .size:           1
        .value_kind:     by_value
      - .offset:         3145
        .size:           1
        .value_kind:     by_value
      - .offset:         3152
        .size:           8
        .value_kind:     by_value
      - .offset:         3160
        .size:           4
        .value_kind:     hidden_block_count_x
      - .offset:         3164
        .size:           4
        .value_kind:     hidden_block_count_y
      - .offset:         3168
        .size:           4
        .value_kind:     hidden_block_count_z
      - .offset:         3172
        .size:           2
        .value_kind:     hidden_group_size_x
      - .offset:         3174
        .size:           2
        .value_kind:     hidden_group_size_y
      - .offset:         3176
        .size:           2
        .value_kind:     hidden_group_size_z
      - .offset:         3178
        .size:           2
        .value_kind:     hidden_remainder_x
      - .offset:         3180
        .size:           2
        .value_kind:     hidden_remainder_y
      - .offset:         3182
        .size:           2
        .value_kind:     hidden_remainder_z
      - .offset:         3200
        .size:           8
        .value_kind:     hidden_global_offset_x
      - .offset:         3208
        .size:           8
        .value_kind:     hidden_global_offset_y
      - .offset:         3216
        .size:           8
        .value_kind:     hidden_global_offset_z
      - .offset:         3224
        .size:           2
        .value_kind:     hidden_grid_dims
    .group_segment_fixed_size: 0
    .kernarg_segment_align: 8
    .kernarg_segment_size: 3416
    .language:       OpenCL C
    .language_version:
      - 2
      - 0
    .max_flat_workgroup_size: 512
    .name:           _ZN2at6native12_GLOBAL__N_125multi_tensor_apply_kernelINS1_18TensorListMetadataILi2EEENS1_21BinaryOpScalarFunctorIdLi2ELi1ELi1EEEJNS0_7maximumIdEEdEEEvT_T0_DpT1_
    .private_segment_fixed_size: 0
    .sgpr_count:     37
    .sgpr_spill_count: 0
    .symbol:         _ZN2at6native12_GLOBAL__N_125multi_tensor_apply_kernelINS1_18TensorListMetadataILi2EEENS1_21BinaryOpScalarFunctorIdLi2ELi1ELi1EEEJNS0_7maximumIdEEdEEEvT_T0_DpT1_.kd
    .uniform_work_group_size: 1
    .uses_dynamic_stack: false
    .vgpr_count:     34
    .vgpr_spill_count: 0
    .wavefront_size: 64
  - .agpr_count:     0
    .args:
      - .offset:         0
        .size:           3144
        .value_kind:     by_value
      - .offset:         3144
        .size:           1
        .value_kind:     by_value
      - .offset:         3145
        .size:           1
        .value_kind:     by_value
      - .offset:         3148
        .size:           4
        .value_kind:     by_value
      - .offset:         3152
        .size:           4
        .value_kind:     hidden_block_count_x
      - .offset:         3156
        .size:           4
        .value_kind:     hidden_block_count_y
      - .offset:         3160
        .size:           4
        .value_kind:     hidden_block_count_z
      - .offset:         3164
        .size:           2
        .value_kind:     hidden_group_size_x
      - .offset:         3166
        .size:           2
        .value_kind:     hidden_group_size_y
      - .offset:         3168
        .size:           2
        .value_kind:     hidden_group_size_z
      - .offset:         3170
        .size:           2
        .value_kind:     hidden_remainder_x
      - .offset:         3172
        .size:           2
        .value_kind:     hidden_remainder_y
      - .offset:         3174
        .size:           2
        .value_kind:     hidden_remainder_z
      - .offset:         3192
        .size:           8
        .value_kind:     hidden_global_offset_x
      - .offset:         3200
        .size:           8
        .value_kind:     hidden_global_offset_y
      - .offset:         3208
        .size:           8
        .value_kind:     hidden_global_offset_z
      - .offset:         3216
        .size:           2
        .value_kind:     hidden_grid_dims
    .group_segment_fixed_size: 0
    .kernarg_segment_align: 8
    .kernarg_segment_size: 3408
    .language:       OpenCL C
    .language_version:
      - 2
      - 0
    .max_flat_workgroup_size: 512
    .name:           _ZN2at6native12_GLOBAL__N_125multi_tensor_apply_kernelINS1_18TensorListMetadataILi2EEENS1_21BinaryOpScalarFunctorIfLi2ELi1ELi1EEEJNS0_7maximumIfEEfEEEvT_T0_DpT1_
    .private_segment_fixed_size: 0
    .sgpr_count:     36
    .sgpr_spill_count: 0
    .symbol:         _ZN2at6native12_GLOBAL__N_125multi_tensor_apply_kernelINS1_18TensorListMetadataILi2EEENS1_21BinaryOpScalarFunctorIfLi2ELi1ELi1EEEJNS0_7maximumIfEEfEEEvT_T0_DpT1_.kd
    .uniform_work_group_size: 1
    .uses_dynamic_stack: false
    .vgpr_count:     32
    .vgpr_spill_count: 0
    .wavefront_size: 64
  - .agpr_count:     0
    .args:
      - .offset:         0
        .size:           3144
        .value_kind:     by_value
      - .offset:         3144
        .size:           1
        .value_kind:     by_value
      - .offset:         3145
        .size:           1
        .value_kind:     by_value
      - .offset:         3148
        .size:           4
        .value_kind:     by_value
      - .offset:         3152
        .size:           4
        .value_kind:     hidden_block_count_x
      - .offset:         3156
        .size:           4
        .value_kind:     hidden_block_count_y
      - .offset:         3160
        .size:           4
        .value_kind:     hidden_block_count_z
      - .offset:         3164
        .size:           2
        .value_kind:     hidden_group_size_x
      - .offset:         3166
        .size:           2
        .value_kind:     hidden_group_size_y
      - .offset:         3168
        .size:           2
        .value_kind:     hidden_group_size_z
      - .offset:         3170
        .size:           2
        .value_kind:     hidden_remainder_x
      - .offset:         3172
        .size:           2
        .value_kind:     hidden_remainder_y
      - .offset:         3174
        .size:           2
        .value_kind:     hidden_remainder_z
      - .offset:         3192
        .size:           8
        .value_kind:     hidden_global_offset_x
      - .offset:         3200
        .size:           8
        .value_kind:     hidden_global_offset_y
      - .offset:         3208
        .size:           8
        .value_kind:     hidden_global_offset_z
      - .offset:         3216
        .size:           2
        .value_kind:     hidden_grid_dims
    .group_segment_fixed_size: 0
    .kernarg_segment_align: 8
    .kernarg_segment_size: 3408
    .language:       OpenCL C
    .language_version:
      - 2
      - 0
    .max_flat_workgroup_size: 512
    .name:           _ZN2at6native12_GLOBAL__N_125multi_tensor_apply_kernelINS1_18TensorListMetadataILi2EEENS1_21BinaryOpScalarFunctorIN3c104HalfELi2ELi1ELi1EEEJNS0_7maximumIfEEfEEEvT_T0_DpT1_
    .private_segment_fixed_size: 0
    .sgpr_count:     40
    .sgpr_spill_count: 0
    .symbol:         _ZN2at6native12_GLOBAL__N_125multi_tensor_apply_kernelINS1_18TensorListMetadataILi2EEENS1_21BinaryOpScalarFunctorIN3c104HalfELi2ELi1ELi1EEEJNS0_7maximumIfEEfEEEvT_T0_DpT1_.kd
    .uniform_work_group_size: 1
    .uses_dynamic_stack: false
    .vgpr_count:     34
    .vgpr_spill_count: 0
    .wavefront_size: 64
  - .agpr_count:     0
    .args:
      - .offset:         0
        .size:           3144
        .value_kind:     by_value
      - .offset:         3144
        .size:           1
        .value_kind:     by_value
      - .offset:         3145
        .size:           1
        .value_kind:     by_value
      - .offset:         3148
        .size:           4
        .value_kind:     by_value
      - .offset:         3152
        .size:           4
        .value_kind:     hidden_block_count_x
      - .offset:         3156
        .size:           4
        .value_kind:     hidden_block_count_y
      - .offset:         3160
        .size:           4
        .value_kind:     hidden_block_count_z
      - .offset:         3164
        .size:           2
        .value_kind:     hidden_group_size_x
      - .offset:         3166
        .size:           2
        .value_kind:     hidden_group_size_y
      - .offset:         3168
        .size:           2
        .value_kind:     hidden_group_size_z
      - .offset:         3170
        .size:           2
        .value_kind:     hidden_remainder_x
      - .offset:         3172
        .size:           2
        .value_kind:     hidden_remainder_y
      - .offset:         3174
        .size:           2
        .value_kind:     hidden_remainder_z
      - .offset:         3192
        .size:           8
        .value_kind:     hidden_global_offset_x
      - .offset:         3200
        .size:           8
        .value_kind:     hidden_global_offset_y
      - .offset:         3208
        .size:           8
        .value_kind:     hidden_global_offset_z
      - .offset:         3216
        .size:           2
        .value_kind:     hidden_grid_dims
    .group_segment_fixed_size: 0
    .kernarg_segment_align: 8
    .kernarg_segment_size: 3408
    .language:       OpenCL C
    .language_version:
      - 2
      - 0
    .max_flat_workgroup_size: 512
    .name:           _ZN2at6native12_GLOBAL__N_125multi_tensor_apply_kernelINS1_18TensorListMetadataILi2EEENS1_21BinaryOpScalarFunctorIN3c108BFloat16ELi2ELi1ELi1EEEJNS0_7maximumIfEEfEEEvT_T0_DpT1_
    .private_segment_fixed_size: 0
    .sgpr_count:     37
    .sgpr_spill_count: 0
    .symbol:         _ZN2at6native12_GLOBAL__N_125multi_tensor_apply_kernelINS1_18TensorListMetadataILi2EEENS1_21BinaryOpScalarFunctorIN3c108BFloat16ELi2ELi1ELi1EEEJNS0_7maximumIfEEfEEEvT_T0_DpT1_.kd
    .uniform_work_group_size: 1
    .uses_dynamic_stack: false
    .vgpr_count:     32
    .vgpr_spill_count: 0
    .wavefront_size: 64
amdhsa.target:   amdgcn-amd-amdhsa--gfx950
amdhsa.version:
  - 1
  - 2
...

	.end_amdgpu_metadata
